;; amdgpu-corpus repo=ROCm/hipCUB kind=compiled arch=gfx1100 opt=O3
	.text
	.amdgcn_target "amdgcn-amd-amdhsa--gfx1100"
	.amdhsa_code_object_version 6
	.section	.text._ZN7rocprim6detail31init_lookback_scan_state_kernelINS0_19lookback_scan_stateIiLb1ELb1EEEEEvT_jjPNS4_10value_typeE,"axG",@progbits,_ZN7rocprim6detail31init_lookback_scan_state_kernelINS0_19lookback_scan_stateIiLb1ELb1EEEEEvT_jjPNS4_10value_typeE,comdat
	.protected	_ZN7rocprim6detail31init_lookback_scan_state_kernelINS0_19lookback_scan_stateIiLb1ELb1EEEEEvT_jjPNS4_10value_typeE ; -- Begin function _ZN7rocprim6detail31init_lookback_scan_state_kernelINS0_19lookback_scan_stateIiLb1ELb1EEEEEvT_jjPNS4_10value_typeE
	.globl	_ZN7rocprim6detail31init_lookback_scan_state_kernelINS0_19lookback_scan_stateIiLb1ELb1EEEEEvT_jjPNS4_10value_typeE
	.p2align	8
	.type	_ZN7rocprim6detail31init_lookback_scan_state_kernelINS0_19lookback_scan_stateIiLb1ELb1EEEEEvT_jjPNS4_10value_typeE,@function
_ZN7rocprim6detail31init_lookback_scan_state_kernelINS0_19lookback_scan_stateIiLb1ELb1EEEEEvT_jjPNS4_10value_typeE: ; @_ZN7rocprim6detail31init_lookback_scan_state_kernelINS0_19lookback_scan_stateIiLb1ELb1EEEEEvT_jjPNS4_10value_typeE
; %bb.0:
	s_clause 0x2
	s_load_b32 s6, s[0:1], 0x24
	s_load_b64 s[4:5], s[0:1], 0x10
	s_load_b128 s[0:3], s[0:1], 0x0
	s_waitcnt lgkmcnt(0)
	s_and_b32 s6, s6, 0xffff
	s_cmp_eq_u64 s[4:5], 0
	v_mad_u64_u32 v[1:2], null, s15, s6, v[0:1]
	s_cbranch_scc1 .LBB0_9
; %bb.1:
	s_cmp_lt_u32 s3, s2
	s_mov_b32 s7, 0
	s_cselect_b32 s6, s3, 0
	s_mov_b32 s8, exec_lo
	s_delay_alu instid0(VALU_DEP_1)
	v_cmpx_eq_u32_e64 s6, v1
	s_cbranch_execz .LBB0_8
; %bb.2:
	s_add_i32 s6, s3, 32
	v_mov_b32_e32 v2, 0
	s_lshl_b64 s[6:7], s[6:7], 3
	s_delay_alu instid0(SALU_CYCLE_1) | instskip(SKIP_4) | instid1(VALU_DEP_1)
	s_add_u32 s6, s0, s6
	s_addc_u32 s7, s1, s7
	global_load_b64 v[4:5], v2, s[6:7] glc
	s_waitcnt vmcnt(0)
	v_and_b32_e32 v3, 0xff, v5
	v_cmp_ne_u64_e32 vcc_lo, 0, v[2:3]
	s_cbranch_vccnz .LBB0_7
; %bb.3:
	s_mov_b32 s3, 1
.LBB0_4:                                ; =>This Loop Header: Depth=1
                                        ;     Child Loop BB0_5 Depth 2
	s_delay_alu instid0(SALU_CYCLE_1)
	s_max_u32 s9, s3, 1
.LBB0_5:                                ;   Parent Loop BB0_4 Depth=1
                                        ; =>  This Inner Loop Header: Depth=2
	s_delay_alu instid0(SALU_CYCLE_1)
	s_add_i32 s9, s9, -1
	s_sleep 1
	s_cmp_eq_u32 s9, 0
	s_cbranch_scc0 .LBB0_5
; %bb.6:                                ;   in Loop: Header=BB0_4 Depth=1
	global_load_b64 v[4:5], v2, s[6:7] glc
	s_cmp_lt_u32 s3, 32
	s_cselect_b32 s9, -1, 0
	s_delay_alu instid0(SALU_CYCLE_1) | instskip(SKIP_3) | instid1(VALU_DEP_1)
	s_cmp_lg_u32 s9, 0
	s_addc_u32 s3, s3, 0
	s_waitcnt vmcnt(0)
	v_and_b32_e32 v3, 0xff, v5
	v_cmp_ne_u64_e32 vcc_lo, 0, v[2:3]
	s_cbranch_vccz .LBB0_4
.LBB0_7:
	v_mov_b32_e32 v0, 0
	global_store_b32 v0, v4, s[4:5]
.LBB0_8:
	s_or_b32 exec_lo, exec_lo, s8
.LBB0_9:
	s_delay_alu instid0(VALU_DEP_1)
	v_cmp_gt_u32_e32 vcc_lo, s2, v1
	s_and_saveexec_b32 s2, vcc_lo
	s_cbranch_execz .LBB0_11
; %bb.10:
	v_dual_mov_b32 v3, 0 :: v_dual_add_nc_u32 v2, 32, v1
	s_delay_alu instid0(VALU_DEP_1) | instskip(SKIP_1) | instid1(VALU_DEP_2)
	v_lshlrev_b64 v[4:5], 3, v[2:3]
	v_mov_b32_e32 v2, v3
	v_add_co_u32 v4, vcc_lo, s0, v4
	s_delay_alu instid0(VALU_DEP_3)
	v_add_co_ci_u32_e32 v5, vcc_lo, s1, v5, vcc_lo
	global_store_b64 v[4:5], v[2:3], off
.LBB0_11:
	s_or_b32 exec_lo, exec_lo, s2
	s_delay_alu instid0(SALU_CYCLE_1)
	s_mov_b32 s2, exec_lo
	v_cmpx_gt_u32_e32 32, v1
	s_cbranch_execz .LBB0_13
; %bb.12:
	v_dual_mov_b32 v2, 0 :: v_dual_mov_b32 v3, 0xff
	s_delay_alu instid0(VALU_DEP_1) | instskip(NEXT) | instid1(VALU_DEP_1)
	v_lshlrev_b64 v[0:1], 3, v[1:2]
	v_add_co_u32 v0, vcc_lo, s0, v0
	s_delay_alu instid0(VALU_DEP_2)
	v_add_co_ci_u32_e32 v1, vcc_lo, s1, v1, vcc_lo
	global_store_b64 v[0:1], v[2:3], off
.LBB0_13:
	s_nop 0
	s_sendmsg sendmsg(MSG_DEALLOC_VGPRS)
	s_endpgm
	.section	.rodata,"a",@progbits
	.p2align	6, 0x0
	.amdhsa_kernel _ZN7rocprim6detail31init_lookback_scan_state_kernelINS0_19lookback_scan_stateIiLb1ELb1EEEEEvT_jjPNS4_10value_typeE
		.amdhsa_group_segment_fixed_size 0
		.amdhsa_private_segment_fixed_size 0
		.amdhsa_kernarg_size 280
		.amdhsa_user_sgpr_count 15
		.amdhsa_user_sgpr_dispatch_ptr 0
		.amdhsa_user_sgpr_queue_ptr 0
		.amdhsa_user_sgpr_kernarg_segment_ptr 1
		.amdhsa_user_sgpr_dispatch_id 0
		.amdhsa_user_sgpr_private_segment_size 0
		.amdhsa_wavefront_size32 1
		.amdhsa_uses_dynamic_stack 0
		.amdhsa_enable_private_segment 0
		.amdhsa_system_sgpr_workgroup_id_x 1
		.amdhsa_system_sgpr_workgroup_id_y 0
		.amdhsa_system_sgpr_workgroup_id_z 0
		.amdhsa_system_sgpr_workgroup_info 0
		.amdhsa_system_vgpr_workitem_id 0
		.amdhsa_next_free_vgpr 6
		.amdhsa_next_free_sgpr 16
		.amdhsa_reserve_vcc 1
		.amdhsa_float_round_mode_32 0
		.amdhsa_float_round_mode_16_64 0
		.amdhsa_float_denorm_mode_32 3
		.amdhsa_float_denorm_mode_16_64 3
		.amdhsa_dx10_clamp 1
		.amdhsa_ieee_mode 1
		.amdhsa_fp16_overflow 0
		.amdhsa_workgroup_processor_mode 1
		.amdhsa_memory_ordered 1
		.amdhsa_forward_progress 0
		.amdhsa_shared_vgpr_count 0
		.amdhsa_exception_fp_ieee_invalid_op 0
		.amdhsa_exception_fp_denorm_src 0
		.amdhsa_exception_fp_ieee_div_zero 0
		.amdhsa_exception_fp_ieee_overflow 0
		.amdhsa_exception_fp_ieee_underflow 0
		.amdhsa_exception_fp_ieee_inexact 0
		.amdhsa_exception_int_div_zero 0
	.end_amdhsa_kernel
	.section	.text._ZN7rocprim6detail31init_lookback_scan_state_kernelINS0_19lookback_scan_stateIiLb1ELb1EEEEEvT_jjPNS4_10value_typeE,"axG",@progbits,_ZN7rocprim6detail31init_lookback_scan_state_kernelINS0_19lookback_scan_stateIiLb1ELb1EEEEEvT_jjPNS4_10value_typeE,comdat
.Lfunc_end0:
	.size	_ZN7rocprim6detail31init_lookback_scan_state_kernelINS0_19lookback_scan_stateIiLb1ELb1EEEEEvT_jjPNS4_10value_typeE, .Lfunc_end0-_ZN7rocprim6detail31init_lookback_scan_state_kernelINS0_19lookback_scan_stateIiLb1ELb1EEEEEvT_jjPNS4_10value_typeE
                                        ; -- End function
	.section	.AMDGPU.csdata,"",@progbits
; Kernel info:
; codeLenInByte = 380
; NumSgprs: 18
; NumVgprs: 6
; ScratchSize: 0
; MemoryBound: 0
; FloatMode: 240
; IeeeMode: 1
; LDSByteSize: 0 bytes/workgroup (compile time only)
; SGPRBlocks: 2
; VGPRBlocks: 0
; NumSGPRsForWavesPerEU: 18
; NumVGPRsForWavesPerEU: 6
; Occupancy: 16
; WaveLimiterHint : 0
; COMPUTE_PGM_RSRC2:SCRATCH_EN: 0
; COMPUTE_PGM_RSRC2:USER_SGPR: 15
; COMPUTE_PGM_RSRC2:TRAP_HANDLER: 0
; COMPUTE_PGM_RSRC2:TGID_X_EN: 1
; COMPUTE_PGM_RSRC2:TGID_Y_EN: 0
; COMPUTE_PGM_RSRC2:TGID_Z_EN: 0
; COMPUTE_PGM_RSRC2:TIDIG_COMP_CNT: 0
	.section	.text._ZN7rocprim6detail31init_lookback_scan_state_kernelINS0_19lookback_scan_stateIiLb0ELb1EEEEEvT_jjPNS4_10value_typeE,"axG",@progbits,_ZN7rocprim6detail31init_lookback_scan_state_kernelINS0_19lookback_scan_stateIiLb0ELb1EEEEEvT_jjPNS4_10value_typeE,comdat
	.protected	_ZN7rocprim6detail31init_lookback_scan_state_kernelINS0_19lookback_scan_stateIiLb0ELb1EEEEEvT_jjPNS4_10value_typeE ; -- Begin function _ZN7rocprim6detail31init_lookback_scan_state_kernelINS0_19lookback_scan_stateIiLb0ELb1EEEEEvT_jjPNS4_10value_typeE
	.globl	_ZN7rocprim6detail31init_lookback_scan_state_kernelINS0_19lookback_scan_stateIiLb0ELb1EEEEEvT_jjPNS4_10value_typeE
	.p2align	8
	.type	_ZN7rocprim6detail31init_lookback_scan_state_kernelINS0_19lookback_scan_stateIiLb0ELb1EEEEEvT_jjPNS4_10value_typeE,@function
_ZN7rocprim6detail31init_lookback_scan_state_kernelINS0_19lookback_scan_stateIiLb0ELb1EEEEEvT_jjPNS4_10value_typeE: ; @_ZN7rocprim6detail31init_lookback_scan_state_kernelINS0_19lookback_scan_stateIiLb0ELb1EEEEEvT_jjPNS4_10value_typeE
; %bb.0:
	s_clause 0x2
	s_load_b32 s6, s[0:1], 0x24
	s_load_b64 s[4:5], s[0:1], 0x10
	s_load_b128 s[0:3], s[0:1], 0x0
	s_waitcnt lgkmcnt(0)
	s_and_b32 s6, s6, 0xffff
	s_cmp_eq_u64 s[4:5], 0
	v_mad_u64_u32 v[1:2], null, s15, s6, v[0:1]
	s_cbranch_scc1 .LBB1_6
; %bb.1:
	s_cmp_lt_u32 s3, s2
	s_mov_b32 s7, 0
	s_cselect_b32 s6, s3, 0
	s_mov_b32 s8, exec_lo
	s_delay_alu instid0(VALU_DEP_1)
	v_cmpx_eq_u32_e64 s6, v1
	s_cbranch_execz .LBB1_5
; %bb.2:
	s_add_i32 s6, s3, 32
	v_mov_b32_e32 v4, 0
	s_lshl_b64 s[6:7], s[6:7], 3
	s_delay_alu instid0(SALU_CYCLE_1) | instskip(SKIP_4) | instid1(VALU_DEP_1)
	s_add_u32 s6, s0, s6
	s_addc_u32 s7, s1, s7
	global_load_b64 v[2:3], v4, s[6:7] glc
	s_waitcnt vmcnt(0)
	v_and_b32_e32 v5, 0xff, v3
	v_cmp_ne_u64_e32 vcc_lo, 0, v[4:5]
	s_cbranch_vccnz .LBB1_4
.LBB1_3:                                ; =>This Inner Loop Header: Depth=1
	global_load_b64 v[2:3], v4, s[6:7] glc
	s_waitcnt vmcnt(0)
	v_and_b32_e32 v5, 0xff, v3
	s_delay_alu instid0(VALU_DEP_1)
	v_cmp_eq_u64_e32 vcc_lo, 0, v[4:5]
	s_cbranch_vccnz .LBB1_3
.LBB1_4:
	v_mov_b32_e32 v0, 0
	global_store_b32 v0, v2, s[4:5]
.LBB1_5:
	s_or_b32 exec_lo, exec_lo, s8
.LBB1_6:
	s_delay_alu instid0(VALU_DEP_1)
	v_cmp_gt_u32_e32 vcc_lo, s2, v1
	s_and_saveexec_b32 s2, vcc_lo
	s_cbranch_execz .LBB1_8
; %bb.7:
	v_dual_mov_b32 v3, 0 :: v_dual_add_nc_u32 v2, 32, v1
	s_delay_alu instid0(VALU_DEP_1) | instskip(SKIP_1) | instid1(VALU_DEP_2)
	v_lshlrev_b64 v[4:5], 3, v[2:3]
	v_mov_b32_e32 v2, v3
	v_add_co_u32 v4, vcc_lo, s0, v4
	s_delay_alu instid0(VALU_DEP_3)
	v_add_co_ci_u32_e32 v5, vcc_lo, s1, v5, vcc_lo
	global_store_b64 v[4:5], v[2:3], off
.LBB1_8:
	s_or_b32 exec_lo, exec_lo, s2
	s_delay_alu instid0(SALU_CYCLE_1)
	s_mov_b32 s2, exec_lo
	v_cmpx_gt_u32_e32 32, v1
	s_cbranch_execz .LBB1_10
; %bb.9:
	v_dual_mov_b32 v2, 0 :: v_dual_mov_b32 v3, 0xff
	s_delay_alu instid0(VALU_DEP_1) | instskip(NEXT) | instid1(VALU_DEP_1)
	v_lshlrev_b64 v[0:1], 3, v[1:2]
	v_add_co_u32 v0, vcc_lo, s0, v0
	s_delay_alu instid0(VALU_DEP_2)
	v_add_co_ci_u32_e32 v1, vcc_lo, s1, v1, vcc_lo
	global_store_b64 v[0:1], v[2:3], off
.LBB1_10:
	s_nop 0
	s_sendmsg sendmsg(MSG_DEALLOC_VGPRS)
	s_endpgm
	.section	.rodata,"a",@progbits
	.p2align	6, 0x0
	.amdhsa_kernel _ZN7rocprim6detail31init_lookback_scan_state_kernelINS0_19lookback_scan_stateIiLb0ELb1EEEEEvT_jjPNS4_10value_typeE
		.amdhsa_group_segment_fixed_size 0
		.amdhsa_private_segment_fixed_size 0
		.amdhsa_kernarg_size 280
		.amdhsa_user_sgpr_count 15
		.amdhsa_user_sgpr_dispatch_ptr 0
		.amdhsa_user_sgpr_queue_ptr 0
		.amdhsa_user_sgpr_kernarg_segment_ptr 1
		.amdhsa_user_sgpr_dispatch_id 0
		.amdhsa_user_sgpr_private_segment_size 0
		.amdhsa_wavefront_size32 1
		.amdhsa_uses_dynamic_stack 0
		.amdhsa_enable_private_segment 0
		.amdhsa_system_sgpr_workgroup_id_x 1
		.amdhsa_system_sgpr_workgroup_id_y 0
		.amdhsa_system_sgpr_workgroup_id_z 0
		.amdhsa_system_sgpr_workgroup_info 0
		.amdhsa_system_vgpr_workitem_id 0
		.amdhsa_next_free_vgpr 6
		.amdhsa_next_free_sgpr 16
		.amdhsa_reserve_vcc 1
		.amdhsa_float_round_mode_32 0
		.amdhsa_float_round_mode_16_64 0
		.amdhsa_float_denorm_mode_32 3
		.amdhsa_float_denorm_mode_16_64 3
		.amdhsa_dx10_clamp 1
		.amdhsa_ieee_mode 1
		.amdhsa_fp16_overflow 0
		.amdhsa_workgroup_processor_mode 1
		.amdhsa_memory_ordered 1
		.amdhsa_forward_progress 0
		.amdhsa_shared_vgpr_count 0
		.amdhsa_exception_fp_ieee_invalid_op 0
		.amdhsa_exception_fp_denorm_src 0
		.amdhsa_exception_fp_ieee_div_zero 0
		.amdhsa_exception_fp_ieee_overflow 0
		.amdhsa_exception_fp_ieee_underflow 0
		.amdhsa_exception_fp_ieee_inexact 0
		.amdhsa_exception_int_div_zero 0
	.end_amdhsa_kernel
	.section	.text._ZN7rocprim6detail31init_lookback_scan_state_kernelINS0_19lookback_scan_stateIiLb0ELb1EEEEEvT_jjPNS4_10value_typeE,"axG",@progbits,_ZN7rocprim6detail31init_lookback_scan_state_kernelINS0_19lookback_scan_stateIiLb0ELb1EEEEEvT_jjPNS4_10value_typeE,comdat
.Lfunc_end1:
	.size	_ZN7rocprim6detail31init_lookback_scan_state_kernelINS0_19lookback_scan_stateIiLb0ELb1EEEEEvT_jjPNS4_10value_typeE, .Lfunc_end1-_ZN7rocprim6detail31init_lookback_scan_state_kernelINS0_19lookback_scan_stateIiLb0ELb1EEEEEvT_jjPNS4_10value_typeE
                                        ; -- End function
	.section	.AMDGPU.csdata,"",@progbits
; Kernel info:
; codeLenInByte = 332
; NumSgprs: 18
; NumVgprs: 6
; ScratchSize: 0
; MemoryBound: 0
; FloatMode: 240
; IeeeMode: 1
; LDSByteSize: 0 bytes/workgroup (compile time only)
; SGPRBlocks: 2
; VGPRBlocks: 0
; NumSGPRsForWavesPerEU: 18
; NumVGPRsForWavesPerEU: 6
; Occupancy: 16
; WaveLimiterHint : 0
; COMPUTE_PGM_RSRC2:SCRATCH_EN: 0
; COMPUTE_PGM_RSRC2:USER_SGPR: 15
; COMPUTE_PGM_RSRC2:TRAP_HANDLER: 0
; COMPUTE_PGM_RSRC2:TGID_X_EN: 1
; COMPUTE_PGM_RSRC2:TGID_Y_EN: 0
; COMPUTE_PGM_RSRC2:TGID_Z_EN: 0
; COMPUTE_PGM_RSRC2:TIDIG_COMP_CNT: 0
	.section	.text._ZN7rocprim6detail20lookback_scan_kernelILNS0_25lookback_scan_determinismE0ELb0ENS0_19wrapped_scan_configINS_14default_configEiEEN6hipcub22TransformInputIteratorIiNS6_6CastOpIiEEPilEEPlNS6_3SumEiiNS0_19lookback_scan_stateIiLb1ELb1EEEEEvT2_T3_mT5_T4_T7_jPT6_SM_bb,"axG",@progbits,_ZN7rocprim6detail20lookback_scan_kernelILNS0_25lookback_scan_determinismE0ELb0ENS0_19wrapped_scan_configINS_14default_configEiEEN6hipcub22TransformInputIteratorIiNS6_6CastOpIiEEPilEEPlNS6_3SumEiiNS0_19lookback_scan_stateIiLb1ELb1EEEEEvT2_T3_mT5_T4_T7_jPT6_SM_bb,comdat
	.protected	_ZN7rocprim6detail20lookback_scan_kernelILNS0_25lookback_scan_determinismE0ELb0ENS0_19wrapped_scan_configINS_14default_configEiEEN6hipcub22TransformInputIteratorIiNS6_6CastOpIiEEPilEEPlNS6_3SumEiiNS0_19lookback_scan_stateIiLb1ELb1EEEEEvT2_T3_mT5_T4_T7_jPT6_SM_bb ; -- Begin function _ZN7rocprim6detail20lookback_scan_kernelILNS0_25lookback_scan_determinismE0ELb0ENS0_19wrapped_scan_configINS_14default_configEiEEN6hipcub22TransformInputIteratorIiNS6_6CastOpIiEEPilEEPlNS6_3SumEiiNS0_19lookback_scan_stateIiLb1ELb1EEEEEvT2_T3_mT5_T4_T7_jPT6_SM_bb
	.globl	_ZN7rocprim6detail20lookback_scan_kernelILNS0_25lookback_scan_determinismE0ELb0ENS0_19wrapped_scan_configINS_14default_configEiEEN6hipcub22TransformInputIteratorIiNS6_6CastOpIiEEPilEEPlNS6_3SumEiiNS0_19lookback_scan_stateIiLb1ELb1EEEEEvT2_T3_mT5_T4_T7_jPT6_SM_bb
	.p2align	8
	.type	_ZN7rocprim6detail20lookback_scan_kernelILNS0_25lookback_scan_determinismE0ELb0ENS0_19wrapped_scan_configINS_14default_configEiEEN6hipcub22TransformInputIteratorIiNS6_6CastOpIiEEPilEEPlNS6_3SumEiiNS0_19lookback_scan_stateIiLb1ELb1EEEEEvT2_T3_mT5_T4_T7_jPT6_SM_bb,@function
_ZN7rocprim6detail20lookback_scan_kernelILNS0_25lookback_scan_determinismE0ELb0ENS0_19wrapped_scan_configINS_14default_configEiEEN6hipcub22TransformInputIteratorIiNS6_6CastOpIiEEPilEEPlNS6_3SumEiiNS0_19lookback_scan_stateIiLb1ELb1EEEEEvT2_T3_mT5_T4_T7_jPT6_SM_bb: ; @_ZN7rocprim6detail20lookback_scan_kernelILNS0_25lookback_scan_determinismE0ELb0ENS0_19wrapped_scan_configINS_14default_configEiEEN6hipcub22TransformInputIteratorIiNS6_6CastOpIiEEPilEEPlNS6_3SumEiiNS0_19lookback_scan_stateIiLb1ELb1EEEEEvT2_T3_mT5_T4_T7_jPT6_SM_bb
; %bb.0:
	s_endpgm
	.section	.rodata,"a",@progbits
	.p2align	6, 0x0
	.amdhsa_kernel _ZN7rocprim6detail20lookback_scan_kernelILNS0_25lookback_scan_determinismE0ELb0ENS0_19wrapped_scan_configINS_14default_configEiEEN6hipcub22TransformInputIteratorIiNS6_6CastOpIiEEPilEEPlNS6_3SumEiiNS0_19lookback_scan_stateIiLb1ELb1EEEEEvT2_T3_mT5_T4_T7_jPT6_SM_bb
		.amdhsa_group_segment_fixed_size 0
		.amdhsa_private_segment_fixed_size 0
		.amdhsa_kernarg_size 76
		.amdhsa_user_sgpr_count 15
		.amdhsa_user_sgpr_dispatch_ptr 0
		.amdhsa_user_sgpr_queue_ptr 0
		.amdhsa_user_sgpr_kernarg_segment_ptr 1
		.amdhsa_user_sgpr_dispatch_id 0
		.amdhsa_user_sgpr_private_segment_size 0
		.amdhsa_wavefront_size32 1
		.amdhsa_uses_dynamic_stack 0
		.amdhsa_enable_private_segment 0
		.amdhsa_system_sgpr_workgroup_id_x 1
		.amdhsa_system_sgpr_workgroup_id_y 0
		.amdhsa_system_sgpr_workgroup_id_z 0
		.amdhsa_system_sgpr_workgroup_info 0
		.amdhsa_system_vgpr_workitem_id 0
		.amdhsa_next_free_vgpr 1
		.amdhsa_next_free_sgpr 1
		.amdhsa_reserve_vcc 0
		.amdhsa_float_round_mode_32 0
		.amdhsa_float_round_mode_16_64 0
		.amdhsa_float_denorm_mode_32 3
		.amdhsa_float_denorm_mode_16_64 3
		.amdhsa_dx10_clamp 1
		.amdhsa_ieee_mode 1
		.amdhsa_fp16_overflow 0
		.amdhsa_workgroup_processor_mode 1
		.amdhsa_memory_ordered 1
		.amdhsa_forward_progress 0
		.amdhsa_shared_vgpr_count 0
		.amdhsa_exception_fp_ieee_invalid_op 0
		.amdhsa_exception_fp_denorm_src 0
		.amdhsa_exception_fp_ieee_div_zero 0
		.amdhsa_exception_fp_ieee_overflow 0
		.amdhsa_exception_fp_ieee_underflow 0
		.amdhsa_exception_fp_ieee_inexact 0
		.amdhsa_exception_int_div_zero 0
	.end_amdhsa_kernel
	.section	.text._ZN7rocprim6detail20lookback_scan_kernelILNS0_25lookback_scan_determinismE0ELb0ENS0_19wrapped_scan_configINS_14default_configEiEEN6hipcub22TransformInputIteratorIiNS6_6CastOpIiEEPilEEPlNS6_3SumEiiNS0_19lookback_scan_stateIiLb1ELb1EEEEEvT2_T3_mT5_T4_T7_jPT6_SM_bb,"axG",@progbits,_ZN7rocprim6detail20lookback_scan_kernelILNS0_25lookback_scan_determinismE0ELb0ENS0_19wrapped_scan_configINS_14default_configEiEEN6hipcub22TransformInputIteratorIiNS6_6CastOpIiEEPilEEPlNS6_3SumEiiNS0_19lookback_scan_stateIiLb1ELb1EEEEEvT2_T3_mT5_T4_T7_jPT6_SM_bb,comdat
.Lfunc_end2:
	.size	_ZN7rocprim6detail20lookback_scan_kernelILNS0_25lookback_scan_determinismE0ELb0ENS0_19wrapped_scan_configINS_14default_configEiEEN6hipcub22TransformInputIteratorIiNS6_6CastOpIiEEPilEEPlNS6_3SumEiiNS0_19lookback_scan_stateIiLb1ELb1EEEEEvT2_T3_mT5_T4_T7_jPT6_SM_bb, .Lfunc_end2-_ZN7rocprim6detail20lookback_scan_kernelILNS0_25lookback_scan_determinismE0ELb0ENS0_19wrapped_scan_configINS_14default_configEiEEN6hipcub22TransformInputIteratorIiNS6_6CastOpIiEEPilEEPlNS6_3SumEiiNS0_19lookback_scan_stateIiLb1ELb1EEEEEvT2_T3_mT5_T4_T7_jPT6_SM_bb
                                        ; -- End function
	.section	.AMDGPU.csdata,"",@progbits
; Kernel info:
; codeLenInByte = 4
; NumSgprs: 0
; NumVgprs: 0
; ScratchSize: 0
; MemoryBound: 0
; FloatMode: 240
; IeeeMode: 1
; LDSByteSize: 0 bytes/workgroup (compile time only)
; SGPRBlocks: 0
; VGPRBlocks: 0
; NumSGPRsForWavesPerEU: 1
; NumVGPRsForWavesPerEU: 1
; Occupancy: 16
; WaveLimiterHint : 0
; COMPUTE_PGM_RSRC2:SCRATCH_EN: 0
; COMPUTE_PGM_RSRC2:USER_SGPR: 15
; COMPUTE_PGM_RSRC2:TRAP_HANDLER: 0
; COMPUTE_PGM_RSRC2:TGID_X_EN: 1
; COMPUTE_PGM_RSRC2:TGID_Y_EN: 0
; COMPUTE_PGM_RSRC2:TGID_Z_EN: 0
; COMPUTE_PGM_RSRC2:TIDIG_COMP_CNT: 0
	.section	.text._ZN7rocprim6detail20lookback_scan_kernelILNS0_25lookback_scan_determinismE0ELb0ENS0_19wrapped_scan_configINS_14default_configEiEEN6hipcub22TransformInputIteratorIiNS6_6CastOpIiEEPilEEPlNS6_3SumEiiNS0_19lookback_scan_stateIiLb0ELb1EEEEEvT2_T3_mT5_T4_T7_jPT6_SM_bb,"axG",@progbits,_ZN7rocprim6detail20lookback_scan_kernelILNS0_25lookback_scan_determinismE0ELb0ENS0_19wrapped_scan_configINS_14default_configEiEEN6hipcub22TransformInputIteratorIiNS6_6CastOpIiEEPilEEPlNS6_3SumEiiNS0_19lookback_scan_stateIiLb0ELb1EEEEEvT2_T3_mT5_T4_T7_jPT6_SM_bb,comdat
	.protected	_ZN7rocprim6detail20lookback_scan_kernelILNS0_25lookback_scan_determinismE0ELb0ENS0_19wrapped_scan_configINS_14default_configEiEEN6hipcub22TransformInputIteratorIiNS6_6CastOpIiEEPilEEPlNS6_3SumEiiNS0_19lookback_scan_stateIiLb0ELb1EEEEEvT2_T3_mT5_T4_T7_jPT6_SM_bb ; -- Begin function _ZN7rocprim6detail20lookback_scan_kernelILNS0_25lookback_scan_determinismE0ELb0ENS0_19wrapped_scan_configINS_14default_configEiEEN6hipcub22TransformInputIteratorIiNS6_6CastOpIiEEPilEEPlNS6_3SumEiiNS0_19lookback_scan_stateIiLb0ELb1EEEEEvT2_T3_mT5_T4_T7_jPT6_SM_bb
	.globl	_ZN7rocprim6detail20lookback_scan_kernelILNS0_25lookback_scan_determinismE0ELb0ENS0_19wrapped_scan_configINS_14default_configEiEEN6hipcub22TransformInputIteratorIiNS6_6CastOpIiEEPilEEPlNS6_3SumEiiNS0_19lookback_scan_stateIiLb0ELb1EEEEEvT2_T3_mT5_T4_T7_jPT6_SM_bb
	.p2align	8
	.type	_ZN7rocprim6detail20lookback_scan_kernelILNS0_25lookback_scan_determinismE0ELb0ENS0_19wrapped_scan_configINS_14default_configEiEEN6hipcub22TransformInputIteratorIiNS6_6CastOpIiEEPilEEPlNS6_3SumEiiNS0_19lookback_scan_stateIiLb0ELb1EEEEEvT2_T3_mT5_T4_T7_jPT6_SM_bb,@function
_ZN7rocprim6detail20lookback_scan_kernelILNS0_25lookback_scan_determinismE0ELb0ENS0_19wrapped_scan_configINS_14default_configEiEEN6hipcub22TransformInputIteratorIiNS6_6CastOpIiEEPilEEPlNS6_3SumEiiNS0_19lookback_scan_stateIiLb0ELb1EEEEEvT2_T3_mT5_T4_T7_jPT6_SM_bb: ; @_ZN7rocprim6detail20lookback_scan_kernelILNS0_25lookback_scan_determinismE0ELb0ENS0_19wrapped_scan_configINS_14default_configEiEEN6hipcub22TransformInputIteratorIiNS6_6CastOpIiEEPilEEPlNS6_3SumEiiNS0_19lookback_scan_stateIiLb0ELb1EEEEEvT2_T3_mT5_T4_T7_jPT6_SM_bb
; %bb.0:
	s_clause 0x2
	s_load_b32 s8, s[0:1], 0x30
	s_load_b128 s[4:7], s[0:1], 0x10
	s_load_b64 s[2:3], s[0:1], 0x0
	s_lshl_b32 s12, s15, 10
	s_mov_b32 s13, 0
	v_lshlrev_b32_e32 v19, 2, v0
	v_lshrrev_b32_e32 v20, 3, v0
	v_or_b32_e32 v49, 64, v0
	v_or_b32_e32 v48, 0x80, v0
	;; [unrolled: 1-line block ×13, first 2 shown]
	s_waitcnt lgkmcnt(0)
	s_add_i32 s8, s8, -1
	v_or_b32_e32 v36, 0x380, v0
	s_lshl_b32 s9, s8, 10
	v_or_b32_e32 v33, 0x3c0, v0
	s_sub_u32 s14, s6, s9
	s_subb_u32 s33, s7, 0
	s_cmp_lg_u32 s15, s8
	s_cselect_b32 s34, -1, 0
	s_lshl_b64 s[6:7], s[12:13], 2
	s_delay_alu instid0(SALU_CYCLE_1)
	s_add_u32 s6, s2, s6
	s_addc_u32 s7, s3, s7
	s_and_b32 vcc_lo, exec_lo, s34
	s_mov_b32 s3, -1
	s_cbranch_vccz .LBB3_2
; %bb.1:
	s_clause 0xf
	global_load_b32 v1, v19, s[6:7]
	global_load_b32 v2, v19, s[6:7] offset:256
	global_load_b32 v3, v19, s[6:7] offset:512
	;; [unrolled: 1-line block ×15, first 2 shown]
	v_lshrrev_b32_e32 v18, 3, v49
	v_lshrrev_b32_e32 v21, 3, v48
	;; [unrolled: 1-line block ×4, first 2 shown]
	v_and_b32_e32 v17, 4, v20
	v_lshrrev_b32_e32 v24, 3, v45
	v_lshrrev_b32_e32 v25, 3, v44
	;; [unrolled: 1-line block ×11, first 2 shown]
	v_and_b32_e32 v18, 12, v18
	v_and_b32_e32 v21, 20, v21
	;; [unrolled: 1-line block ×4, first 2 shown]
	v_add_nc_u32_e32 v17, v17, v19
	v_and_b32_e32 v24, 44, v24
	v_and_b32_e32 v25, 52, v25
	;; [unrolled: 1-line block ×11, first 2 shown]
	v_add_nc_u32_e32 v18, v18, v19
	v_add_nc_u32_e32 v21, v21, v19
	;; [unrolled: 1-line block ×4, first 2 shown]
	s_mov_b32 s3, s13
	v_add_nc_u32_e32 v24, v24, v19
	v_add_nc_u32_e32 v25, v25, v19
	;; [unrolled: 1-line block ×11, first 2 shown]
	s_waitcnt vmcnt(15)
	ds_store_b32 v17, v1
	s_waitcnt vmcnt(14)
	ds_store_b32 v18, v2 offset:256
	s_waitcnt vmcnt(13)
	ds_store_b32 v21, v3 offset:512
	;; [unrolled: 2-line block ×15, first 2 shown]
	s_waitcnt lgkmcnt(0)
	s_barrier
.LBB3_2:
	v_cmp_gt_u32_e64 s2, s14, v0
	s_and_not1_b32 vcc_lo, exec_lo, s3
	s_cbranch_vccnz .LBB3_21
; %bb.3:
	s_load_b32 s16, s[6:7], 0x0
	v_add_co_u32 v17, s3, s6, v19
	s_delay_alu instid0(VALU_DEP_1)
	v_add_co_ci_u32_e64 v18, null, s7, 0, s3
	s_waitcnt lgkmcnt(0)
	s_mov_b32 s17, s16
	s_mov_b32 s18, s16
	s_mov_b32 s19, s16
	s_mov_b32 s20, s16
	s_mov_b32 s21, s16
	s_mov_b32 s22, s16
	s_mov_b32 s23, s16
	s_mov_b32 s24, s16
	s_mov_b32 s25, s16
	s_mov_b32 s26, s16
	s_mov_b32 s27, s16
	s_mov_b32 s28, s16
	s_mov_b32 s29, s16
	s_mov_b32 s30, s16
	s_mov_b32 s31, s16
	v_dual_mov_b32 v1, s16 :: v_dual_mov_b32 v2, s17
	v_dual_mov_b32 v3, s18 :: v_dual_mov_b32 v4, s19
	;; [unrolled: 1-line block ×8, first 2 shown]
	v_mov_b32_e32 v21, s16
	s_and_saveexec_b32 s3, s2
	s_cbranch_execnz .LBB3_132
; %bb.4:
	s_or_b32 exec_lo, exec_lo, s3
	s_delay_alu instid0(SALU_CYCLE_1)
	s_mov_b32 s2, exec_lo
	v_cmpx_gt_u32_e64 s14, v49
	s_cbranch_execnz .LBB3_133
.LBB3_5:
	s_or_b32 exec_lo, exec_lo, s2
	s_delay_alu instid0(SALU_CYCLE_1)
	s_mov_b32 s2, exec_lo
	v_cmpx_gt_u32_e64 s14, v48
	s_cbranch_execnz .LBB3_134
.LBB3_6:
	s_or_b32 exec_lo, exec_lo, s2
	s_delay_alu instid0(SALU_CYCLE_1)
	s_mov_b32 s2, exec_lo
	v_cmpx_gt_u32_e64 s14, v47
	s_cbranch_execnz .LBB3_135
.LBB3_7:
	s_or_b32 exec_lo, exec_lo, s2
	s_delay_alu instid0(SALU_CYCLE_1)
	s_mov_b32 s2, exec_lo
	v_cmpx_gt_u32_e64 s14, v46
	s_cbranch_execnz .LBB3_136
.LBB3_8:
	s_or_b32 exec_lo, exec_lo, s2
	s_delay_alu instid0(SALU_CYCLE_1)
	s_mov_b32 s2, exec_lo
	v_cmpx_gt_u32_e64 s14, v45
	s_cbranch_execnz .LBB3_137
.LBB3_9:
	s_or_b32 exec_lo, exec_lo, s2
	s_delay_alu instid0(SALU_CYCLE_1)
	s_mov_b32 s2, exec_lo
	v_cmpx_gt_u32_e64 s14, v44
	s_cbranch_execnz .LBB3_138
.LBB3_10:
	s_or_b32 exec_lo, exec_lo, s2
	s_delay_alu instid0(SALU_CYCLE_1)
	s_mov_b32 s2, exec_lo
	v_cmpx_gt_u32_e64 s14, v43
	s_cbranch_execnz .LBB3_139
.LBB3_11:
	s_or_b32 exec_lo, exec_lo, s2
	s_delay_alu instid0(SALU_CYCLE_1)
	s_mov_b32 s2, exec_lo
	v_cmpx_gt_u32_e64 s14, v42
	s_cbranch_execnz .LBB3_140
.LBB3_12:
	s_or_b32 exec_lo, exec_lo, s2
	s_delay_alu instid0(SALU_CYCLE_1)
	s_mov_b32 s2, exec_lo
	v_cmpx_gt_u32_e64 s14, v41
	s_cbranch_execnz .LBB3_141
.LBB3_13:
	s_or_b32 exec_lo, exec_lo, s2
	s_delay_alu instid0(SALU_CYCLE_1)
	s_mov_b32 s2, exec_lo
	v_cmpx_gt_u32_e64 s14, v40
	s_cbranch_execnz .LBB3_142
.LBB3_14:
	s_or_b32 exec_lo, exec_lo, s2
	s_delay_alu instid0(SALU_CYCLE_1)
	s_mov_b32 s2, exec_lo
	v_cmpx_gt_u32_e64 s14, v39
	s_cbranch_execnz .LBB3_143
.LBB3_15:
	s_or_b32 exec_lo, exec_lo, s2
	s_delay_alu instid0(SALU_CYCLE_1)
	s_mov_b32 s2, exec_lo
	v_cmpx_gt_u32_e64 s14, v38
	s_cbranch_execnz .LBB3_144
.LBB3_16:
	s_or_b32 exec_lo, exec_lo, s2
	s_delay_alu instid0(SALU_CYCLE_1)
	s_mov_b32 s2, exec_lo
	v_cmpx_gt_u32_e64 s14, v37
	s_cbranch_execnz .LBB3_145
.LBB3_17:
	s_or_b32 exec_lo, exec_lo, s2
	s_delay_alu instid0(SALU_CYCLE_1)
	s_mov_b32 s2, exec_lo
	v_cmpx_gt_u32_e64 s14, v36
	s_cbranch_execnz .LBB3_146
.LBB3_18:
	s_or_b32 exec_lo, exec_lo, s2
	s_delay_alu instid0(SALU_CYCLE_1)
	s_mov_b32 s2, exec_lo
	v_cmpx_gt_u32_e64 s14, v33
	s_cbranch_execz .LBB3_20
.LBB3_19:
	global_load_b32 v16, v[17:18], off offset:3840
.LBB3_20:
	s_or_b32 exec_lo, exec_lo, s2
	v_lshrrev_b32_e32 v1, 3, v49
	v_lshrrev_b32_e32 v17, 3, v48
	v_and_b32_e32 v18, 4, v20
	v_lshrrev_b32_e32 v20, 3, v47
	v_lshrrev_b32_e32 v22, 3, v46
	v_lshrrev_b32_e32 v23, 3, v45
	v_lshrrev_b32_e32 v24, 3, v44
	v_lshrrev_b32_e32 v25, 3, v43
	v_and_b32_e32 v1, 12, v1
	v_and_b32_e32 v17, 28, v17
	;; [unrolled: 1-line block ×4, first 2 shown]
	v_add_nc_u32_e32 v18, v18, v19
	v_and_b32_e32 v23, 60, v23
	v_and_b32_e32 v24, 60, v24
	;; [unrolled: 1-line block ×3, first 2 shown]
	v_add_nc_u32_e32 v1, v1, v19
	v_add_nc_u32_e32 v17, v17, v19
	v_lshrrev_b32_e32 v26, 3, v42
	v_add_nc_u32_e32 v20, v20, v19
	v_lshrrev_b32_e32 v27, 3, v41
	;; [unrolled: 2-line block ×3, first 2 shown]
	v_add_nc_u32_e32 v23, v23, v19
	v_add_nc_u32_e32 v24, v24, v19
	;; [unrolled: 1-line block ×3, first 2 shown]
	s_waitcnt vmcnt(0)
	ds_store_b32 v18, v21
	ds_store_b32 v1, v2 offset:256
	ds_store_b32 v17, v3 offset:512
	;; [unrolled: 1-line block ×7, first 2 shown]
	v_lshrrev_b32_e32 v4, 3, v39
	v_lshrrev_b32_e32 v5, 3, v38
	v_and_b32_e32 v26, 0x7c, v26
	v_lshrrev_b32_e32 v6, 3, v37
	v_lshrrev_b32_e32 v7, 3, v36
	;; [unrolled: 1-line block ×3, first 2 shown]
	v_and_b32_e32 v27, 0x7c, v27
	v_and_b32_e32 v28, 0x7c, v28
	;; [unrolled: 1-line block ×4, first 2 shown]
	v_add_nc_u32_e32 v1, v26, v19
	v_and_b32_e32 v6, 0x7c, v6
	v_and_b32_e32 v7, 0x7c, v7
	;; [unrolled: 1-line block ×3, first 2 shown]
	v_add_nc_u32_e32 v2, v27, v19
	v_add_nc_u32_e32 v3, v28, v19
	v_add_nc_u32_e32 v4, v4, v19
	v_add_nc_u32_e32 v5, v5, v19
	v_add_nc_u32_e32 v6, v6, v19
	v_add_nc_u32_e32 v7, v7, v19
	v_add_nc_u32_e32 v8, v8, v19
	ds_store_b32 v1, v9 offset:2048
	ds_store_b32 v2, v10 offset:2304
	;; [unrolled: 1-line block ×8, first 2 shown]
	s_waitcnt lgkmcnt(0)
	s_barrier
.LBB3_21:
	v_lshlrev_b32_e32 v1, 4, v0
	v_lshrrev_b32_e32 v35, 1, v0
	buffer_gl0_inv
	s_load_b64 s[6:7], s[0:1], 0x28
	v_lshrrev_b32_e32 v34, 5, v0
	v_cmp_gt_u32_e32 vcc_lo, 32, v0
	v_add_lshl_u32 v1, v35, v1, 2
	s_cmp_lg_u32 s15, 0
	ds_load_2addr_b32 v[29:30], v1 offset1:1
	ds_load_2addr_b32 v[31:32], v1 offset0:2 offset1:3
	ds_load_2addr_b32 v[27:28], v1 offset0:4 offset1:5
	;; [unrolled: 1-line block ×7, first 2 shown]
	s_waitcnt lgkmcnt(0)
	s_barrier
	buffer_gl0_inv
	s_cbranch_scc0 .LBB3_46
; %bb.22:
	v_add_nc_u32_e32 v1, v30, v29
	v_add_lshl_u32 v2, v34, v0, 2
	s_delay_alu instid0(VALU_DEP_2) | instskip(NEXT) | instid1(VALU_DEP_1)
	v_add3_u32 v1, v1, v31, v32
	v_add3_u32 v1, v1, v27, v28
	s_delay_alu instid0(VALU_DEP_1) | instskip(NEXT) | instid1(VALU_DEP_1)
	v_add3_u32 v1, v1, v25, v26
	v_add3_u32 v1, v1, v23, v24
	s_delay_alu instid0(VALU_DEP_1) | instskip(NEXT) | instid1(VALU_DEP_1)
	v_add3_u32 v1, v1, v21, v22
	v_add3_u32 v1, v1, v19, v20
	s_delay_alu instid0(VALU_DEP_1)
	v_add3_u32 v1, v1, v17, v18
	ds_store_b32 v2, v1
	s_waitcnt lgkmcnt(0)
	s_barrier
	buffer_gl0_inv
	s_and_saveexec_b32 s3, vcc_lo
	s_cbranch_execz .LBB3_24
; %bb.23:
	v_lshrrev_b32_e32 v2, 2, v0
	v_mbcnt_lo_u32_b32 v5, -1, 0
	s_delay_alu instid0(VALU_DEP_2) | instskip(NEXT) | instid1(VALU_DEP_2)
	v_and_b32_e32 v2, 12, v2
	v_and_b32_e32 v7, 15, v5
	v_add_nc_u32_e32 v9, -1, v5
	s_delay_alu instid0(VALU_DEP_3) | instskip(NEXT) | instid1(VALU_DEP_3)
	v_lshl_or_b32 v4, v0, 3, v2
	v_cmp_ne_u32_e64 s2, 0, v7
	ds_load_2addr_b32 v[2:3], v4 offset1:1
	s_waitcnt lgkmcnt(0)
	v_add_nc_u32_e32 v6, v3, v2
	s_delay_alu instid0(VALU_DEP_1) | instskip(NEXT) | instid1(VALU_DEP_1)
	v_mov_b32_dpp v8, v6 row_shr:1 row_mask:0xf bank_mask:0xf
	v_cndmask_b32_e64 v8, 0, v8, s2
	v_cmp_lt_u32_e64 s2, 1, v7
	s_delay_alu instid0(VALU_DEP_2) | instskip(NEXT) | instid1(VALU_DEP_1)
	v_add_nc_u32_e32 v6, v8, v6
	v_mov_b32_dpp v8, v6 row_shr:2 row_mask:0xf bank_mask:0xf
	s_delay_alu instid0(VALU_DEP_1) | instskip(SKIP_1) | instid1(VALU_DEP_2)
	v_cndmask_b32_e64 v8, 0, v8, s2
	v_cmp_lt_u32_e64 s2, 3, v7
	v_add_nc_u32_e32 v6, v6, v8
	s_delay_alu instid0(VALU_DEP_1) | instskip(NEXT) | instid1(VALU_DEP_1)
	v_mov_b32_dpp v8, v6 row_shr:4 row_mask:0xf bank_mask:0xf
	v_cndmask_b32_e64 v8, 0, v8, s2
	v_cmp_lt_u32_e64 s2, 7, v7
	s_delay_alu instid0(VALU_DEP_2) | instskip(NEXT) | instid1(VALU_DEP_1)
	v_add_nc_u32_e32 v6, v6, v8
	v_mov_b32_dpp v8, v6 row_shr:8 row_mask:0xf bank_mask:0xf
	s_delay_alu instid0(VALU_DEP_1) | instskip(SKIP_2) | instid1(VALU_DEP_3)
	v_cndmask_b32_e64 v7, 0, v8, s2
	v_bfe_i32 v8, v5, 4, 1
	v_cmp_gt_i32_e64 s2, 0, v9
	v_add_nc_u32_e32 v6, v6, v7
	s_delay_alu instid0(VALU_DEP_2)
	v_cndmask_b32_e64 v5, v9, v5, s2
	v_cmp_eq_u32_e64 s2, 0, v0
	ds_swizzle_b32 v7, v6 offset:swizzle(BROADCAST,32,15)
	v_lshlrev_b32_e32 v5, 2, v5
	s_waitcnt lgkmcnt(0)
	v_and_b32_e32 v7, v8, v7
	s_delay_alu instid0(VALU_DEP_1) | instskip(SKIP_3) | instid1(VALU_DEP_1)
	v_add_nc_u32_e32 v6, v6, v7
	ds_bpermute_b32 v5, v5, v6
	s_waitcnt lgkmcnt(0)
	v_add_nc_u32_e32 v2, v5, v2
	v_cndmask_b32_e64 v1, v2, v1, s2
	s_delay_alu instid0(VALU_DEP_1)
	v_add_nc_u32_e32 v2, v1, v3
	ds_store_2addr_b32 v4, v1, v2 offset1:1
.LBB3_24:
	s_or_b32 exec_lo, exec_lo, s3
	v_cmp_eq_u32_e64 s2, 0, v0
	v_mov_b32_e32 v8, 0
	s_mov_b32 s8, exec_lo
	s_waitcnt lgkmcnt(0)
	s_barrier
	buffer_gl0_inv
	v_cmpx_ne_u32_e32 0, v0
	s_cbranch_execz .LBB3_26
; %bb.25:
	v_add_nc_u32_e32 v1, -1, v0
	s_delay_alu instid0(VALU_DEP_1) | instskip(NEXT) | instid1(VALU_DEP_1)
	v_lshrrev_b32_e32 v2, 5, v1
	v_add_lshl_u32 v1, v2, v1, 2
	ds_load_b32 v8, v1
.LBB3_26:
	s_or_b32 exec_lo, exec_lo, s8
	s_and_saveexec_b32 s10, vcc_lo
	s_cbranch_execz .LBB3_45
; %bb.27:
	v_mov_b32_e32 v4, 0
	v_mbcnt_lo_u32_b32 v16, -1, 0
	s_mov_b32 s9, 0
	ds_load_b32 v1, v4 offset:256
	v_cmp_eq_u32_e64 s3, 0, v16
	s_delay_alu instid0(VALU_DEP_1)
	s_and_saveexec_b32 s11, s3
	s_cbranch_execz .LBB3_29
; %bb.28:
	s_add_i32 s8, s15, 32
	v_mov_b32_e32 v2, 1
	s_lshl_b64 s[8:9], s[8:9], 3
	s_delay_alu instid0(SALU_CYCLE_1)
	s_add_u32 s8, s6, s8
	s_addc_u32 s9, s7, s9
	s_waitcnt lgkmcnt(0)
	global_store_b64 v4, v[1:2], s[8:9]
.LBB3_29:
	s_or_b32 exec_lo, exec_lo, s11
	v_xad_u32 v2, v16, -1, s15
	s_mov_b32 s8, exec_lo
	s_delay_alu instid0(VALU_DEP_1) | instskip(NEXT) | instid1(VALU_DEP_1)
	v_add_nc_u32_e32 v3, 32, v2
	v_lshlrev_b64 v[3:4], 3, v[3:4]
	s_delay_alu instid0(VALU_DEP_1) | instskip(NEXT) | instid1(VALU_DEP_2)
	v_add_co_u32 v6, vcc_lo, s6, v3
	v_add_co_ci_u32_e32 v7, vcc_lo, s7, v4, vcc_lo
	global_load_b64 v[4:5], v[6:7], off glc
	s_waitcnt vmcnt(0)
	v_and_b32_e32 v3, 0xff, v5
	s_delay_alu instid0(VALU_DEP_1)
	v_cmpx_eq_u16_e32 0, v3
	s_cbranch_execz .LBB3_33
; %bb.30:
	s_mov_b32 s9, 0
.LBB3_31:                               ; =>This Inner Loop Header: Depth=1
	global_load_b64 v[4:5], v[6:7], off glc
	s_waitcnt vmcnt(0)
	v_and_b32_e32 v3, 0xff, v5
	s_delay_alu instid0(VALU_DEP_1) | instskip(SKIP_1) | instid1(SALU_CYCLE_1)
	v_cmp_ne_u16_e32 vcc_lo, 0, v3
	s_or_b32 s9, vcc_lo, s9
	s_and_not1_b32 exec_lo, exec_lo, s9
	s_cbranch_execnz .LBB3_31
; %bb.32:
	s_or_b32 exec_lo, exec_lo, s9
.LBB3_33:
	s_delay_alu instid0(SALU_CYCLE_1)
	s_or_b32 exec_lo, exec_lo, s8
	v_cmp_ne_u32_e32 vcc_lo, 31, v16
	v_lshlrev_b32_e64 v10, v16, -1
	v_add_nc_u32_e32 v11, 1, v16
	v_add_nc_u32_e32 v13, 2, v16
	;; [unrolled: 1-line block ×3, first 2 shown]
	v_add_co_ci_u32_e32 v3, vcc_lo, 0, v16, vcc_lo
	v_add_nc_u32_e32 v51, 8, v16
	v_add_nc_u32_e32 v53, 16, v16
	s_delay_alu instid0(VALU_DEP_3)
	v_lshlrev_b32_e32 v9, 2, v3
	v_and_b32_e32 v3, 0xff, v5
	ds_bpermute_b32 v6, v9, v4
	v_cmp_eq_u16_e32 vcc_lo, 2, v3
	v_and_or_b32 v3, vcc_lo, v10, 0x80000000
	v_cmp_gt_u32_e32 vcc_lo, 30, v16
	s_delay_alu instid0(VALU_DEP_2) | instskip(SKIP_1) | instid1(VALU_DEP_2)
	v_ctz_i32_b32_e32 v3, v3
	v_cndmask_b32_e64 v7, 0, 1, vcc_lo
	v_cmp_le_u32_e32 vcc_lo, v11, v3
	s_waitcnt lgkmcnt(0)
	s_delay_alu instid0(VALU_DEP_2) | instskip(NEXT) | instid1(VALU_DEP_1)
	v_dual_cndmask_b32 v6, 0, v6 :: v_dual_lshlrev_b32 v7, 1, v7
	v_add_lshl_u32 v12, v7, v16, 2
	v_cmp_gt_u32_e32 vcc_lo, 28, v16
	s_delay_alu instid0(VALU_DEP_3) | instskip(SKIP_4) | instid1(VALU_DEP_1)
	v_add_nc_u32_e32 v4, v6, v4
	v_cndmask_b32_e64 v7, 0, 1, vcc_lo
	v_cmp_le_u32_e32 vcc_lo, v13, v3
	ds_bpermute_b32 v6, v12, v4
	v_lshlrev_b32_e32 v7, 2, v7
	v_add_lshl_u32 v14, v7, v16, 2
	s_waitcnt lgkmcnt(0)
	v_cndmask_b32_e32 v6, 0, v6, vcc_lo
	v_cmp_gt_u32_e32 vcc_lo, 24, v16
	s_delay_alu instid0(VALU_DEP_2) | instskip(SKIP_4) | instid1(VALU_DEP_1)
	v_add_nc_u32_e32 v4, v4, v6
	v_cndmask_b32_e64 v7, 0, 1, vcc_lo
	v_cmp_le_u32_e32 vcc_lo, v15, v3
	ds_bpermute_b32 v6, v14, v4
	v_lshlrev_b32_e32 v7, 3, v7
	v_add_lshl_u32 v50, v7, v16, 2
	s_waitcnt lgkmcnt(0)
	v_cndmask_b32_e32 v6, 0, v6, vcc_lo
	v_cmp_gt_u32_e32 vcc_lo, 16, v16
	s_delay_alu instid0(VALU_DEP_2) | instskip(SKIP_4) | instid1(VALU_DEP_1)
	v_add_nc_u32_e32 v4, v4, v6
	v_cndmask_b32_e64 v7, 0, 1, vcc_lo
	v_cmp_le_u32_e32 vcc_lo, v51, v3
	ds_bpermute_b32 v6, v50, v4
	v_lshlrev_b32_e32 v7, 4, v7
	v_add_lshl_u32 v52, v7, v16, 2
	s_waitcnt lgkmcnt(0)
	v_cndmask_b32_e32 v6, 0, v6, vcc_lo
	v_cmp_le_u32_e32 vcc_lo, v53, v3
	s_delay_alu instid0(VALU_DEP_2) | instskip(SKIP_3) | instid1(VALU_DEP_1)
	v_add_nc_u32_e32 v4, v4, v6
	ds_bpermute_b32 v6, v52, v4
	s_waitcnt lgkmcnt(0)
	v_cndmask_b32_e32 v3, 0, v6, vcc_lo
	v_dual_mov_b32 v3, 0 :: v_dual_add_nc_u32 v4, v4, v3
	s_branch .LBB3_35
.LBB3_34:                               ;   in Loop: Header=BB3_35 Depth=1
	s_or_b32 exec_lo, exec_lo, s8
	ds_bpermute_b32 v7, v9, v4
	v_and_b32_e32 v6, 0xff, v5
	v_subrev_nc_u32_e32 v2, 32, v2
	s_delay_alu instid0(VALU_DEP_2) | instskip(SKIP_1) | instid1(VALU_DEP_1)
	v_cmp_eq_u16_e32 vcc_lo, 2, v6
	v_and_or_b32 v6, vcc_lo, v10, 0x80000000
	v_ctz_i32_b32_e32 v6, v6
	s_delay_alu instid0(VALU_DEP_1) | instskip(SKIP_3) | instid1(VALU_DEP_2)
	v_cmp_le_u32_e32 vcc_lo, v11, v6
	s_waitcnt lgkmcnt(0)
	v_cndmask_b32_e32 v7, 0, v7, vcc_lo
	v_cmp_le_u32_e32 vcc_lo, v13, v6
	v_add_nc_u32_e32 v4, v7, v4
	ds_bpermute_b32 v7, v12, v4
	s_waitcnt lgkmcnt(0)
	v_cndmask_b32_e32 v7, 0, v7, vcc_lo
	v_cmp_le_u32_e32 vcc_lo, v15, v6
	s_delay_alu instid0(VALU_DEP_2) | instskip(SKIP_4) | instid1(VALU_DEP_2)
	v_add_nc_u32_e32 v4, v4, v7
	ds_bpermute_b32 v7, v14, v4
	s_waitcnt lgkmcnt(0)
	v_cndmask_b32_e32 v7, 0, v7, vcc_lo
	v_cmp_le_u32_e32 vcc_lo, v51, v6
	v_add_nc_u32_e32 v4, v4, v7
	ds_bpermute_b32 v7, v50, v4
	s_waitcnt lgkmcnt(0)
	v_cndmask_b32_e32 v7, 0, v7, vcc_lo
	v_cmp_le_u32_e32 vcc_lo, v53, v6
	s_delay_alu instid0(VALU_DEP_2) | instskip(SKIP_3) | instid1(VALU_DEP_1)
	v_add_nc_u32_e32 v4, v4, v7
	ds_bpermute_b32 v7, v52, v4
	s_waitcnt lgkmcnt(0)
	v_cndmask_b32_e32 v6, 0, v7, vcc_lo
	v_add3_u32 v4, v6, v16, v4
.LBB3_35:                               ; =>This Loop Header: Depth=1
                                        ;     Child Loop BB3_38 Depth 2
	s_delay_alu instid0(VALU_DEP_1) | instskip(NEXT) | instid1(VALU_DEP_1)
	v_dual_mov_b32 v16, v4 :: v_dual_and_b32 v5, 0xff, v5
	v_cmp_ne_u16_e32 vcc_lo, 2, v5
	v_cndmask_b32_e64 v5, 0, 1, vcc_lo
	;;#ASMSTART
	;;#ASMEND
	s_delay_alu instid0(VALU_DEP_1)
	v_cmp_ne_u32_e32 vcc_lo, 0, v5
	s_cmp_lg_u32 vcc_lo, exec_lo
	s_cbranch_scc1 .LBB3_40
; %bb.36:                               ;   in Loop: Header=BB3_35 Depth=1
	v_lshlrev_b64 v[4:5], 3, v[2:3]
	s_mov_b32 s8, exec_lo
	s_delay_alu instid0(VALU_DEP_1) | instskip(NEXT) | instid1(VALU_DEP_2)
	v_add_co_u32 v6, vcc_lo, s6, v4
	v_add_co_ci_u32_e32 v7, vcc_lo, s7, v5, vcc_lo
	global_load_b64 v[4:5], v[6:7], off glc
	s_waitcnt vmcnt(0)
	v_and_b32_e32 v54, 0xff, v5
	s_delay_alu instid0(VALU_DEP_1)
	v_cmpx_eq_u16_e32 0, v54
	s_cbranch_execz .LBB3_34
; %bb.37:                               ;   in Loop: Header=BB3_35 Depth=1
	s_mov_b32 s9, 0
.LBB3_38:                               ;   Parent Loop BB3_35 Depth=1
                                        ; =>  This Inner Loop Header: Depth=2
	global_load_b64 v[4:5], v[6:7], off glc
	s_waitcnt vmcnt(0)
	v_and_b32_e32 v54, 0xff, v5
	s_delay_alu instid0(VALU_DEP_1) | instskip(SKIP_1) | instid1(SALU_CYCLE_1)
	v_cmp_ne_u16_e32 vcc_lo, 0, v54
	s_or_b32 s9, vcc_lo, s9
	s_and_not1_b32 exec_lo, exec_lo, s9
	s_cbranch_execnz .LBB3_38
; %bb.39:                               ;   in Loop: Header=BB3_35 Depth=1
	s_or_b32 exec_lo, exec_lo, s9
	s_branch .LBB3_34
.LBB3_40:                               ;   in Loop: Header=BB3_35 Depth=1
                                        ; implicit-def: $vgpr4
                                        ; implicit-def: $vgpr5
	s_cbranch_execz .LBB3_35
; %bb.41:
	s_and_saveexec_b32 s8, s3
	s_cbranch_execz .LBB3_43
; %bb.42:
	s_add_i32 s16, s15, 32
	s_mov_b32 s17, 0
	v_dual_mov_b32 v3, 0 :: v_dual_mov_b32 v2, 2
	s_lshl_b64 s[16:17], s[16:17], 3
	v_add_nc_u32_e32 v1, v16, v1
	s_add_u32 s16, s6, s16
	s_addc_u32 s17, s7, s17
	global_store_b64 v3, v[1:2], s[16:17]
.LBB3_43:
	s_or_b32 exec_lo, exec_lo, s8
	s_delay_alu instid0(SALU_CYCLE_1)
	s_and_b32 exec_lo, exec_lo, s2
	s_cbranch_execz .LBB3_45
; %bb.44:
	v_mov_b32_e32 v1, 0
	ds_store_b32 v1, v16
.LBB3_45:
	s_or_b32 exec_lo, exec_lo, s10
	v_mov_b32_e32 v1, 0
	s_waitcnt lgkmcnt(0)
	s_waitcnt_vscnt null, 0x0
	s_barrier
	buffer_gl0_inv
	ds_load_b32 v1, v1
	s_waitcnt lgkmcnt(0)
	v_add3_u32 v1, v8, v29, v1
	s_delay_alu instid0(VALU_DEP_1) | instskip(NEXT) | instid1(VALU_DEP_1)
	v_add_nc_u32_e32 v2, v1, v30
	v_add_nc_u32_e32 v3, v2, v31
	s_delay_alu instid0(VALU_DEP_1) | instskip(NEXT) | instid1(VALU_DEP_1)
	v_add_nc_u32_e32 v4, v3, v32
	v_add_nc_u32_e32 v5, v4, v27
	;; [unrolled: 3-line block ×7, first 2 shown]
	s_delay_alu instid0(VALU_DEP_1)
	v_add_nc_u32_e32 v16, v15, v18
	s_load_b128 s[8:11], s[0:1], 0x38
	s_branch .LBB3_56
.LBB3_46:
                                        ; implicit-def: $vgpr1_vgpr2_vgpr3_vgpr4_vgpr5_vgpr6_vgpr7_vgpr8_vgpr9_vgpr10_vgpr11_vgpr12_vgpr13_vgpr14_vgpr15_vgpr16
	s_load_b128 s[8:11], s[0:1], 0x38
	s_cbranch_execz .LBB3_56
; %bb.47:
	s_load_b32 s2, s[0:1], 0x48
	v_cmp_eq_u32_e32 vcc_lo, 0, v0
	s_waitcnt lgkmcnt(0)
	s_bitcmp1_b32 s2, 0
	v_cmp_ne_u32_e64 s2, 0, v0
	s_cselect_b32 s3, -1, 0
	s_delay_alu instid0(SALU_CYCLE_1) | instskip(NEXT) | instid1(SALU_CYCLE_1)
	s_and_b32 s15, vcc_lo, s3
	s_and_saveexec_b32 s3, s15
	s_cbranch_execz .LBB3_49
; %bb.48:
	s_load_b32 s8, s[8:9], 0x0
	s_waitcnt lgkmcnt(0)
	v_add_nc_u32_e32 v29, s8, v29
.LBB3_49:
	s_or_b32 exec_lo, exec_lo, s3
	s_delay_alu instid0(VALU_DEP_1) | instskip(SKIP_2) | instid1(VALU_DEP_2)
	v_add_nc_u32_e32 v1, v30, v29
	v_add_lshl_u32 v2, v34, v0, 2
	s_mov_b32 s8, exec_lo
	v_add3_u32 v1, v1, v31, v32
	s_delay_alu instid0(VALU_DEP_1) | instskip(NEXT) | instid1(VALU_DEP_1)
	v_add3_u32 v1, v1, v27, v28
	v_add3_u32 v1, v1, v25, v26
	s_delay_alu instid0(VALU_DEP_1) | instskip(NEXT) | instid1(VALU_DEP_1)
	v_add3_u32 v1, v1, v23, v24
	;; [unrolled: 3-line block ×3, first 2 shown]
	v_add3_u32 v1, v1, v17, v18
	ds_store_b32 v2, v1
	s_waitcnt lgkmcnt(0)
	s_barrier
	buffer_gl0_inv
	v_cmpx_gt_u32_e32 32, v0
	s_cbranch_execz .LBB3_51
; %bb.50:
	v_lshrrev_b32_e32 v2, 2, v0
	v_mbcnt_lo_u32_b32 v5, -1, 0
	s_delay_alu instid0(VALU_DEP_2) | instskip(NEXT) | instid1(VALU_DEP_2)
	v_and_b32_e32 v2, 12, v2
	v_and_b32_e32 v7, 15, v5
	v_add_nc_u32_e32 v9, -1, v5
	s_delay_alu instid0(VALU_DEP_3) | instskip(NEXT) | instid1(VALU_DEP_3)
	v_lshl_or_b32 v4, v0, 3, v2
	v_cmp_ne_u32_e64 s3, 0, v7
	ds_load_2addr_b32 v[2:3], v4 offset1:1
	s_waitcnt lgkmcnt(0)
	v_add_nc_u32_e32 v6, v3, v2
	s_delay_alu instid0(VALU_DEP_1) | instskip(NEXT) | instid1(VALU_DEP_1)
	v_mov_b32_dpp v8, v6 row_shr:1 row_mask:0xf bank_mask:0xf
	v_cndmask_b32_e64 v8, 0, v8, s3
	v_cmp_lt_u32_e64 s3, 1, v7
	s_delay_alu instid0(VALU_DEP_2) | instskip(NEXT) | instid1(VALU_DEP_1)
	v_add_nc_u32_e32 v6, v8, v6
	v_mov_b32_dpp v8, v6 row_shr:2 row_mask:0xf bank_mask:0xf
	s_delay_alu instid0(VALU_DEP_1) | instskip(SKIP_1) | instid1(VALU_DEP_2)
	v_cndmask_b32_e64 v8, 0, v8, s3
	v_cmp_lt_u32_e64 s3, 3, v7
	v_add_nc_u32_e32 v6, v6, v8
	s_delay_alu instid0(VALU_DEP_1) | instskip(NEXT) | instid1(VALU_DEP_1)
	v_mov_b32_dpp v8, v6 row_shr:4 row_mask:0xf bank_mask:0xf
	v_cndmask_b32_e64 v8, 0, v8, s3
	v_cmp_lt_u32_e64 s3, 7, v7
	s_delay_alu instid0(VALU_DEP_2) | instskip(NEXT) | instid1(VALU_DEP_1)
	v_add_nc_u32_e32 v6, v6, v8
	v_mov_b32_dpp v8, v6 row_shr:8 row_mask:0xf bank_mask:0xf
	s_delay_alu instid0(VALU_DEP_1) | instskip(SKIP_2) | instid1(VALU_DEP_3)
	v_cndmask_b32_e64 v7, 0, v8, s3
	v_bfe_i32 v8, v5, 4, 1
	v_cmp_gt_i32_e64 s3, 0, v9
	v_add_nc_u32_e32 v6, v6, v7
	s_delay_alu instid0(VALU_DEP_2) | instskip(SKIP_4) | instid1(VALU_DEP_1)
	v_cndmask_b32_e64 v5, v9, v5, s3
	ds_swizzle_b32 v7, v6 offset:swizzle(BROADCAST,32,15)
	v_lshlrev_b32_e32 v5, 2, v5
	s_waitcnt lgkmcnt(0)
	v_and_b32_e32 v7, v8, v7
	v_add_nc_u32_e32 v6, v6, v7
	ds_bpermute_b32 v5, v5, v6
	s_waitcnt lgkmcnt(0)
	v_add_nc_u32_e32 v2, v5, v2
	s_delay_alu instid0(VALU_DEP_1) | instskip(NEXT) | instid1(VALU_DEP_1)
	v_cndmask_b32_e32 v1, v2, v1, vcc_lo
	v_add_nc_u32_e32 v2, v1, v3
	ds_store_2addr_b32 v4, v1, v2 offset1:1
.LBB3_51:
	s_or_b32 exec_lo, exec_lo, s8
	v_mov_b32_e32 v1, 0
	s_waitcnt lgkmcnt(0)
	s_barrier
	buffer_gl0_inv
	s_and_saveexec_b32 s3, s2
	s_cbranch_execz .LBB3_53
; %bb.52:
	v_add_nc_u32_e32 v1, -1, v0
	s_delay_alu instid0(VALU_DEP_1) | instskip(NEXT) | instid1(VALU_DEP_1)
	v_lshrrev_b32_e32 v2, 5, v1
	v_add_lshl_u32 v1, v2, v1, 2
	ds_load_b32 v1, v1
.LBB3_53:
	s_or_b32 exec_lo, exec_lo, s3
	s_waitcnt lgkmcnt(0)
	v_add_nc_u32_e32 v1, v1, v29
	s_delay_alu instid0(VALU_DEP_1) | instskip(NEXT) | instid1(VALU_DEP_1)
	v_add_nc_u32_e32 v2, v1, v30
	v_add_nc_u32_e32 v3, v2, v31
	s_delay_alu instid0(VALU_DEP_1) | instskip(NEXT) | instid1(VALU_DEP_1)
	v_add_nc_u32_e32 v4, v3, v32
	v_add_nc_u32_e32 v5, v4, v27
	s_delay_alu instid0(VALU_DEP_1) | instskip(NEXT) | instid1(VALU_DEP_1)
	v_add_nc_u32_e32 v6, v5, v28
	v_add_nc_u32_e32 v7, v6, v25
	s_delay_alu instid0(VALU_DEP_1) | instskip(NEXT) | instid1(VALU_DEP_1)
	v_add_nc_u32_e32 v8, v7, v26
	v_add_nc_u32_e32 v9, v8, v23
	s_delay_alu instid0(VALU_DEP_1) | instskip(NEXT) | instid1(VALU_DEP_1)
	v_add_nc_u32_e32 v10, v9, v24
	v_add_nc_u32_e32 v11, v10, v21
	s_delay_alu instid0(VALU_DEP_1) | instskip(NEXT) | instid1(VALU_DEP_1)
	v_add_nc_u32_e32 v12, v11, v22
	v_add_nc_u32_e32 v13, v12, v19
	s_delay_alu instid0(VALU_DEP_1) | instskip(NEXT) | instid1(VALU_DEP_1)
	v_add_nc_u32_e32 v14, v13, v20
	v_add_nc_u32_e32 v15, v14, v17
	s_delay_alu instid0(VALU_DEP_1)
	v_add_nc_u32_e32 v16, v15, v18
	s_and_saveexec_b32 s2, vcc_lo
	s_cbranch_execz .LBB3_55
; %bb.54:
	v_dual_mov_b32 v19, 0 :: v_dual_mov_b32 v18, 2
	ds_load_b32 v17, v19 offset:256
	s_waitcnt lgkmcnt(0)
	global_store_b64 v19, v[17:18], s[6:7] offset:256
.LBB3_55:
	s_or_b32 exec_lo, exec_lo, s2
.LBB3_56:
	s_lshl_b64 s[2:3], s[12:13], 3
	v_lshlrev_b32_e32 v18, 6, v0
	v_lshlrev_b32_e32 v17, 3, v0
	s_add_u32 s2, s4, s2
	s_addc_u32 s3, s5, s3
	s_and_b32 vcc_lo, exec_lo, s34
	s_mov_b32 s4, -1
	s_waitcnt lgkmcnt(0)
	s_waitcnt_vscnt null, 0x0
	s_barrier
	buffer_gl0_inv
	s_cbranch_vccz .LBB3_58
; %bb.57:
	v_lshl_add_u32 v19, v35, 2, v18
	v_lshrrev_b32_e32 v20, 5, v48
	v_lshrrev_b32_e32 v23, 5, v46
	;; [unrolled: 1-line block ×3, first 2 shown]
	v_add_lshl_u32 v21, v34, v0, 2
	ds_store_2addr_b32 v19, v1, v2 offset1:1
	ds_store_2addr_b32 v19, v3, v4 offset0:2 offset1:3
	ds_store_2addr_b32 v19, v5, v6 offset0:4 offset1:5
	;; [unrolled: 1-line block ×7, first 2 shown]
	v_lshrrev_b32_e32 v19, 5, v49
	v_lshrrev_b32_e32 v24, 5, v45
	;; [unrolled: 1-line block ×3, first 2 shown]
	v_add_lshl_u32 v20, v20, v0, 2
	v_lshrrev_b32_e32 v32, 5, v42
	v_add_lshl_u32 v22, v19, v0, 2
	v_lshrrev_b32_e32 v19, 5, v47
	v_lshrrev_b32_e32 v51, 5, v41
	v_add_lshl_u32 v28, v23, v0, 2
	v_add_lshl_u32 v26, v26, v0, 2
	v_lshrrev_b32_e32 v52, 5, v40
	v_add_lshl_u32 v27, v19, v0, 2
	s_waitcnt lgkmcnt(0)
	s_barrier
	buffer_gl0_inv
	v_add_lshl_u32 v24, v24, v0, 2
	v_add_lshl_u32 v30, v25, v0, 2
	ds_load_b32 v19, v21
	ds_load_b32 v21, v22 offset:256
	ds_load_b32 v23, v20 offset:512
	ds_load_b32 v25, v27 offset:768
	ds_load_b32 v27, v28 offset:1024
	ds_load_b32 v29, v24 offset:1280
	ds_load_b32 v31, v30 offset:1536
	ds_load_b32 v50, v26 offset:1792
	v_lshrrev_b32_e32 v26, 5, v39
	v_lshrrev_b32_e32 v28, 5, v38
	v_add_lshl_u32 v20, v32, v0, 2
	v_add_lshl_u32 v22, v51, v0, 2
	v_lshrrev_b32_e32 v30, 5, v37
	v_lshrrev_b32_e32 v32, 5, v36
	;; [unrolled: 1-line block ×3, first 2 shown]
	v_add_lshl_u32 v24, v52, v0, 2
	v_add_lshl_u32 v26, v26, v0, 2
	;; [unrolled: 1-line block ×6, first 2 shown]
	ds_load_b32 v52, v20 offset:2048
	ds_load_b32 v54, v22 offset:2304
	;; [unrolled: 1-line block ×8, first 2 shown]
	s_waitcnt lgkmcnt(15)
	v_ashrrev_i32_e32 v20, 31, v19
	v_add_co_u32 v68, s5, s2, v17
	s_waitcnt lgkmcnt(14)
	v_ashrrev_i32_e32 v22, 31, v21
	s_waitcnt lgkmcnt(13)
	v_ashrrev_i32_e32 v24, 31, v23
	v_add_co_ci_u32_e64 v69, null, s3, 0, s5
	s_waitcnt lgkmcnt(12)
	v_ashrrev_i32_e32 v26, 31, v25
	s_waitcnt lgkmcnt(11)
	v_ashrrev_i32_e32 v28, 31, v27
	;; [unrolled: 2-line block ×4, first 2 shown]
	s_clause 0x3
	global_store_b64 v17, v[19:20], s[2:3]
	global_store_b64 v17, v[21:22], s[2:3] offset:512
	global_store_b64 v17, v[23:24], s[2:3] offset:1024
	;; [unrolled: 1-line block ×3, first 2 shown]
	v_add_co_u32 v19, vcc_lo, 0x1000, v68
	s_waitcnt lgkmcnt(8)
	v_ashrrev_i32_e32 v51, 31, v50
	s_waitcnt lgkmcnt(7)
	v_ashrrev_i32_e32 v53, 31, v52
	v_add_co_ci_u32_e32 v20, vcc_lo, 0, v69, vcc_lo
	s_waitcnt lgkmcnt(6)
	v_ashrrev_i32_e32 v55, 31, v54
	s_waitcnt lgkmcnt(5)
	v_ashrrev_i32_e32 v57, 31, v56
	;; [unrolled: 2-line block ×7, first 2 shown]
	s_mov_b32 s4, 0
	s_clause 0xb
	global_store_b64 v17, v[27:28], s[2:3] offset:2048
	global_store_b64 v17, v[29:30], s[2:3] offset:2560
	;; [unrolled: 1-line block ×4, first 2 shown]
	global_store_b64 v[19:20], v[52:53], off
	global_store_b64 v[19:20], v[54:55], off offset:512
	global_store_b64 v[19:20], v[56:57], off offset:1024
	;; [unrolled: 1-line block ×7, first 2 shown]
.LBB3_58:
	s_and_not1_b32 vcc_lo, exec_lo, s4
	s_cbranch_vccnz .LBB3_131
; %bb.59:
	v_lshl_add_u32 v18, v35, 2, v18
	v_lshrrev_b32_e32 v19, 5, v40
	ds_store_2addr_b32 v18, v1, v2 offset1:1
	ds_store_2addr_b32 v18, v3, v4 offset0:2 offset1:3
	ds_store_2addr_b32 v18, v5, v6 offset0:4 offset1:5
	;; [unrolled: 1-line block ×7, first 2 shown]
	v_lshrrev_b32_e32 v2, 5, v48
	v_lshrrev_b32_e32 v1, 5, v49
	;; [unrolled: 1-line block ×4, first 2 shown]
	v_add_lshl_u32 v3, v34, v0, 2
	v_add_lshl_u32 v5, v2, v0, 2
	v_lshrrev_b32_e32 v2, 5, v47
	v_lshrrev_b32_e32 v6, 5, v45
	;; [unrolled: 1-line block ×3, first 2 shown]
	v_add_lshl_u32 v1, v1, v0, 2
	v_lshrrev_b32_e32 v15, 5, v42
	v_add_lshl_u32 v9, v2, v0, 2
	v_lshrrev_b32_e32 v18, 5, v41
	v_add_lshl_u32 v10, v4, v0, 2
	v_add_lshl_u32 v7, v7, v0, 2
	s_waitcnt lgkmcnt(0)
	s_waitcnt_vscnt null, 0x0
	s_barrier
	buffer_gl0_inv
	v_add_lshl_u32 v11, v6, v0, 2
	v_add_lshl_u32 v13, v8, v0, 2
	ds_load_b32 v4, v3
	ds_load_b32 v2, v1 offset:256
	ds_load_b32 v6, v5 offset:512
	;; [unrolled: 1-line block ×7, first 2 shown]
	v_lshrrev_b32_e32 v7, 5, v39
	v_lshrrev_b32_e32 v9, 5, v38
	v_add_lshl_u32 v1, v15, v0, 2
	v_lshrrev_b32_e32 v11, 5, v37
	v_lshrrev_b32_e32 v13, 5, v36
	;; [unrolled: 1-line block ×3, first 2 shown]
	v_add_lshl_u32 v3, v18, v0, 2
	v_add_lshl_u32 v5, v19, v0, 2
	;; [unrolled: 1-line block ×7, first 2 shown]
	ds_load_b32 v18, v1 offset:2048
	ds_load_b32 v20, v3 offset:2304
	;; [unrolled: 1-line block ×8, first 2 shown]
	v_add_co_u32 v34, s2, s2, v17
	v_mov_b32_e32 v1, 0
	v_add_co_ci_u32_e64 v35, null, s3, 0, s2
	s_mov_b32 s2, exec_lo
	v_cmpx_gt_u32_e64 s14, v0
	s_cbranch_execnz .LBB3_147
; %bb.60:
	s_or_b32 exec_lo, exec_lo, s2
	s_delay_alu instid0(SALU_CYCLE_1)
	s_mov_b32 s2, exec_lo
	v_cmpx_gt_u32_e64 s14, v49
	s_cbranch_execnz .LBB3_148
.LBB3_61:
	s_or_b32 exec_lo, exec_lo, s2
	s_delay_alu instid0(SALU_CYCLE_1)
	s_mov_b32 s2, exec_lo
	v_cmpx_gt_u32_e64 s14, v48
	s_cbranch_execnz .LBB3_149
.LBB3_62:
	s_or_b32 exec_lo, exec_lo, s2
	s_delay_alu instid0(SALU_CYCLE_1)
	s_mov_b32 s2, exec_lo
	v_cmpx_gt_u32_e64 s14, v47
	s_cbranch_execnz .LBB3_150
.LBB3_63:
	s_or_b32 exec_lo, exec_lo, s2
	s_delay_alu instid0(SALU_CYCLE_1)
	s_mov_b32 s2, exec_lo
	v_cmpx_gt_u32_e64 s14, v46
	s_cbranch_execnz .LBB3_151
.LBB3_64:
	s_or_b32 exec_lo, exec_lo, s2
	s_delay_alu instid0(SALU_CYCLE_1)
	s_mov_b32 s2, exec_lo
	v_cmpx_gt_u32_e64 s14, v45
	s_cbranch_execnz .LBB3_152
.LBB3_65:
	s_or_b32 exec_lo, exec_lo, s2
	s_delay_alu instid0(SALU_CYCLE_1)
	s_mov_b32 s2, exec_lo
	v_cmpx_gt_u32_e64 s14, v44
	s_cbranch_execnz .LBB3_153
.LBB3_66:
	s_or_b32 exec_lo, exec_lo, s2
	s_delay_alu instid0(SALU_CYCLE_1)
	s_mov_b32 s2, exec_lo
	v_cmpx_gt_u32_e64 s14, v43
	s_cbranch_execnz .LBB3_154
.LBB3_67:
	s_or_b32 exec_lo, exec_lo, s2
	s_delay_alu instid0(SALU_CYCLE_1)
	s_mov_b32 s2, exec_lo
	v_cmpx_gt_u32_e64 s14, v42
	s_cbranch_execnz .LBB3_155
.LBB3_68:
	s_or_b32 exec_lo, exec_lo, s2
	s_delay_alu instid0(SALU_CYCLE_1)
	s_mov_b32 s2, exec_lo
	v_cmpx_gt_u32_e64 s14, v41
	s_cbranch_execnz .LBB3_156
.LBB3_69:
	s_or_b32 exec_lo, exec_lo, s2
	s_delay_alu instid0(SALU_CYCLE_1)
	s_mov_b32 s2, exec_lo
	v_cmpx_gt_u32_e64 s14, v40
	s_cbranch_execnz .LBB3_157
.LBB3_70:
	s_or_b32 exec_lo, exec_lo, s2
	s_delay_alu instid0(SALU_CYCLE_1)
	s_mov_b32 s2, exec_lo
	v_cmpx_gt_u32_e64 s14, v39
	s_cbranch_execnz .LBB3_158
.LBB3_71:
	s_or_b32 exec_lo, exec_lo, s2
	s_delay_alu instid0(SALU_CYCLE_1)
	s_mov_b32 s2, exec_lo
	v_cmpx_gt_u32_e64 s14, v38
	s_cbranch_execnz .LBB3_159
.LBB3_72:
	s_or_b32 exec_lo, exec_lo, s2
	s_delay_alu instid0(SALU_CYCLE_1)
	s_mov_b32 s2, exec_lo
	v_cmpx_gt_u32_e64 s14, v37
	s_cbranch_execnz .LBB3_160
.LBB3_73:
	s_or_b32 exec_lo, exec_lo, s2
	s_delay_alu instid0(SALU_CYCLE_1)
	s_mov_b32 s2, exec_lo
	v_cmpx_gt_u32_e64 s14, v36
	s_cbranch_execnz .LBB3_161
.LBB3_74:
	s_or_b32 exec_lo, exec_lo, s2
	s_delay_alu instid0(SALU_CYCLE_1)
	s_mov_b32 s2, exec_lo
	v_cmpx_gt_u32_e64 s14, v33
	s_cbranch_execz .LBB3_76
.LBB3_75:
	v_add_co_u32 v34, vcc_lo, 0x1000, v34
	s_waitcnt lgkmcnt(0)
	v_ashrrev_i32_e32 v33, 31, v32
	v_add_co_ci_u32_e32 v35, vcc_lo, 0, v35, vcc_lo
	global_store_b64 v[34:35], v[32:33], off offset:3584
.LBB3_76:
	s_or_b32 exec_lo, exec_lo, s2
	s_load_b32 s0, s[0:1], 0x48
	s_waitcnt lgkmcnt(0)
	s_bfe_u32 s0, s0, 0x10008
	s_delay_alu instid0(SALU_CYCLE_1)
	s_cmp_eq_u32 s0, 0
	s_cbranch_scc1 .LBB3_131
; %bb.77:
	s_add_u32 s0, s14, -1
	s_addc_u32 s1, s33, -1
	s_delay_alu instid0(SALU_CYCLE_1)
	s_lshr_b64 s[2:3], s[0:1], 4
	s_mov_b32 s1, exec_lo
	v_cmpx_eq_u64_e64 s[2:3], v[0:1]
	s_cbranch_execz .LBB3_131
; %bb.78:
	s_and_b32 s0, s0, 15
	s_mov_b32 s1, 0
	s_delay_alu instid0(SALU_CYCLE_1) | instskip(NEXT) | instid1(VALU_DEP_1)
	v_cmp_lt_i64_e64 s2, s[0:1], 8
	s_and_b32 vcc_lo, exec_lo, s2
	s_mov_b32 s2, -1
	s_cbranch_vccnz .LBB3_105
; %bb.79:
	v_cmp_lt_i64_e64 s2, s[0:1], 12
	s_delay_alu instid0(VALU_DEP_1)
	s_and_b32 vcc_lo, exec_lo, s2
	s_mov_b32 s2, -1
	s_cbranch_vccnz .LBB3_92
; %bb.80:
	v_cmp_lt_i64_e64 s2, s[0:1], 14
	s_delay_alu instid0(VALU_DEP_1)
	s_and_b32 vcc_lo, exec_lo, s2
	s_mov_b32 s2, -1
	s_cbranch_vccnz .LBB3_86
; %bb.81:
	v_cmp_gt_i64_e64 s2, s[0:1], 14
	s_delay_alu instid0(VALU_DEP_1)
	s_and_b32 vcc_lo, exec_lo, s2
	s_mov_b32 s2, -1
	s_cbranch_vccz .LBB3_83
; %bb.82:
	v_mov_b32_e32 v0, 0
	s_mov_b32 s2, 0
	global_store_b32 v0, v32, s[10:11]
.LBB3_83:
	s_and_not1_b32 vcc_lo, exec_lo, s2
	s_cbranch_vccnz .LBB3_85
; %bb.84:
	v_mov_b32_e32 v0, 0
	global_store_b32 v0, v30, s[10:11]
.LBB3_85:
	s_mov_b32 s2, 0
.LBB3_86:
	s_delay_alu instid0(SALU_CYCLE_1)
	s_and_not1_b32 vcc_lo, exec_lo, s2
	s_cbranch_vccnz .LBB3_91
; %bb.87:
	v_cmp_gt_i64_e64 s2, s[0:1], 12
	s_delay_alu instid0(VALU_DEP_1)
	s_and_b32 vcc_lo, exec_lo, s2
	s_mov_b32 s2, -1
	s_cbranch_vccz .LBB3_89
; %bb.88:
	v_mov_b32_e32 v0, 0
	s_mov_b32 s2, 0
	global_store_b32 v0, v28, s[10:11]
.LBB3_89:
	s_and_not1_b32 vcc_lo, exec_lo, s2
	s_cbranch_vccnz .LBB3_91
; %bb.90:
	v_mov_b32_e32 v0, 0
	global_store_b32 v0, v26, s[10:11]
.LBB3_91:
	s_mov_b32 s2, 0
.LBB3_92:
	s_delay_alu instid0(SALU_CYCLE_1)
	s_and_not1_b32 vcc_lo, exec_lo, s2
	s_cbranch_vccnz .LBB3_104
; %bb.93:
	v_cmp_lt_i64_e64 s2, s[0:1], 10
	s_delay_alu instid0(VALU_DEP_1)
	s_and_b32 vcc_lo, exec_lo, s2
	s_mov_b32 s2, -1
	s_cbranch_vccnz .LBB3_99
; %bb.94:
	v_cmp_gt_i64_e64 s2, s[0:1], 10
	s_delay_alu instid0(VALU_DEP_1)
	s_and_b32 vcc_lo, exec_lo, s2
	s_mov_b32 s2, -1
	s_cbranch_vccz .LBB3_96
; %bb.95:
	v_mov_b32_e32 v0, 0
	s_mov_b32 s2, 0
	global_store_b32 v0, v24, s[10:11]
.LBB3_96:
	s_and_not1_b32 vcc_lo, exec_lo, s2
	s_cbranch_vccnz .LBB3_98
; %bb.97:
	v_mov_b32_e32 v0, 0
	global_store_b32 v0, v22, s[10:11]
.LBB3_98:
	s_mov_b32 s2, 0
.LBB3_99:
	s_delay_alu instid0(SALU_CYCLE_1)
	s_and_not1_b32 vcc_lo, exec_lo, s2
	s_cbranch_vccnz .LBB3_104
; %bb.100:
	v_cmp_gt_i64_e64 s2, s[0:1], 8
	s_delay_alu instid0(VALU_DEP_1)
	s_and_b32 vcc_lo, exec_lo, s2
	s_mov_b32 s2, -1
	s_cbranch_vccz .LBB3_102
; %bb.101:
	v_mov_b32_e32 v0, 0
	s_mov_b32 s2, 0
	global_store_b32 v0, v20, s[10:11]
.LBB3_102:
	s_and_not1_b32 vcc_lo, exec_lo, s2
	s_cbranch_vccnz .LBB3_104
; %bb.103:
	v_mov_b32_e32 v0, 0
	global_store_b32 v0, v18, s[10:11]
.LBB3_104:
	s_mov_b32 s2, 0
.LBB3_105:
	s_delay_alu instid0(SALU_CYCLE_1)
	s_and_not1_b32 vcc_lo, exec_lo, s2
	s_cbranch_vccnz .LBB3_131
; %bb.106:
	v_cmp_lt_i64_e64 s2, s[0:1], 4
	s_delay_alu instid0(VALU_DEP_1)
	s_and_b32 vcc_lo, exec_lo, s2
	s_mov_b32 s2, -1
	s_cbranch_vccnz .LBB3_119
; %bb.107:
	v_cmp_lt_i64_e64 s2, s[0:1], 6
	s_delay_alu instid0(VALU_DEP_1)
	s_and_b32 vcc_lo, exec_lo, s2
	s_mov_b32 s2, -1
	s_cbranch_vccnz .LBB3_113
; %bb.108:
	v_cmp_gt_i64_e64 s2, s[0:1], 6
	s_delay_alu instid0(VALU_DEP_1)
	s_and_b32 vcc_lo, exec_lo, s2
	s_mov_b32 s2, -1
	s_cbranch_vccz .LBB3_110
; %bb.109:
	v_mov_b32_e32 v0, 0
	s_mov_b32 s2, 0
	global_store_b32 v0, v16, s[10:11]
.LBB3_110:
	s_and_not1_b32 vcc_lo, exec_lo, s2
	s_cbranch_vccnz .LBB3_112
; %bb.111:
	v_mov_b32_e32 v0, 0
	global_store_b32 v0, v14, s[10:11]
.LBB3_112:
	s_mov_b32 s2, 0
.LBB3_113:
	s_delay_alu instid0(SALU_CYCLE_1)
	s_and_not1_b32 vcc_lo, exec_lo, s2
	s_cbranch_vccnz .LBB3_118
; %bb.114:
	v_cmp_gt_i64_e64 s2, s[0:1], 4
	s_delay_alu instid0(VALU_DEP_1)
	s_and_b32 vcc_lo, exec_lo, s2
	s_mov_b32 s2, -1
	s_cbranch_vccz .LBB3_116
; %bb.115:
	v_mov_b32_e32 v0, 0
	s_mov_b32 s2, 0
	global_store_b32 v0, v12, s[10:11]
.LBB3_116:
	s_and_not1_b32 vcc_lo, exec_lo, s2
	s_cbranch_vccnz .LBB3_118
; %bb.117:
	v_mov_b32_e32 v0, 0
	global_store_b32 v0, v10, s[10:11]
.LBB3_118:
	s_mov_b32 s2, 0
.LBB3_119:
	s_delay_alu instid0(SALU_CYCLE_1)
	s_and_not1_b32 vcc_lo, exec_lo, s2
	s_cbranch_vccnz .LBB3_131
; %bb.120:
	v_cmp_lt_i64_e64 s2, s[0:1], 2
	s_delay_alu instid0(VALU_DEP_1)
	s_and_b32 vcc_lo, exec_lo, s2
	s_mov_b32 s2, -1
	s_cbranch_vccnz .LBB3_126
; %bb.121:
	v_cmp_gt_i64_e64 s2, s[0:1], 2
	s_delay_alu instid0(VALU_DEP_1)
	s_and_b32 vcc_lo, exec_lo, s2
	s_mov_b32 s2, -1
	s_cbranch_vccz .LBB3_123
; %bb.122:
	v_mov_b32_e32 v0, 0
	s_mov_b32 s2, 0
	global_store_b32 v0, v8, s[10:11]
.LBB3_123:
	s_and_not1_b32 vcc_lo, exec_lo, s2
	s_cbranch_vccnz .LBB3_125
; %bb.124:
	v_mov_b32_e32 v0, 0
	global_store_b32 v0, v6, s[10:11]
.LBB3_125:
	s_mov_b32 s2, 0
.LBB3_126:
	s_delay_alu instid0(SALU_CYCLE_1)
	s_and_not1_b32 vcc_lo, exec_lo, s2
	s_cbranch_vccnz .LBB3_131
; %bb.127:
	s_cmp_eq_u64 s[0:1], 1
	s_mov_b32 s0, -1
	s_cbranch_scc1 .LBB3_129
; %bb.128:
	v_mov_b32_e32 v0, 0
	s_mov_b32 s0, 0
	global_store_b32 v0, v4, s[10:11]
.LBB3_129:
	s_and_not1_b32 vcc_lo, exec_lo, s0
	s_cbranch_vccnz .LBB3_131
; %bb.130:
	v_mov_b32_e32 v0, 0
	global_store_b32 v0, v2, s[10:11]
.LBB3_131:
	s_nop 0
	s_sendmsg sendmsg(MSG_DEALLOC_VGPRS)
	s_endpgm
.LBB3_132:
	global_load_b32 v21, v[17:18], off
	v_dual_mov_b32 v1, s16 :: v_dual_mov_b32 v2, s17
	v_dual_mov_b32 v3, s18 :: v_dual_mov_b32 v4, s19
	;; [unrolled: 1-line block ×8, first 2 shown]
                                        ; kill: def $vgpr1 killed $vgpr21 killed $exec
	s_or_b32 exec_lo, exec_lo, s3
	s_delay_alu instid0(SALU_CYCLE_1)
	s_mov_b32 s2, exec_lo
	v_cmpx_gt_u32_e64 s14, v49
	s_cbranch_execz .LBB3_5
.LBB3_133:
	global_load_b32 v2, v[17:18], off offset:256
	s_or_b32 exec_lo, exec_lo, s2
	s_delay_alu instid0(SALU_CYCLE_1)
	s_mov_b32 s2, exec_lo
	v_cmpx_gt_u32_e64 s14, v48
	s_cbranch_execz .LBB3_6
.LBB3_134:
	global_load_b32 v3, v[17:18], off offset:512
	s_or_b32 exec_lo, exec_lo, s2
	s_delay_alu instid0(SALU_CYCLE_1)
	s_mov_b32 s2, exec_lo
	v_cmpx_gt_u32_e64 s14, v47
	s_cbranch_execz .LBB3_7
.LBB3_135:
	global_load_b32 v4, v[17:18], off offset:768
	s_or_b32 exec_lo, exec_lo, s2
	s_delay_alu instid0(SALU_CYCLE_1)
	s_mov_b32 s2, exec_lo
	v_cmpx_gt_u32_e64 s14, v46
	s_cbranch_execz .LBB3_8
.LBB3_136:
	global_load_b32 v5, v[17:18], off offset:1024
	s_or_b32 exec_lo, exec_lo, s2
	s_delay_alu instid0(SALU_CYCLE_1)
	s_mov_b32 s2, exec_lo
	v_cmpx_gt_u32_e64 s14, v45
	s_cbranch_execz .LBB3_9
.LBB3_137:
	global_load_b32 v6, v[17:18], off offset:1280
	s_or_b32 exec_lo, exec_lo, s2
	s_delay_alu instid0(SALU_CYCLE_1)
	s_mov_b32 s2, exec_lo
	v_cmpx_gt_u32_e64 s14, v44
	s_cbranch_execz .LBB3_10
.LBB3_138:
	global_load_b32 v7, v[17:18], off offset:1536
	s_or_b32 exec_lo, exec_lo, s2
	s_delay_alu instid0(SALU_CYCLE_1)
	s_mov_b32 s2, exec_lo
	v_cmpx_gt_u32_e64 s14, v43
	s_cbranch_execz .LBB3_11
.LBB3_139:
	global_load_b32 v8, v[17:18], off offset:1792
	s_or_b32 exec_lo, exec_lo, s2
	s_delay_alu instid0(SALU_CYCLE_1)
	s_mov_b32 s2, exec_lo
	v_cmpx_gt_u32_e64 s14, v42
	s_cbranch_execz .LBB3_12
.LBB3_140:
	global_load_b32 v9, v[17:18], off offset:2048
	s_or_b32 exec_lo, exec_lo, s2
	s_delay_alu instid0(SALU_CYCLE_1)
	s_mov_b32 s2, exec_lo
	v_cmpx_gt_u32_e64 s14, v41
	s_cbranch_execz .LBB3_13
.LBB3_141:
	global_load_b32 v10, v[17:18], off offset:2304
	s_or_b32 exec_lo, exec_lo, s2
	s_delay_alu instid0(SALU_CYCLE_1)
	s_mov_b32 s2, exec_lo
	v_cmpx_gt_u32_e64 s14, v40
	s_cbranch_execz .LBB3_14
.LBB3_142:
	global_load_b32 v11, v[17:18], off offset:2560
	s_or_b32 exec_lo, exec_lo, s2
	s_delay_alu instid0(SALU_CYCLE_1)
	s_mov_b32 s2, exec_lo
	v_cmpx_gt_u32_e64 s14, v39
	s_cbranch_execz .LBB3_15
.LBB3_143:
	global_load_b32 v12, v[17:18], off offset:2816
	s_or_b32 exec_lo, exec_lo, s2
	s_delay_alu instid0(SALU_CYCLE_1)
	s_mov_b32 s2, exec_lo
	v_cmpx_gt_u32_e64 s14, v38
	s_cbranch_execz .LBB3_16
.LBB3_144:
	global_load_b32 v13, v[17:18], off offset:3072
	s_or_b32 exec_lo, exec_lo, s2
	s_delay_alu instid0(SALU_CYCLE_1)
	s_mov_b32 s2, exec_lo
	v_cmpx_gt_u32_e64 s14, v37
	s_cbranch_execz .LBB3_17
.LBB3_145:
	global_load_b32 v14, v[17:18], off offset:3328
	s_or_b32 exec_lo, exec_lo, s2
	s_delay_alu instid0(SALU_CYCLE_1)
	s_mov_b32 s2, exec_lo
	v_cmpx_gt_u32_e64 s14, v36
	s_cbranch_execz .LBB3_18
.LBB3_146:
	global_load_b32 v15, v[17:18], off offset:3584
	s_or_b32 exec_lo, exec_lo, s2
	s_delay_alu instid0(SALU_CYCLE_1)
	s_mov_b32 s2, exec_lo
	v_cmpx_gt_u32_e64 s14, v33
	s_cbranch_execnz .LBB3_19
	s_branch .LBB3_20
.LBB3_147:
	s_waitcnt lgkmcnt(15)
	v_ashrrev_i32_e32 v5, 31, v4
	global_store_b64 v[34:35], v[4:5], off
	s_or_b32 exec_lo, exec_lo, s2
	s_delay_alu instid0(SALU_CYCLE_1)
	s_mov_b32 s2, exec_lo
	v_cmpx_gt_u32_e64 s14, v49
	s_cbranch_execz .LBB3_61
.LBB3_148:
	s_waitcnt lgkmcnt(14)
	v_ashrrev_i32_e32 v3, 31, v2
	global_store_b64 v[34:35], v[2:3], off offset:512
	s_or_b32 exec_lo, exec_lo, s2
	s_delay_alu instid0(SALU_CYCLE_1)
	s_mov_b32 s2, exec_lo
	v_cmpx_gt_u32_e64 s14, v48
	s_cbranch_execz .LBB3_62
.LBB3_149:
	s_waitcnt lgkmcnt(13)
	v_ashrrev_i32_e32 v7, 31, v6
	global_store_b64 v[34:35], v[6:7], off offset:1024
	s_or_b32 exec_lo, exec_lo, s2
	s_delay_alu instid0(SALU_CYCLE_1)
	s_mov_b32 s2, exec_lo
	v_cmpx_gt_u32_e64 s14, v47
	s_cbranch_execz .LBB3_63
.LBB3_150:
	s_waitcnt lgkmcnt(12)
	v_ashrrev_i32_e32 v9, 31, v8
	global_store_b64 v[34:35], v[8:9], off offset:1536
	s_or_b32 exec_lo, exec_lo, s2
	s_delay_alu instid0(SALU_CYCLE_1)
	s_mov_b32 s2, exec_lo
	v_cmpx_gt_u32_e64 s14, v46
	s_cbranch_execz .LBB3_64
.LBB3_151:
	s_waitcnt lgkmcnt(11)
	v_ashrrev_i32_e32 v11, 31, v10
	global_store_b64 v[34:35], v[10:11], off offset:2048
	s_or_b32 exec_lo, exec_lo, s2
	s_delay_alu instid0(SALU_CYCLE_1)
	s_mov_b32 s2, exec_lo
	v_cmpx_gt_u32_e64 s14, v45
	s_cbranch_execz .LBB3_65
.LBB3_152:
	s_waitcnt lgkmcnt(10)
	v_ashrrev_i32_e32 v13, 31, v12
	global_store_b64 v[34:35], v[12:13], off offset:2560
	s_or_b32 exec_lo, exec_lo, s2
	s_delay_alu instid0(SALU_CYCLE_1)
	s_mov_b32 s2, exec_lo
	v_cmpx_gt_u32_e64 s14, v44
	s_cbranch_execz .LBB3_66
.LBB3_153:
	s_waitcnt lgkmcnt(9)
	v_ashrrev_i32_e32 v15, 31, v14
	global_store_b64 v[34:35], v[14:15], off offset:3072
	s_or_b32 exec_lo, exec_lo, s2
	s_delay_alu instid0(SALU_CYCLE_1)
	s_mov_b32 s2, exec_lo
	v_cmpx_gt_u32_e64 s14, v43
	s_cbranch_execz .LBB3_67
.LBB3_154:
	s_waitcnt lgkmcnt(8)
	v_ashrrev_i32_e32 v17, 31, v16
	global_store_b64 v[34:35], v[16:17], off offset:3584
	s_or_b32 exec_lo, exec_lo, s2
	s_delay_alu instid0(SALU_CYCLE_1)
	s_mov_b32 s2, exec_lo
	v_cmpx_gt_u32_e64 s14, v42
	s_cbranch_execz .LBB3_68
.LBB3_155:
	v_add_co_u32 v42, vcc_lo, 0x1000, v34
	s_waitcnt lgkmcnt(7)
	v_ashrrev_i32_e32 v19, 31, v18
	v_add_co_ci_u32_e32 v43, vcc_lo, 0, v35, vcc_lo
	global_store_b64 v[42:43], v[18:19], off
	s_or_b32 exec_lo, exec_lo, s2
	s_delay_alu instid0(SALU_CYCLE_1)
	s_mov_b32 s2, exec_lo
	v_cmpx_gt_u32_e64 s14, v41
	s_cbranch_execz .LBB3_69
.LBB3_156:
	v_add_co_u32 v41, vcc_lo, 0x1000, v34
	s_waitcnt lgkmcnt(6)
	v_ashrrev_i32_e32 v21, 31, v20
	v_add_co_ci_u32_e32 v42, vcc_lo, 0, v35, vcc_lo
	global_store_b64 v[41:42], v[20:21], off offset:512
	s_or_b32 exec_lo, exec_lo, s2
	s_delay_alu instid0(SALU_CYCLE_1)
	s_mov_b32 s2, exec_lo
	v_cmpx_gt_u32_e64 s14, v40
	s_cbranch_execz .LBB3_70
.LBB3_157:
	v_add_co_u32 v40, vcc_lo, 0x1000, v34
	s_waitcnt lgkmcnt(5)
	v_ashrrev_i32_e32 v23, 31, v22
	v_add_co_ci_u32_e32 v41, vcc_lo, 0, v35, vcc_lo
	global_store_b64 v[40:41], v[22:23], off offset:1024
	s_or_b32 exec_lo, exec_lo, s2
	s_delay_alu instid0(SALU_CYCLE_1)
	s_mov_b32 s2, exec_lo
	v_cmpx_gt_u32_e64 s14, v39
	s_cbranch_execz .LBB3_71
.LBB3_158:
	v_add_co_u32 v39, vcc_lo, 0x1000, v34
	s_waitcnt lgkmcnt(4)
	v_ashrrev_i32_e32 v25, 31, v24
	v_add_co_ci_u32_e32 v40, vcc_lo, 0, v35, vcc_lo
	global_store_b64 v[39:40], v[24:25], off offset:1536
	s_or_b32 exec_lo, exec_lo, s2
	s_delay_alu instid0(SALU_CYCLE_1)
	s_mov_b32 s2, exec_lo
	v_cmpx_gt_u32_e64 s14, v38
	s_cbranch_execz .LBB3_72
.LBB3_159:
	v_add_co_u32 v38, vcc_lo, 0x1000, v34
	s_waitcnt lgkmcnt(3)
	v_ashrrev_i32_e32 v27, 31, v26
	v_add_co_ci_u32_e32 v39, vcc_lo, 0, v35, vcc_lo
	global_store_b64 v[38:39], v[26:27], off offset:2048
	s_or_b32 exec_lo, exec_lo, s2
	s_delay_alu instid0(SALU_CYCLE_1)
	s_mov_b32 s2, exec_lo
	v_cmpx_gt_u32_e64 s14, v37
	s_cbranch_execz .LBB3_73
.LBB3_160:
	v_add_co_u32 v37, vcc_lo, 0x1000, v34
	s_waitcnt lgkmcnt(2)
	v_ashrrev_i32_e32 v29, 31, v28
	v_add_co_ci_u32_e32 v38, vcc_lo, 0, v35, vcc_lo
	global_store_b64 v[37:38], v[28:29], off offset:2560
	s_or_b32 exec_lo, exec_lo, s2
	s_delay_alu instid0(SALU_CYCLE_1)
	s_mov_b32 s2, exec_lo
	v_cmpx_gt_u32_e64 s14, v36
	s_cbranch_execz .LBB3_74
.LBB3_161:
	v_add_co_u32 v36, vcc_lo, 0x1000, v34
	s_waitcnt lgkmcnt(1)
	v_ashrrev_i32_e32 v31, 31, v30
	v_add_co_ci_u32_e32 v37, vcc_lo, 0, v35, vcc_lo
	global_store_b64 v[36:37], v[30:31], off offset:3072
	s_or_b32 exec_lo, exec_lo, s2
	s_delay_alu instid0(SALU_CYCLE_1)
	s_mov_b32 s2, exec_lo
	v_cmpx_gt_u32_e64 s14, v33
	s_cbranch_execnz .LBB3_75
	s_branch .LBB3_76
	.section	.rodata,"a",@progbits
	.p2align	6, 0x0
	.amdhsa_kernel _ZN7rocprim6detail20lookback_scan_kernelILNS0_25lookback_scan_determinismE0ELb0ENS0_19wrapped_scan_configINS_14default_configEiEEN6hipcub22TransformInputIteratorIiNS6_6CastOpIiEEPilEEPlNS6_3SumEiiNS0_19lookback_scan_stateIiLb0ELb1EEEEEvT2_T3_mT5_T4_T7_jPT6_SM_bb
		.amdhsa_group_segment_fixed_size 4224
		.amdhsa_private_segment_fixed_size 0
		.amdhsa_kernarg_size 76
		.amdhsa_user_sgpr_count 15
		.amdhsa_user_sgpr_dispatch_ptr 0
		.amdhsa_user_sgpr_queue_ptr 0
		.amdhsa_user_sgpr_kernarg_segment_ptr 1
		.amdhsa_user_sgpr_dispatch_id 0
		.amdhsa_user_sgpr_private_segment_size 0
		.amdhsa_wavefront_size32 1
		.amdhsa_uses_dynamic_stack 0
		.amdhsa_enable_private_segment 0
		.amdhsa_system_sgpr_workgroup_id_x 1
		.amdhsa_system_sgpr_workgroup_id_y 0
		.amdhsa_system_sgpr_workgroup_id_z 0
		.amdhsa_system_sgpr_workgroup_info 0
		.amdhsa_system_vgpr_workitem_id 0
		.amdhsa_next_free_vgpr 70
		.amdhsa_next_free_sgpr 35
		.amdhsa_reserve_vcc 1
		.amdhsa_float_round_mode_32 0
		.amdhsa_float_round_mode_16_64 0
		.amdhsa_float_denorm_mode_32 3
		.amdhsa_float_denorm_mode_16_64 3
		.amdhsa_dx10_clamp 1
		.amdhsa_ieee_mode 1
		.amdhsa_fp16_overflow 0
		.amdhsa_workgroup_processor_mode 1
		.amdhsa_memory_ordered 1
		.amdhsa_forward_progress 0
		.amdhsa_shared_vgpr_count 0
		.amdhsa_exception_fp_ieee_invalid_op 0
		.amdhsa_exception_fp_denorm_src 0
		.amdhsa_exception_fp_ieee_div_zero 0
		.amdhsa_exception_fp_ieee_overflow 0
		.amdhsa_exception_fp_ieee_underflow 0
		.amdhsa_exception_fp_ieee_inexact 0
		.amdhsa_exception_int_div_zero 0
	.end_amdhsa_kernel
	.section	.text._ZN7rocprim6detail20lookback_scan_kernelILNS0_25lookback_scan_determinismE0ELb0ENS0_19wrapped_scan_configINS_14default_configEiEEN6hipcub22TransformInputIteratorIiNS6_6CastOpIiEEPilEEPlNS6_3SumEiiNS0_19lookback_scan_stateIiLb0ELb1EEEEEvT2_T3_mT5_T4_T7_jPT6_SM_bb,"axG",@progbits,_ZN7rocprim6detail20lookback_scan_kernelILNS0_25lookback_scan_determinismE0ELb0ENS0_19wrapped_scan_configINS_14default_configEiEEN6hipcub22TransformInputIteratorIiNS6_6CastOpIiEEPilEEPlNS6_3SumEiiNS0_19lookback_scan_stateIiLb0ELb1EEEEEvT2_T3_mT5_T4_T7_jPT6_SM_bb,comdat
.Lfunc_end3:
	.size	_ZN7rocprim6detail20lookback_scan_kernelILNS0_25lookback_scan_determinismE0ELb0ENS0_19wrapped_scan_configINS_14default_configEiEEN6hipcub22TransformInputIteratorIiNS6_6CastOpIiEEPilEEPlNS6_3SumEiiNS0_19lookback_scan_stateIiLb0ELb1EEEEEvT2_T3_mT5_T4_T7_jPT6_SM_bb, .Lfunc_end3-_ZN7rocprim6detail20lookback_scan_kernelILNS0_25lookback_scan_determinismE0ELb0ENS0_19wrapped_scan_configINS_14default_configEiEEN6hipcub22TransformInputIteratorIiNS6_6CastOpIiEEPilEEPlNS6_3SumEiiNS0_19lookback_scan_stateIiLb0ELb1EEEEEvT2_T3_mT5_T4_T7_jPT6_SM_bb
                                        ; -- End function
	.section	.AMDGPU.csdata,"",@progbits
; Kernel info:
; codeLenInByte = 7796
; NumSgprs: 37
; NumVgprs: 70
; ScratchSize: 0
; MemoryBound: 0
; FloatMode: 240
; IeeeMode: 1
; LDSByteSize: 4224 bytes/workgroup (compile time only)
; SGPRBlocks: 4
; VGPRBlocks: 8
; NumSGPRsForWavesPerEU: 37
; NumVGPRsForWavesPerEU: 70
; Occupancy: 16
; WaveLimiterHint : 1
; COMPUTE_PGM_RSRC2:SCRATCH_EN: 0
; COMPUTE_PGM_RSRC2:USER_SGPR: 15
; COMPUTE_PGM_RSRC2:TRAP_HANDLER: 0
; COMPUTE_PGM_RSRC2:TGID_X_EN: 1
; COMPUTE_PGM_RSRC2:TGID_Y_EN: 0
; COMPUTE_PGM_RSRC2:TGID_Z_EN: 0
; COMPUTE_PGM_RSRC2:TIDIG_COMP_CNT: 0
	.section	.text._ZN7rocprim6detail16transform_kernelINS0_24wrapped_transform_configINS_14default_configEiEEiPiS5_NS_8identityIiEEEEvT1_mT2_T3_,"axG",@progbits,_ZN7rocprim6detail16transform_kernelINS0_24wrapped_transform_configINS_14default_configEiEEiPiS5_NS_8identityIiEEEEvT1_mT2_T3_,comdat
	.protected	_ZN7rocprim6detail16transform_kernelINS0_24wrapped_transform_configINS_14default_configEiEEiPiS5_NS_8identityIiEEEEvT1_mT2_T3_ ; -- Begin function _ZN7rocprim6detail16transform_kernelINS0_24wrapped_transform_configINS_14default_configEiEEiPiS5_NS_8identityIiEEEEvT1_mT2_T3_
	.globl	_ZN7rocprim6detail16transform_kernelINS0_24wrapped_transform_configINS_14default_configEiEEiPiS5_NS_8identityIiEEEEvT1_mT2_T3_
	.p2align	8
	.type	_ZN7rocprim6detail16transform_kernelINS0_24wrapped_transform_configINS_14default_configEiEEiPiS5_NS_8identityIiEEEEvT1_mT2_T3_,@function
_ZN7rocprim6detail16transform_kernelINS0_24wrapped_transform_configINS_14default_configEiEEiPiS5_NS_8identityIiEEEEvT1_mT2_T3_: ; @_ZN7rocprim6detail16transform_kernelINS0_24wrapped_transform_configINS_14default_configEiEEiPiS5_NS_8identityIiEEEEvT1_mT2_T3_
; %bb.0:
	s_clause 0x2
	s_load_b32 s2, s[0:1], 0x20
	s_load_b128 s[4:7], s[0:1], 0x0
	s_load_b64 s[16:17], s[0:1], 0x10
	s_mov_b32 s21, 0
	s_lshl_b32 s20, s15, 12
	v_lshlrev_b32_e32 v3, 2, v0
	s_lshl_b64 s[18:19], s[20:21], 2
	s_waitcnt lgkmcnt(0)
	s_add_i32 s2, s2, -1
	s_add_u32 s0, s4, s18
	s_addc_u32 s1, s5, s19
	v_add_co_u32 v1, s0, s0, v3
	s_delay_alu instid0(VALU_DEP_1)
	v_add_co_ci_u32_e64 v2, null, s1, 0, s0
	s_cmp_lg_u32 s15, s2
	s_mov_b32 s0, -1
	s_cbranch_scc0 .LBB4_2
; %bb.1:
	v_add_co_u32 v4, vcc_lo, 0x1000, v1
	v_add_co_ci_u32_e32 v5, vcc_lo, 0, v2, vcc_lo
	v_add_co_u32 v6, vcc_lo, v1, 0x2000
	v_add_co_ci_u32_e32 v7, vcc_lo, 0, v2, vcc_lo
	;; [unrolled: 2-line block ×3, first 2 shown]
	v_add_co_u32 v10, vcc_lo, 0x3000, v1
	global_load_b32 v13, v[6:7], off
	v_add_co_ci_u32_e32 v11, vcc_lo, 0, v2, vcc_lo
	s_clause 0xe
	global_load_b32 v14, v[1:2], off
	global_load_b32 v15, v[1:2], off offset:1024
	global_load_b32 v16, v[1:2], off offset:2048
	;; [unrolled: 1-line block ×9, first 2 shown]
	global_load_b32 v24, v[10:11], off
	global_load_b32 v25, v[10:11], off offset:1024
	global_load_b32 v26, v[6:7], off offset:-4096
	global_load_b32 v27, v[10:11], off offset:2048
	global_load_b32 v4, v[10:11], off offset:3072
	s_add_u32 s2, s16, s18
	s_addc_u32 s3, s17, s19
	v_add_co_u32 v11, s1, s2, v3
	s_delay_alu instid0(VALU_DEP_1) | instskip(NEXT) | instid1(VALU_DEP_2)
	v_add_co_ci_u32_e64 v12, null, s3, 0, s1
	v_add_co_u32 v5, vcc_lo, 0x1000, v11
	s_delay_alu instid0(VALU_DEP_2)
	v_add_co_ci_u32_e32 v6, vcc_lo, 0, v12, vcc_lo
	v_add_co_u32 v7, vcc_lo, v11, 0x2000
	v_add_co_ci_u32_e32 v8, vcc_lo, 0, v12, vcc_lo
	v_add_co_u32 v9, vcc_lo, 0x2000, v11
	;; [unrolled: 2-line block ×3, first 2 shown]
	s_mov_b32 s21, -1
	v_add_co_ci_u32_e32 v12, vcc_lo, 0, v12, vcc_lo
	s_waitcnt vmcnt(15)
	global_store_b32 v[7:8], v13, off
	s_waitcnt vmcnt(14)
	global_store_b32 v3, v14, s[2:3]
	s_waitcnt vmcnt(13)
	global_store_b32 v3, v15, s[2:3] offset:1024
	s_waitcnt vmcnt(12)
	global_store_b32 v3, v16, s[2:3] offset:2048
	;; [unrolled: 2-line block ×3, first 2 shown]
	s_waitcnt vmcnt(10)
	global_store_b32 v[5:6], v18, off offset:1024
	s_waitcnt vmcnt(9)
	global_store_b32 v[5:6], v19, off offset:2048
	;; [unrolled: 2-line block ×6, first 2 shown]
	s_waitcnt vmcnt(4)
	global_store_b32 v[11:12], v24, off
	s_waitcnt vmcnt(3)
	global_store_b32 v[11:12], v25, off offset:1024
	s_waitcnt vmcnt(2)
	global_store_b32 v[7:8], v26, off offset:-4096
	s_waitcnt vmcnt(1)
	global_store_b32 v[11:12], v27, off offset:2048
	s_cbranch_execz .LBB4_3
	s_branch .LBB4_52
.LBB4_2:
                                        ; implicit-def: $vgpr4
	s_and_not1_b32 vcc_lo, exec_lo, s0
	s_cbranch_vccnz .LBB4_52
.LBB4_3:
	s_sub_i32 s15, s6, s20
                                        ; implicit-def: $vgpr5
	s_delay_alu instid0(SALU_CYCLE_1)
	v_cmp_gt_u32_e32 vcc_lo, s15, v0
	s_and_saveexec_b32 s0, vcc_lo
	s_cbranch_execz .LBB4_5
; %bb.4:
	global_load_b32 v5, v[1:2], off
.LBB4_5:
	s_or_b32 exec_lo, exec_lo, s0
	s_waitcnt vmcnt(0)
	v_or_b32_e32 v4, 0x100, v0
                                        ; implicit-def: $vgpr6
	s_delay_alu instid0(VALU_DEP_1) | instskip(NEXT) | instid1(VALU_DEP_1)
	v_cmp_gt_u32_e64 s0, s15, v4
	s_and_saveexec_b32 s1, s0
	s_cbranch_execz .LBB4_7
; %bb.6:
	global_load_b32 v6, v[1:2], off offset:1024
.LBB4_7:
	s_or_b32 exec_lo, exec_lo, s1
	v_or_b32_e32 v4, 0x200, v0
                                        ; implicit-def: $vgpr7
	s_delay_alu instid0(VALU_DEP_1) | instskip(NEXT) | instid1(VALU_DEP_1)
	v_cmp_gt_u32_e64 s1, s15, v4
	s_and_saveexec_b32 s2, s1
	s_cbranch_execz .LBB4_9
; %bb.8:
	global_load_b32 v7, v[1:2], off offset:2048
.LBB4_9:
	s_or_b32 exec_lo, exec_lo, s2
	v_or_b32_e32 v4, 0x300, v0
                                        ; implicit-def: $vgpr8
	s_delay_alu instid0(VALU_DEP_1) | instskip(NEXT) | instid1(VALU_DEP_1)
	v_cmp_gt_u32_e64 s2, s15, v4
	s_and_saveexec_b32 s3, s2
	s_cbranch_execz .LBB4_11
; %bb.10:
	global_load_b32 v8, v[1:2], off offset:3072
.LBB4_11:
	s_or_b32 exec_lo, exec_lo, s3
	v_or_b32_e32 v4, 0x400, v0
                                        ; implicit-def: $vgpr9
	s_delay_alu instid0(VALU_DEP_1) | instskip(NEXT) | instid1(VALU_DEP_1)
	v_cmp_gt_u32_e64 s3, s15, v4
	s_and_saveexec_b32 s5, s3
	s_cbranch_execz .LBB4_13
; %bb.12:
	v_add_co_u32 v9, s4, 0x1000, v1
	s_delay_alu instid0(VALU_DEP_1)
	v_add_co_ci_u32_e64 v10, s4, 0, v2, s4
	global_load_b32 v9, v[9:10], off
.LBB4_13:
	s_or_b32 exec_lo, exec_lo, s5
	v_or_b32_e32 v4, 0x500, v0
                                        ; implicit-def: $vgpr10
	s_delay_alu instid0(VALU_DEP_1) | instskip(NEXT) | instid1(VALU_DEP_1)
	v_cmp_gt_u32_e64 s4, s15, v4
	s_and_saveexec_b32 s6, s4
	s_cbranch_execz .LBB4_15
; %bb.14:
	v_add_co_u32 v10, s5, 0x1000, v1
	s_delay_alu instid0(VALU_DEP_1)
	v_add_co_ci_u32_e64 v11, s5, 0, v2, s5
	global_load_b32 v10, v[10:11], off offset:1024
.LBB4_15:
	s_or_b32 exec_lo, exec_lo, s6
	v_or_b32_e32 v4, 0x600, v0
                                        ; implicit-def: $vgpr11
	s_delay_alu instid0(VALU_DEP_1) | instskip(NEXT) | instid1(VALU_DEP_1)
	v_cmp_gt_u32_e64 s5, s15, v4
	s_and_saveexec_b32 s7, s5
	s_cbranch_execz .LBB4_17
; %bb.16:
	v_add_co_u32 v11, s6, 0x1000, v1
	s_delay_alu instid0(VALU_DEP_1)
	v_add_co_ci_u32_e64 v12, s6, 0, v2, s6
	global_load_b32 v11, v[11:12], off offset:2048
.LBB4_17:
	s_or_b32 exec_lo, exec_lo, s7
	v_or_b32_e32 v4, 0x700, v0
                                        ; implicit-def: $vgpr12
	s_delay_alu instid0(VALU_DEP_1) | instskip(NEXT) | instid1(VALU_DEP_1)
	v_cmp_gt_u32_e64 s6, s15, v4
	s_and_saveexec_b32 s8, s6
	s_cbranch_execz .LBB4_19
; %bb.18:
	v_add_co_u32 v12, s7, 0x1000, v1
	s_delay_alu instid0(VALU_DEP_1)
	v_add_co_ci_u32_e64 v13, s7, 0, v2, s7
	global_load_b32 v12, v[12:13], off offset:3072
.LBB4_19:
	s_or_b32 exec_lo, exec_lo, s8
	v_or_b32_e32 v4, 0x800, v0
                                        ; implicit-def: $vgpr13
	s_delay_alu instid0(VALU_DEP_1) | instskip(NEXT) | instid1(VALU_DEP_1)
	v_cmp_gt_u32_e64 s7, s15, v4
	s_and_saveexec_b32 s9, s7
	s_cbranch_execz .LBB4_21
; %bb.20:
	v_add_co_u32 v13, s8, 0x2000, v1
	s_delay_alu instid0(VALU_DEP_1)
	v_add_co_ci_u32_e64 v14, s8, 0, v2, s8
	global_load_b32 v13, v[13:14], off
.LBB4_21:
	s_or_b32 exec_lo, exec_lo, s9
	v_or_b32_e32 v4, 0x900, v0
                                        ; implicit-def: $vgpr14
	s_delay_alu instid0(VALU_DEP_1) | instskip(NEXT) | instid1(VALU_DEP_1)
	v_cmp_gt_u32_e64 s8, s15, v4
	s_and_saveexec_b32 s10, s8
	s_cbranch_execz .LBB4_23
; %bb.22:
	v_add_co_u32 v14, s9, 0x2000, v1
	s_delay_alu instid0(VALU_DEP_1)
	v_add_co_ci_u32_e64 v15, s9, 0, v2, s9
	global_load_b32 v14, v[14:15], off offset:1024
.LBB4_23:
	s_or_b32 exec_lo, exec_lo, s10
	v_or_b32_e32 v4, 0xa00, v0
                                        ; implicit-def: $vgpr15
	s_delay_alu instid0(VALU_DEP_1) | instskip(NEXT) | instid1(VALU_DEP_1)
	v_cmp_gt_u32_e64 s9, s15, v4
	s_and_saveexec_b32 s11, s9
	s_cbranch_execz .LBB4_25
; %bb.24:
	v_add_co_u32 v15, s10, 0x2000, v1
	s_delay_alu instid0(VALU_DEP_1)
	v_add_co_ci_u32_e64 v16, s10, 0, v2, s10
	global_load_b32 v15, v[15:16], off offset:2048
.LBB4_25:
	s_or_b32 exec_lo, exec_lo, s11
	v_or_b32_e32 v4, 0xb00, v0
                                        ; implicit-def: $vgpr16
	s_delay_alu instid0(VALU_DEP_1) | instskip(NEXT) | instid1(VALU_DEP_1)
	v_cmp_gt_u32_e64 s10, s15, v4
	s_and_saveexec_b32 s12, s10
	s_cbranch_execz .LBB4_27
; %bb.26:
	v_add_co_u32 v16, s11, 0x2000, v1
	s_delay_alu instid0(VALU_DEP_1)
	v_add_co_ci_u32_e64 v17, s11, 0, v2, s11
	global_load_b32 v16, v[16:17], off offset:3072
.LBB4_27:
	s_or_b32 exec_lo, exec_lo, s12
	v_or_b32_e32 v4, 0xc00, v0
                                        ; implicit-def: $vgpr17
	s_delay_alu instid0(VALU_DEP_1) | instskip(NEXT) | instid1(VALU_DEP_1)
	v_cmp_gt_u32_e64 s11, s15, v4
	s_and_saveexec_b32 s13, s11
	s_cbranch_execz .LBB4_29
; %bb.28:
	v_add_co_u32 v17, s12, 0x3000, v1
	s_delay_alu instid0(VALU_DEP_1)
	v_add_co_ci_u32_e64 v18, s12, 0, v2, s12
	global_load_b32 v17, v[17:18], off
.LBB4_29:
	s_or_b32 exec_lo, exec_lo, s13
	v_or_b32_e32 v4, 0xd00, v0
                                        ; implicit-def: $vgpr18
	s_delay_alu instid0(VALU_DEP_1) | instskip(NEXT) | instid1(VALU_DEP_1)
	v_cmp_gt_u32_e64 s12, s15, v4
	s_and_saveexec_b32 s14, s12
	s_cbranch_execz .LBB4_31
; %bb.30:
	v_add_co_u32 v18, s13, 0x3000, v1
	s_delay_alu instid0(VALU_DEP_1)
	v_add_co_ci_u32_e64 v19, s13, 0, v2, s13
	global_load_b32 v18, v[18:19], off offset:1024
.LBB4_31:
	s_or_b32 exec_lo, exec_lo, s14
	v_or_b32_e32 v4, 0xe00, v0
                                        ; implicit-def: $vgpr19
	s_delay_alu instid0(VALU_DEP_1) | instskip(NEXT) | instid1(VALU_DEP_1)
	v_cmp_gt_u32_e64 s13, s15, v4
	s_and_saveexec_b32 s20, s13
	s_cbranch_execz .LBB4_33
; %bb.32:
	v_add_co_u32 v19, s14, 0x3000, v1
	s_delay_alu instid0(VALU_DEP_1)
	v_add_co_ci_u32_e64 v20, s14, 0, v2, s14
	global_load_b32 v19, v[19:20], off offset:2048
.LBB4_33:
	s_or_b32 exec_lo, exec_lo, s20
	v_or_b32_e32 v0, 0xf00, v0
                                        ; implicit-def: $vgpr4
	s_delay_alu instid0(VALU_DEP_1) | instskip(NEXT) | instid1(VALU_DEP_1)
	v_cmp_gt_u32_e64 s21, s15, v0
	s_and_saveexec_b32 s15, s21
	s_cbranch_execz .LBB4_35
; %bb.34:
	v_add_co_u32 v0, s14, 0x3000, v1
	s_delay_alu instid0(VALU_DEP_1)
	v_add_co_ci_u32_e64 v1, s14, 0, v2, s14
	global_load_b32 v4, v[0:1], off offset:3072
.LBB4_35:
	s_or_b32 exec_lo, exec_lo, s15
	s_add_u32 s14, s16, s18
	s_addc_u32 s15, s17, s19
	v_add_co_u32 v0, s14, s14, v3
	s_delay_alu instid0(VALU_DEP_1) | instskip(SKIP_1) | instid1(SALU_CYCLE_1)
	v_add_co_ci_u32_e64 v1, null, s15, 0, s14
	s_and_saveexec_b32 s14, vcc_lo
	s_xor_b32 s14, exec_lo, s14
	s_cbranch_execnz .LBB4_55
; %bb.36:
	s_or_b32 exec_lo, exec_lo, s14
	s_and_saveexec_b32 s14, s0
	s_cbranch_execnz .LBB4_56
.LBB4_37:
	s_or_b32 exec_lo, exec_lo, s14
	s_and_saveexec_b32 s0, s1
	s_cbranch_execnz .LBB4_57
.LBB4_38:
	s_or_b32 exec_lo, exec_lo, s0
	s_and_saveexec_b32 s0, s2
	s_cbranch_execnz .LBB4_58
.LBB4_39:
	s_or_b32 exec_lo, exec_lo, s0
	s_and_saveexec_b32 s0, s3
	s_cbranch_execnz .LBB4_59
.LBB4_40:
	s_or_b32 exec_lo, exec_lo, s0
	s_and_saveexec_b32 s0, s4
	s_cbranch_execnz .LBB4_60
.LBB4_41:
	s_or_b32 exec_lo, exec_lo, s0
	s_and_saveexec_b32 s0, s5
	s_cbranch_execnz .LBB4_61
.LBB4_42:
	s_or_b32 exec_lo, exec_lo, s0
	s_and_saveexec_b32 s0, s6
	s_cbranch_execnz .LBB4_62
.LBB4_43:
	s_or_b32 exec_lo, exec_lo, s0
	s_and_saveexec_b32 s0, s7
	s_cbranch_execnz .LBB4_63
.LBB4_44:
	s_or_b32 exec_lo, exec_lo, s0
	s_and_saveexec_b32 s0, s8
	s_cbranch_execnz .LBB4_64
.LBB4_45:
	s_or_b32 exec_lo, exec_lo, s0
	s_and_saveexec_b32 s0, s9
	s_cbranch_execnz .LBB4_65
.LBB4_46:
	s_or_b32 exec_lo, exec_lo, s0
	s_and_saveexec_b32 s0, s10
	s_cbranch_execnz .LBB4_66
.LBB4_47:
	s_or_b32 exec_lo, exec_lo, s0
	s_and_saveexec_b32 s0, s11
	s_cbranch_execnz .LBB4_67
.LBB4_48:
	s_or_b32 exec_lo, exec_lo, s0
	s_and_saveexec_b32 s0, s12
	s_cbranch_execnz .LBB4_68
.LBB4_49:
	s_or_b32 exec_lo, exec_lo, s0
	s_and_saveexec_b32 s0, s13
	s_cbranch_execz .LBB4_51
.LBB4_50:
	v_add_co_u32 v0, vcc_lo, 0x3000, v0
	v_add_co_ci_u32_e32 v1, vcc_lo, 0, v1, vcc_lo
	s_waitcnt vmcnt(0)
	global_store_b32 v[0:1], v19, off offset:2048
.LBB4_51:
	s_or_b32 exec_lo, exec_lo, s0
.LBB4_52:
	s_and_saveexec_b32 s0, s21
	s_cbranch_execnz .LBB4_54
; %bb.53:
	s_nop 0
	s_sendmsg sendmsg(MSG_DEALLOC_VGPRS)
	s_endpgm
.LBB4_54:
	s_add_u32 s0, s16, s18
	s_addc_u32 s1, s17, s19
	v_add_co_u32 v0, s0, s0, v3
	s_delay_alu instid0(VALU_DEP_1) | instskip(NEXT) | instid1(VALU_DEP_2)
	v_add_co_ci_u32_e64 v1, null, s1, 0, s0
	v_add_co_u32 v0, vcc_lo, 0x3000, v0
	s_delay_alu instid0(VALU_DEP_2)
	v_add_co_ci_u32_e32 v1, vcc_lo, 0, v1, vcc_lo
	s_waitcnt vmcnt(0)
	global_store_b32 v[0:1], v4, off offset:3072
	s_nop 0
	s_sendmsg sendmsg(MSG_DEALLOC_VGPRS)
	s_endpgm
.LBB4_55:
	global_store_b32 v[0:1], v5, off
	s_or_b32 exec_lo, exec_lo, s14
	s_and_saveexec_b32 s14, s0
	s_cbranch_execz .LBB4_37
.LBB4_56:
	s_waitcnt vmcnt(0)
	global_store_b32 v[0:1], v6, off offset:1024
	s_or_b32 exec_lo, exec_lo, s14
	s_and_saveexec_b32 s0, s1
	s_cbranch_execz .LBB4_38
.LBB4_57:
	s_waitcnt vmcnt(0)
	global_store_b32 v[0:1], v7, off offset:2048
	s_or_b32 exec_lo, exec_lo, s0
	s_and_saveexec_b32 s0, s2
	s_cbranch_execz .LBB4_39
.LBB4_58:
	s_waitcnt vmcnt(0)
	global_store_b32 v[0:1], v8, off offset:3072
	s_or_b32 exec_lo, exec_lo, s0
	s_and_saveexec_b32 s0, s3
	s_cbranch_execz .LBB4_40
.LBB4_59:
	v_add_co_u32 v5, vcc_lo, 0x1000, v0
	s_waitcnt vmcnt(0)
	v_add_co_ci_u32_e32 v6, vcc_lo, 0, v1, vcc_lo
	global_store_b32 v[5:6], v9, off
	s_or_b32 exec_lo, exec_lo, s0
	s_and_saveexec_b32 s0, s4
	s_cbranch_execz .LBB4_41
.LBB4_60:
	v_add_co_u32 v5, vcc_lo, 0x1000, v0
	s_waitcnt vmcnt(0)
	v_add_co_ci_u32_e32 v6, vcc_lo, 0, v1, vcc_lo
	global_store_b32 v[5:6], v10, off offset:1024
	s_or_b32 exec_lo, exec_lo, s0
	s_and_saveexec_b32 s0, s5
	s_cbranch_execz .LBB4_42
.LBB4_61:
	v_add_co_u32 v5, vcc_lo, 0x1000, v0
	s_waitcnt vmcnt(0)
	v_add_co_ci_u32_e32 v6, vcc_lo, 0, v1, vcc_lo
	global_store_b32 v[5:6], v11, off offset:2048
	s_or_b32 exec_lo, exec_lo, s0
	s_and_saveexec_b32 s0, s6
	s_cbranch_execz .LBB4_43
.LBB4_62:
	v_add_co_u32 v5, vcc_lo, 0x1000, v0
	s_waitcnt vmcnt(0)
	v_add_co_ci_u32_e32 v6, vcc_lo, 0, v1, vcc_lo
	global_store_b32 v[5:6], v12, off offset:3072
	s_or_b32 exec_lo, exec_lo, s0
	s_and_saveexec_b32 s0, s7
	s_cbranch_execz .LBB4_44
.LBB4_63:
	v_add_co_u32 v5, vcc_lo, 0x2000, v0
	s_waitcnt vmcnt(0)
	v_add_co_ci_u32_e32 v6, vcc_lo, 0, v1, vcc_lo
	global_store_b32 v[5:6], v13, off
	s_or_b32 exec_lo, exec_lo, s0
	s_and_saveexec_b32 s0, s8
	s_cbranch_execz .LBB4_45
.LBB4_64:
	v_add_co_u32 v5, vcc_lo, 0x2000, v0
	s_waitcnt vmcnt(0)
	v_add_co_ci_u32_e32 v6, vcc_lo, 0, v1, vcc_lo
	global_store_b32 v[5:6], v14, off offset:1024
	s_or_b32 exec_lo, exec_lo, s0
	s_and_saveexec_b32 s0, s9
	s_cbranch_execz .LBB4_46
.LBB4_65:
	v_add_co_u32 v5, vcc_lo, 0x2000, v0
	s_waitcnt vmcnt(0)
	v_add_co_ci_u32_e32 v6, vcc_lo, 0, v1, vcc_lo
	global_store_b32 v[5:6], v15, off offset:2048
	s_or_b32 exec_lo, exec_lo, s0
	s_and_saveexec_b32 s0, s10
	s_cbranch_execz .LBB4_47
.LBB4_66:
	v_add_co_u32 v5, vcc_lo, 0x2000, v0
	s_waitcnt vmcnt(0)
	v_add_co_ci_u32_e32 v6, vcc_lo, 0, v1, vcc_lo
	global_store_b32 v[5:6], v16, off offset:3072
	s_or_b32 exec_lo, exec_lo, s0
	s_and_saveexec_b32 s0, s11
	s_cbranch_execz .LBB4_48
.LBB4_67:
	v_add_co_u32 v5, vcc_lo, 0x3000, v0
	s_waitcnt vmcnt(0)
	v_add_co_ci_u32_e32 v6, vcc_lo, 0, v1, vcc_lo
	global_store_b32 v[5:6], v17, off
	s_or_b32 exec_lo, exec_lo, s0
	s_and_saveexec_b32 s0, s12
	s_cbranch_execz .LBB4_49
.LBB4_68:
	v_add_co_u32 v5, vcc_lo, 0x3000, v0
	s_waitcnt vmcnt(0)
	v_add_co_ci_u32_e32 v6, vcc_lo, 0, v1, vcc_lo
	global_store_b32 v[5:6], v18, off offset:1024
	s_or_b32 exec_lo, exec_lo, s0
	s_and_saveexec_b32 s0, s13
	s_cbranch_execnz .LBB4_50
	s_branch .LBB4_51
	.section	.rodata,"a",@progbits
	.p2align	6, 0x0
	.amdhsa_kernel _ZN7rocprim6detail16transform_kernelINS0_24wrapped_transform_configINS_14default_configEiEEiPiS5_NS_8identityIiEEEEvT1_mT2_T3_
		.amdhsa_group_segment_fixed_size 0
		.amdhsa_private_segment_fixed_size 0
		.amdhsa_kernarg_size 288
		.amdhsa_user_sgpr_count 15
		.amdhsa_user_sgpr_dispatch_ptr 0
		.amdhsa_user_sgpr_queue_ptr 0
		.amdhsa_user_sgpr_kernarg_segment_ptr 1
		.amdhsa_user_sgpr_dispatch_id 0
		.amdhsa_user_sgpr_private_segment_size 0
		.amdhsa_wavefront_size32 1
		.amdhsa_uses_dynamic_stack 0
		.amdhsa_enable_private_segment 0
		.amdhsa_system_sgpr_workgroup_id_x 1
		.amdhsa_system_sgpr_workgroup_id_y 0
		.amdhsa_system_sgpr_workgroup_id_z 0
		.amdhsa_system_sgpr_workgroup_info 0
		.amdhsa_system_vgpr_workitem_id 0
		.amdhsa_next_free_vgpr 28
		.amdhsa_next_free_sgpr 22
		.amdhsa_reserve_vcc 1
		.amdhsa_float_round_mode_32 0
		.amdhsa_float_round_mode_16_64 0
		.amdhsa_float_denorm_mode_32 3
		.amdhsa_float_denorm_mode_16_64 3
		.amdhsa_dx10_clamp 1
		.amdhsa_ieee_mode 1
		.amdhsa_fp16_overflow 0
		.amdhsa_workgroup_processor_mode 1
		.amdhsa_memory_ordered 1
		.amdhsa_forward_progress 0
		.amdhsa_shared_vgpr_count 0
		.amdhsa_exception_fp_ieee_invalid_op 0
		.amdhsa_exception_fp_denorm_src 0
		.amdhsa_exception_fp_ieee_div_zero 0
		.amdhsa_exception_fp_ieee_overflow 0
		.amdhsa_exception_fp_ieee_underflow 0
		.amdhsa_exception_fp_ieee_inexact 0
		.amdhsa_exception_int_div_zero 0
	.end_amdhsa_kernel
	.section	.text._ZN7rocprim6detail16transform_kernelINS0_24wrapped_transform_configINS_14default_configEiEEiPiS5_NS_8identityIiEEEEvT1_mT2_T3_,"axG",@progbits,_ZN7rocprim6detail16transform_kernelINS0_24wrapped_transform_configINS_14default_configEiEEiPiS5_NS_8identityIiEEEEvT1_mT2_T3_,comdat
.Lfunc_end4:
	.size	_ZN7rocprim6detail16transform_kernelINS0_24wrapped_transform_configINS_14default_configEiEEiPiS5_NS_8identityIiEEEEvT1_mT2_T3_, .Lfunc_end4-_ZN7rocprim6detail16transform_kernelINS0_24wrapped_transform_configINS_14default_configEiEEiPiS5_NS_8identityIiEEEEvT1_mT2_T3_
                                        ; -- End function
	.section	.AMDGPU.csdata,"",@progbits
; Kernel info:
; codeLenInByte = 2336
; NumSgprs: 24
; NumVgprs: 28
; ScratchSize: 0
; MemoryBound: 0
; FloatMode: 240
; IeeeMode: 1
; LDSByteSize: 0 bytes/workgroup (compile time only)
; SGPRBlocks: 2
; VGPRBlocks: 3
; NumSGPRsForWavesPerEU: 24
; NumVGPRsForWavesPerEU: 28
; Occupancy: 16
; WaveLimiterHint : 1
; COMPUTE_PGM_RSRC2:SCRATCH_EN: 0
; COMPUTE_PGM_RSRC2:USER_SGPR: 15
; COMPUTE_PGM_RSRC2:TRAP_HANDLER: 0
; COMPUTE_PGM_RSRC2:TGID_X_EN: 1
; COMPUTE_PGM_RSRC2:TGID_Y_EN: 0
; COMPUTE_PGM_RSRC2:TGID_Z_EN: 0
; COMPUTE_PGM_RSRC2:TIDIG_COMP_CNT: 0
	.section	.text._ZN7rocprim6detail18single_scan_kernelILb0ENS0_19wrapped_scan_configINS_14default_configEiEEN6hipcub22TransformInputIteratorIiNS5_6CastOpIiEEPilEEPlNS5_3SumEiiEEvT1_mT4_T2_T3_,"axG",@progbits,_ZN7rocprim6detail18single_scan_kernelILb0ENS0_19wrapped_scan_configINS_14default_configEiEEN6hipcub22TransformInputIteratorIiNS5_6CastOpIiEEPilEEPlNS5_3SumEiiEEvT1_mT4_T2_T3_,comdat
	.protected	_ZN7rocprim6detail18single_scan_kernelILb0ENS0_19wrapped_scan_configINS_14default_configEiEEN6hipcub22TransformInputIteratorIiNS5_6CastOpIiEEPilEEPlNS5_3SumEiiEEvT1_mT4_T2_T3_ ; -- Begin function _ZN7rocprim6detail18single_scan_kernelILb0ENS0_19wrapped_scan_configINS_14default_configEiEEN6hipcub22TransformInputIteratorIiNS5_6CastOpIiEEPilEEPlNS5_3SumEiiEEvT1_mT4_T2_T3_
	.globl	_ZN7rocprim6detail18single_scan_kernelILb0ENS0_19wrapped_scan_configINS_14default_configEiEEN6hipcub22TransformInputIteratorIiNS5_6CastOpIiEEPilEEPlNS5_3SumEiiEEvT1_mT4_T2_T3_
	.p2align	8
	.type	_ZN7rocprim6detail18single_scan_kernelILb0ENS0_19wrapped_scan_configINS_14default_configEiEEN6hipcub22TransformInputIteratorIiNS5_6CastOpIiEEPilEEPlNS5_3SumEiiEEvT1_mT4_T2_T3_,@function
_ZN7rocprim6detail18single_scan_kernelILb0ENS0_19wrapped_scan_configINS_14default_configEiEEN6hipcub22TransformInputIteratorIiNS5_6CastOpIiEEPilEEPlNS5_3SumEiiEEvT1_mT4_T2_T3_: ; @_ZN7rocprim6detail18single_scan_kernelILb0ENS0_19wrapped_scan_configINS_14default_configEiEEN6hipcub22TransformInputIteratorIiNS5_6CastOpIiEEPilEEPlNS5_3SumEiiEEvT1_mT4_T2_T3_
; %bb.0:
	s_clause 0x1
	s_load_b64 s[2:3], s[0:1], 0x0
	s_load_b32 s20, s[0:1], 0x10
	s_waitcnt lgkmcnt(0)
	s_load_b32 s4, s[2:3], 0x0
	v_cmp_gt_u32_e32 vcc_lo, s20, v0
	s_waitcnt lgkmcnt(0)
	s_mov_b32 s5, s4
	s_mov_b32 s6, s4
	;; [unrolled: 1-line block ×15, first 2 shown]
	v_lshlrev_b32_e32 v19, 2, v0
	v_dual_mov_b32 v1, s4 :: v_dual_mov_b32 v4, s7
	v_dual_mov_b32 v2, s5 :: v_dual_mov_b32 v3, s6
	v_mov_b32_e32 v6, s9
	s_delay_alu instid0(VALU_DEP_4) | instskip(NEXT) | instid1(VALU_DEP_1)
	v_add_co_u32 v17, s2, s2, v19
	v_add_co_ci_u32_e64 v18, null, s3, 0, s2
	v_dual_mov_b32 v5, s8 :: v_dual_mov_b32 v8, s11
	v_dual_mov_b32 v7, s10 :: v_dual_mov_b32 v10, s13
	;; [unrolled: 1-line block ×6, first 2 shown]
	s_and_saveexec_b32 s2, vcc_lo
	s_cbranch_execz .LBB5_2
; %bb.1:
	global_load_b32 v20, v[17:18], off
	v_dual_mov_b32 v1, s4 :: v_dual_mov_b32 v2, s5
	v_dual_mov_b32 v3, s6 :: v_dual_mov_b32 v4, s7
	;; [unrolled: 1-line block ×8, first 2 shown]
                                        ; kill: def $vgpr1 killed $vgpr20 killed $exec
.LBB5_2:
	s_or_b32 exec_lo, exec_lo, s2
	v_or_b32_e32 v1, 64, v0
	s_delay_alu instid0(VALU_DEP_1) | instskip(NEXT) | instid1(VALU_DEP_1)
	v_cmp_gt_u32_e64 s2, s20, v1
	s_and_saveexec_b32 s3, s2
	s_cbranch_execz .LBB5_4
; %bb.3:
	global_load_b32 v2, v[17:18], off offset:256
.LBB5_4:
	s_or_b32 exec_lo, exec_lo, s3
	v_or_b32_e32 v21, 0x80, v0
	s_delay_alu instid0(VALU_DEP_1) | instskip(NEXT) | instid1(VALU_DEP_1)
	v_cmp_gt_u32_e64 s3, s20, v21
	s_and_saveexec_b32 s4, s3
	s_cbranch_execz .LBB5_6
; %bb.5:
	global_load_b32 v3, v[17:18], off offset:512
.LBB5_6:
	s_or_b32 exec_lo, exec_lo, s4
	v_or_b32_e32 v22, 0xc0, v0
	s_delay_alu instid0(VALU_DEP_1) | instskip(NEXT) | instid1(VALU_DEP_1)
	v_cmp_gt_u32_e64 s4, s20, v22
	s_and_saveexec_b32 s5, s4
	s_cbranch_execz .LBB5_8
; %bb.7:
	global_load_b32 v4, v[17:18], off offset:768
.LBB5_8:
	s_or_b32 exec_lo, exec_lo, s5
	v_or_b32_e32 v23, 0x100, v0
	s_delay_alu instid0(VALU_DEP_1) | instskip(NEXT) | instid1(VALU_DEP_1)
	v_cmp_gt_u32_e64 s5, s20, v23
	s_and_saveexec_b32 s6, s5
	s_cbranch_execz .LBB5_10
; %bb.9:
	global_load_b32 v5, v[17:18], off offset:1024
.LBB5_10:
	s_or_b32 exec_lo, exec_lo, s6
	v_or_b32_e32 v24, 0x140, v0
	s_delay_alu instid0(VALU_DEP_1) | instskip(NEXT) | instid1(VALU_DEP_1)
	v_cmp_gt_u32_e64 s6, s20, v24
	s_and_saveexec_b32 s7, s6
	s_cbranch_execz .LBB5_12
; %bb.11:
	global_load_b32 v6, v[17:18], off offset:1280
.LBB5_12:
	s_or_b32 exec_lo, exec_lo, s7
	v_or_b32_e32 v25, 0x180, v0
	s_delay_alu instid0(VALU_DEP_1) | instskip(NEXT) | instid1(VALU_DEP_1)
	v_cmp_gt_u32_e64 s7, s20, v25
	s_and_saveexec_b32 s8, s7
	s_cbranch_execz .LBB5_14
; %bb.13:
	global_load_b32 v7, v[17:18], off offset:1536
.LBB5_14:
	s_or_b32 exec_lo, exec_lo, s8
	v_or_b32_e32 v26, 0x1c0, v0
	s_delay_alu instid0(VALU_DEP_1) | instskip(NEXT) | instid1(VALU_DEP_1)
	v_cmp_gt_u32_e64 s8, s20, v26
	s_and_saveexec_b32 s9, s8
	s_cbranch_execz .LBB5_16
; %bb.15:
	global_load_b32 v8, v[17:18], off offset:1792
.LBB5_16:
	s_or_b32 exec_lo, exec_lo, s9
	v_or_b32_e32 v27, 0x200, v0
	s_delay_alu instid0(VALU_DEP_1) | instskip(NEXT) | instid1(VALU_DEP_1)
	v_cmp_gt_u32_e64 s9, s20, v27
	s_and_saveexec_b32 s10, s9
	s_cbranch_execz .LBB5_18
; %bb.17:
	global_load_b32 v9, v[17:18], off offset:2048
.LBB5_18:
	s_or_b32 exec_lo, exec_lo, s10
	v_or_b32_e32 v28, 0x240, v0
	s_delay_alu instid0(VALU_DEP_1) | instskip(NEXT) | instid1(VALU_DEP_1)
	v_cmp_gt_u32_e64 s10, s20, v28
	s_and_saveexec_b32 s11, s10
	s_cbranch_execz .LBB5_20
; %bb.19:
	global_load_b32 v10, v[17:18], off offset:2304
.LBB5_20:
	s_or_b32 exec_lo, exec_lo, s11
	v_or_b32_e32 v29, 0x280, v0
	s_delay_alu instid0(VALU_DEP_1) | instskip(NEXT) | instid1(VALU_DEP_1)
	v_cmp_gt_u32_e64 s11, s20, v29
	s_and_saveexec_b32 s12, s11
	s_cbranch_execz .LBB5_22
; %bb.21:
	global_load_b32 v11, v[17:18], off offset:2560
.LBB5_22:
	s_or_b32 exec_lo, exec_lo, s12
	v_or_b32_e32 v30, 0x2c0, v0
	s_delay_alu instid0(VALU_DEP_1) | instskip(NEXT) | instid1(VALU_DEP_1)
	v_cmp_gt_u32_e64 s12, s20, v30
	s_and_saveexec_b32 s13, s12
	s_cbranch_execz .LBB5_24
; %bb.23:
	global_load_b32 v12, v[17:18], off offset:2816
.LBB5_24:
	s_or_b32 exec_lo, exec_lo, s13
	v_or_b32_e32 v31, 0x300, v0
	s_delay_alu instid0(VALU_DEP_1) | instskip(NEXT) | instid1(VALU_DEP_1)
	v_cmp_gt_u32_e64 s13, s20, v31
	s_and_saveexec_b32 s14, s13
	s_cbranch_execz .LBB5_26
; %bb.25:
	global_load_b32 v13, v[17:18], off offset:3072
.LBB5_26:
	s_or_b32 exec_lo, exec_lo, s14
	v_or_b32_e32 v32, 0x340, v0
	s_delay_alu instid0(VALU_DEP_1) | instskip(NEXT) | instid1(VALU_DEP_1)
	v_cmp_gt_u32_e64 s14, s20, v32
	s_and_saveexec_b32 s15, s14
	s_cbranch_execz .LBB5_28
; %bb.27:
	global_load_b32 v14, v[17:18], off offset:3328
.LBB5_28:
	s_or_b32 exec_lo, exec_lo, s15
	v_or_b32_e32 v33, 0x380, v0
	s_delay_alu instid0(VALU_DEP_1) | instskip(NEXT) | instid1(VALU_DEP_1)
	v_cmp_gt_u32_e64 s15, s20, v33
	s_and_saveexec_b32 s16, s15
	s_cbranch_execz .LBB5_30
; %bb.29:
	global_load_b32 v15, v[17:18], off offset:3584
.LBB5_30:
	s_or_b32 exec_lo, exec_lo, s16
	v_or_b32_e32 v34, 0x3c0, v0
	s_delay_alu instid0(VALU_DEP_1) | instskip(NEXT) | instid1(VALU_DEP_1)
	v_cmp_gt_u32_e64 s16, s20, v34
	s_and_saveexec_b32 s17, s16
	s_cbranch_execz .LBB5_32
; %bb.31:
	global_load_b32 v16, v[17:18], off offset:3840
.LBB5_32:
	s_or_b32 exec_lo, exec_lo, s17
	v_lshrrev_b32_e32 v17, 3, v0
	v_lshrrev_b32_e32 v1, 3, v1
	;; [unrolled: 1-line block ×5, first 2 shown]
	v_and_b32_e32 v17, 4, v17
	v_and_b32_e32 v1, 12, v1
	v_lshrrev_b32_e32 v23, 3, v23
	v_and_b32_e32 v18, 28, v18
	s_mov_b32 s18, exec_lo
	v_add_nc_u32_e32 v21, v17, v19
	v_add_nc_u32_e32 v17, v1, v19
	v_and_b32_e32 v1, 28, v22
	v_add_nc_u32_e32 v22, v18, v19
	v_and_b32_e32 v23, 60, v23
	s_waitcnt vmcnt(0)
	ds_store_b32 v21, v20
	ds_store_b32 v17, v2 offset:256
	v_and_b32_e32 v2, 60, v24
	v_add_nc_u32_e32 v20, v1, v19
	v_lshrrev_b32_e32 v1, 3, v25
	ds_store_b32 v22, v3 offset:512
	v_lshrrev_b32_e32 v3, 3, v27
	v_add_nc_u32_e32 v24, v2, v19
	v_lshrrev_b32_e32 v2, 3, v26
	v_and_b32_e32 v1, 60, v1
	v_add_nc_u32_e32 v23, v23, v19
	ds_store_b32 v20, v4 offset:768
	ds_store_b32 v23, v5 offset:1024
	v_add_nc_u32_e32 v25, v1, v19
	v_and_b32_e32 v1, 60, v2
	v_lshrrev_b32_e32 v2, 3, v29
	v_lshrrev_b32_e32 v4, 3, v28
	v_and_b32_e32 v3, 0x7c, v3
	ds_store_b32 v24, v6 offset:1280
	v_add_nc_u32_e32 v26, v1, v19
	v_and_b32_e32 v1, 0x7c, v2
	v_lshrrev_b32_e32 v2, 3, v30
	v_and_b32_e32 v4, 0x7c, v4
	v_add_nc_u32_e32 v27, v3, v19
	v_lshrrev_b32_e32 v3, 3, v32
	v_add_nc_u32_e32 v29, v1, v19
	v_and_b32_e32 v1, 0x7c, v2
	v_lshrrev_b32_e32 v2, 3, v31
	v_add_nc_u32_e32 v28, v4, v19
	v_lshrrev_b32_e32 v4, 3, v33
	v_and_b32_e32 v3, 0x7c, v3
	v_add_nc_u32_e32 v30, v1, v19
	v_and_b32_e32 v1, 0x7c, v2
	v_lshrrev_b32_e32 v2, 3, v34
	v_and_b32_e32 v4, 0x7c, v4
	v_add_nc_u32_e32 v32, v3, v19
	v_lshrrev_b32_e32 v3, 1, v0
	v_add_nc_u32_e32 v31, v1, v19
	v_and_b32_e32 v1, 0x7c, v2
	v_lshlrev_b32_e32 v2, 4, v0
	v_add_nc_u32_e32 v33, v4, v19
	ds_store_b32 v25, v7 offset:1536
	ds_store_b32 v26, v8 offset:1792
	v_add_nc_u32_e32 v19, v1, v19
	v_add_lshl_u32 v18, v3, v2, 2
	ds_store_b32 v27, v9 offset:2048
	ds_store_b32 v28, v10 offset:2304
	;; [unrolled: 1-line block ×8, first 2 shown]
	s_waitcnt lgkmcnt(0)
	s_barrier
	buffer_gl0_inv
	ds_load_2addr_b32 v[9:10], v18 offset1:1
	ds_load_2addr_b32 v[7:8], v18 offset0:2 offset1:3
	ds_load_2addr_b32 v[3:4], v18 offset0:4 offset1:5
	;; [unrolled: 1-line block ×5, first 2 shown]
	s_waitcnt lgkmcnt(5)
	v_add_nc_u32_e32 v5, v10, v9
	s_waitcnt lgkmcnt(4)
	s_delay_alu instid0(VALU_DEP_1) | instskip(SKIP_1) | instid1(VALU_DEP_1)
	v_add3_u32 v5, v5, v7, v8
	s_waitcnt lgkmcnt(3)
	v_add3_u32 v34, v5, v3, v4
	ds_load_2addr_b32 v[15:16], v18 offset0:12 offset1:13
	ds_load_2addr_b32 v[5:6], v18 offset0:14 offset1:15
	s_waitcnt lgkmcnt(0)
	s_barrier
	buffer_gl0_inv
	v_add3_u32 v34, v34, v1, v2
	s_delay_alu instid0(VALU_DEP_1) | instskip(NEXT) | instid1(VALU_DEP_1)
	v_add3_u32 v34, v34, v11, v12
	v_add3_u32 v34, v34, v13, v14
	s_delay_alu instid0(VALU_DEP_1) | instskip(NEXT) | instid1(VALU_DEP_1)
	v_add3_u32 v34, v34, v15, v16
	v_add3_u32 v34, v34, v5, v6
	ds_store_b32 v21, v34
	s_waitcnt lgkmcnt(0)
	s_barrier
	buffer_gl0_inv
	v_cmpx_gt_u32_e32 32, v0
	s_cbranch_execz .LBB5_34
; %bb.33:
	v_lshrrev_b32_e32 v35, 2, v0
	v_mbcnt_lo_u32_b32 v38, -1, 0
	s_delay_alu instid0(VALU_DEP_2) | instskip(NEXT) | instid1(VALU_DEP_2)
	v_and_b32_e32 v35, 12, v35
	v_and_b32_e32 v40, 15, v38
	v_add_nc_u32_e32 v42, -1, v38
	s_delay_alu instid0(VALU_DEP_3) | instskip(NEXT) | instid1(VALU_DEP_3)
	v_lshl_or_b32 v37, v0, 3, v35
	v_cmp_ne_u32_e64 s17, 0, v40
	ds_load_2addr_b32 v[35:36], v37 offset1:1
	s_waitcnt lgkmcnt(0)
	v_add_nc_u32_e32 v39, v36, v35
	s_delay_alu instid0(VALU_DEP_1) | instskip(NEXT) | instid1(VALU_DEP_1)
	v_mov_b32_dpp v41, v39 row_shr:1 row_mask:0xf bank_mask:0xf
	v_cndmask_b32_e64 v41, 0, v41, s17
	v_cmp_lt_u32_e64 s17, 1, v40
	s_delay_alu instid0(VALU_DEP_2) | instskip(NEXT) | instid1(VALU_DEP_1)
	v_add_nc_u32_e32 v39, v41, v39
	v_mov_b32_dpp v41, v39 row_shr:2 row_mask:0xf bank_mask:0xf
	s_delay_alu instid0(VALU_DEP_1) | instskip(SKIP_1) | instid1(VALU_DEP_2)
	v_cndmask_b32_e64 v41, 0, v41, s17
	v_cmp_lt_u32_e64 s17, 3, v40
	v_add_nc_u32_e32 v39, v39, v41
	s_delay_alu instid0(VALU_DEP_1) | instskip(NEXT) | instid1(VALU_DEP_1)
	v_mov_b32_dpp v41, v39 row_shr:4 row_mask:0xf bank_mask:0xf
	v_cndmask_b32_e64 v41, 0, v41, s17
	v_cmp_lt_u32_e64 s17, 7, v40
	s_delay_alu instid0(VALU_DEP_2) | instskip(NEXT) | instid1(VALU_DEP_1)
	v_add_nc_u32_e32 v39, v39, v41
	v_mov_b32_dpp v41, v39 row_shr:8 row_mask:0xf bank_mask:0xf
	s_delay_alu instid0(VALU_DEP_1) | instskip(SKIP_2) | instid1(VALU_DEP_3)
	v_cndmask_b32_e64 v40, 0, v41, s17
	v_bfe_i32 v41, v38, 4, 1
	v_cmp_gt_i32_e64 s17, 0, v42
	v_add_nc_u32_e32 v39, v39, v40
	s_delay_alu instid0(VALU_DEP_2)
	v_cndmask_b32_e64 v38, v42, v38, s17
	v_cmp_eq_u32_e64 s17, 0, v0
	ds_swizzle_b32 v40, v39 offset:swizzle(BROADCAST,32,15)
	v_lshlrev_b32_e32 v38, 2, v38
	s_waitcnt lgkmcnt(0)
	v_and_b32_e32 v40, v41, v40
	s_delay_alu instid0(VALU_DEP_1) | instskip(SKIP_3) | instid1(VALU_DEP_1)
	v_add_nc_u32_e32 v39, v39, v40
	ds_bpermute_b32 v38, v38, v39
	s_waitcnt lgkmcnt(0)
	v_add_nc_u32_e32 v35, v38, v35
	v_cndmask_b32_e64 v34, v35, v34, s17
	s_delay_alu instid0(VALU_DEP_1)
	v_add_nc_u32_e32 v35, v34, v36
	ds_store_2addr_b32 v37, v34, v35 offset1:1
.LBB5_34:
	s_or_b32 exec_lo, exec_lo, s18
	v_mov_b32_e32 v34, 0
	s_mov_b32 s18, exec_lo
	s_waitcnt lgkmcnt(0)
	s_barrier
	buffer_gl0_inv
	v_cmpx_ne_u32_e32 0, v0
	s_cbranch_execz .LBB5_36
; %bb.35:
	v_add_nc_u32_e32 v34, -1, v0
	s_delay_alu instid0(VALU_DEP_1) | instskip(NEXT) | instid1(VALU_DEP_1)
	v_lshrrev_b32_e32 v35, 5, v34
	v_add_lshl_u32 v34, v35, v34, 2
	ds_load_b32 v34, v34
.LBB5_36:
	s_or_b32 exec_lo, exec_lo, s18
	s_waitcnt lgkmcnt(0)
	v_add_nc_u32_e32 v9, v34, v9
	s_barrier
	buffer_gl0_inv
	s_load_b64 s[0:1], s[0:1], 0x20
	v_add_nc_u32_e32 v10, v9, v10
	v_lshlrev_b32_e32 v0, 3, v0
	s_delay_alu instid0(VALU_DEP_2) | instskip(NEXT) | instid1(VALU_DEP_1)
	v_add_nc_u32_e32 v7, v10, v7
	v_add_nc_u32_e32 v8, v7, v8
	s_delay_alu instid0(VALU_DEP_1) | instskip(NEXT) | instid1(VALU_DEP_1)
	v_add_nc_u32_e32 v3, v8, v3
	v_add_nc_u32_e32 v4, v3, v4
	s_delay_alu instid0(VALU_DEP_1) | instskip(NEXT) | instid1(VALU_DEP_1)
	;; [unrolled: 3-line block ×6, first 2 shown]
	v_add_nc_u32_e32 v5, v16, v5
	v_add_nc_u32_e32 v6, v5, v6
	ds_store_2addr_b32 v18, v9, v10 offset1:1
	ds_store_2addr_b32 v18, v7, v8 offset0:2 offset1:3
	ds_store_2addr_b32 v18, v3, v4 offset0:4 offset1:5
	ds_store_2addr_b32 v18, v1, v2 offset0:6 offset1:7
	ds_store_2addr_b32 v18, v11, v12 offset0:8 offset1:9
	ds_store_2addr_b32 v18, v13, v14 offset0:10 offset1:11
	ds_store_2addr_b32 v18, v15, v16 offset0:12 offset1:13
	ds_store_2addr_b32 v18, v5, v6 offset0:14 offset1:15
	s_waitcnt lgkmcnt(0)
	s_barrier
	buffer_gl0_inv
	ds_load_b32 v18, v17 offset:256
	ds_load_b32 v17, v22 offset:512
	;; [unrolled: 1-line block ×15, first 2 shown]
	v_add_co_u32 v3, s0, s0, v0
	s_delay_alu instid0(VALU_DEP_1)
	v_add_co_ci_u32_e64 v4, null, s1, 0, s0
	s_and_saveexec_b32 s0, vcc_lo
	s_cbranch_execnz .LBB5_53
; %bb.37:
	s_or_b32 exec_lo, exec_lo, s0
	s_and_saveexec_b32 s0, s2
	s_cbranch_execnz .LBB5_54
.LBB5_38:
	s_or_b32 exec_lo, exec_lo, s0
	s_and_saveexec_b32 s0, s3
	s_cbranch_execnz .LBB5_55
.LBB5_39:
	s_or_b32 exec_lo, exec_lo, s0
	s_and_saveexec_b32 s0, s4
	s_cbranch_execnz .LBB5_56
.LBB5_40:
	s_or_b32 exec_lo, exec_lo, s0
	s_and_saveexec_b32 s0, s5
	s_cbranch_execnz .LBB5_57
.LBB5_41:
	s_or_b32 exec_lo, exec_lo, s0
	s_and_saveexec_b32 s0, s6
	s_cbranch_execnz .LBB5_58
.LBB5_42:
	s_or_b32 exec_lo, exec_lo, s0
	s_and_saveexec_b32 s0, s7
	s_cbranch_execnz .LBB5_59
.LBB5_43:
	s_or_b32 exec_lo, exec_lo, s0
	s_and_saveexec_b32 s0, s8
	s_cbranch_execnz .LBB5_60
.LBB5_44:
	s_or_b32 exec_lo, exec_lo, s0
	s_and_saveexec_b32 s0, s9
	s_cbranch_execnz .LBB5_61
.LBB5_45:
	s_or_b32 exec_lo, exec_lo, s0
	s_and_saveexec_b32 s0, s10
	s_cbranch_execnz .LBB5_62
.LBB5_46:
	s_or_b32 exec_lo, exec_lo, s0
	s_and_saveexec_b32 s0, s11
	s_cbranch_execnz .LBB5_63
.LBB5_47:
	s_or_b32 exec_lo, exec_lo, s0
	s_and_saveexec_b32 s0, s12
	s_cbranch_execnz .LBB5_64
.LBB5_48:
	s_or_b32 exec_lo, exec_lo, s0
	s_and_saveexec_b32 s0, s13
	s_cbranch_execnz .LBB5_65
.LBB5_49:
	s_or_b32 exec_lo, exec_lo, s0
	s_and_saveexec_b32 s0, s14
	s_cbranch_execnz .LBB5_66
.LBB5_50:
	s_or_b32 exec_lo, exec_lo, s0
	s_and_saveexec_b32 s0, s15
	s_cbranch_execnz .LBB5_67
.LBB5_51:
	s_or_b32 exec_lo, exec_lo, s0
	s_and_saveexec_b32 s0, s16
	s_cbranch_execnz .LBB5_68
.LBB5_52:
	s_nop 0
	s_sendmsg sendmsg(MSG_DEALLOC_VGPRS)
	s_endpgm
.LBB5_53:
	ds_load_b32 v19, v21
	s_waitcnt lgkmcnt(0)
	v_ashrrev_i32_e32 v20, 31, v19
	global_store_b64 v[3:4], v[19:20], off
	s_or_b32 exec_lo, exec_lo, s0
	s_and_saveexec_b32 s0, s2
	s_cbranch_execz .LBB5_38
.LBB5_54:
	s_waitcnt lgkmcnt(14)
	v_ashrrev_i32_e32 v19, 31, v18
	global_store_b64 v[3:4], v[18:19], off offset:512
	s_or_b32 exec_lo, exec_lo, s0
	s_and_saveexec_b32 s0, s3
	s_cbranch_execz .LBB5_39
.LBB5_55:
	s_waitcnt lgkmcnt(13)
	v_ashrrev_i32_e32 v18, 31, v17
	global_store_b64 v[3:4], v[17:18], off offset:1024
	s_or_b32 exec_lo, exec_lo, s0
	s_and_saveexec_b32 s0, s4
	s_cbranch_execz .LBB5_40
.LBB5_56:
	s_waitcnt lgkmcnt(12)
	v_ashrrev_i32_e32 v17, 31, v16
	global_store_b64 v[3:4], v[16:17], off offset:1536
	s_or_b32 exec_lo, exec_lo, s0
	s_and_saveexec_b32 s0, s5
	s_cbranch_execz .LBB5_41
.LBB5_57:
	s_waitcnt lgkmcnt(11)
	v_ashrrev_i32_e32 v16, 31, v15
	global_store_b64 v[3:4], v[15:16], off offset:2048
	s_or_b32 exec_lo, exec_lo, s0
	s_and_saveexec_b32 s0, s6
	s_cbranch_execz .LBB5_42
.LBB5_58:
	s_waitcnt lgkmcnt(10)
	v_ashrrev_i32_e32 v15, 31, v14
	global_store_b64 v[3:4], v[14:15], off offset:2560
	s_or_b32 exec_lo, exec_lo, s0
	s_and_saveexec_b32 s0, s7
	s_cbranch_execz .LBB5_43
.LBB5_59:
	s_waitcnt lgkmcnt(9)
	v_ashrrev_i32_e32 v14, 31, v13
	global_store_b64 v[3:4], v[13:14], off offset:3072
	s_or_b32 exec_lo, exec_lo, s0
	s_and_saveexec_b32 s0, s8
	s_cbranch_execz .LBB5_44
.LBB5_60:
	s_waitcnt lgkmcnt(8)
	v_ashrrev_i32_e32 v13, 31, v12
	global_store_b64 v[3:4], v[12:13], off offset:3584
	s_or_b32 exec_lo, exec_lo, s0
	s_and_saveexec_b32 s0, s9
	s_cbranch_execz .LBB5_45
.LBB5_61:
	s_waitcnt lgkmcnt(9)
	v_add_co_u32 v13, vcc_lo, 0x1000, v3
	s_waitcnt lgkmcnt(7)
	v_ashrrev_i32_e32 v12, 31, v11
	v_add_co_ci_u32_e32 v14, vcc_lo, 0, v4, vcc_lo
	global_store_b64 v[13:14], v[11:12], off
	s_or_b32 exec_lo, exec_lo, s0
	s_and_saveexec_b32 s0, s10
	s_cbranch_execz .LBB5_46
.LBB5_62:
	s_waitcnt lgkmcnt(8)
	v_add_co_u32 v12, vcc_lo, 0x1000, v3
	s_waitcnt lgkmcnt(6)
	v_ashrrev_i32_e32 v11, 31, v10
	v_add_co_ci_u32_e32 v13, vcc_lo, 0, v4, vcc_lo
	global_store_b64 v[12:13], v[10:11], off offset:512
	s_or_b32 exec_lo, exec_lo, s0
	s_and_saveexec_b32 s0, s11
	s_cbranch_execz .LBB5_47
.LBB5_63:
	s_waitcnt lgkmcnt(7)
	v_add_co_u32 v11, vcc_lo, 0x1000, v3
	s_waitcnt lgkmcnt(5)
	v_ashrrev_i32_e32 v10, 31, v9
	v_add_co_ci_u32_e32 v12, vcc_lo, 0, v4, vcc_lo
	global_store_b64 v[11:12], v[9:10], off offset:1024
	s_or_b32 exec_lo, exec_lo, s0
	s_and_saveexec_b32 s0, s12
	s_cbranch_execz .LBB5_48
.LBB5_64:
	s_waitcnt lgkmcnt(6)
	v_add_co_u32 v10, vcc_lo, 0x1000, v3
	s_waitcnt lgkmcnt(4)
	v_ashrrev_i32_e32 v9, 31, v8
	v_add_co_ci_u32_e32 v11, vcc_lo, 0, v4, vcc_lo
	global_store_b64 v[10:11], v[8:9], off offset:1536
	s_or_b32 exec_lo, exec_lo, s0
	s_and_saveexec_b32 s0, s13
	s_cbranch_execz .LBB5_49
.LBB5_65:
	s_waitcnt lgkmcnt(5)
	v_add_co_u32 v9, vcc_lo, 0x1000, v3
	s_waitcnt lgkmcnt(3)
	v_ashrrev_i32_e32 v8, 31, v7
	v_add_co_ci_u32_e32 v10, vcc_lo, 0, v4, vcc_lo
	global_store_b64 v[9:10], v[7:8], off offset:2048
	s_or_b32 exec_lo, exec_lo, s0
	s_and_saveexec_b32 s0, s14
	s_cbranch_execz .LBB5_50
.LBB5_66:
	s_waitcnt lgkmcnt(4)
	v_add_co_u32 v8, vcc_lo, 0x1000, v3
	s_waitcnt lgkmcnt(2)
	v_ashrrev_i32_e32 v7, 31, v6
	v_add_co_ci_u32_e32 v9, vcc_lo, 0, v4, vcc_lo
	global_store_b64 v[8:9], v[6:7], off offset:2560
	s_or_b32 exec_lo, exec_lo, s0
	s_and_saveexec_b32 s0, s15
	s_cbranch_execz .LBB5_51
.LBB5_67:
	s_waitcnt lgkmcnt(3)
	v_add_co_u32 v7, vcc_lo, 0x1000, v3
	s_waitcnt lgkmcnt(1)
	v_ashrrev_i32_e32 v6, 31, v5
	v_add_co_ci_u32_e32 v8, vcc_lo, 0, v4, vcc_lo
	global_store_b64 v[7:8], v[5:6], off offset:3072
	s_or_b32 exec_lo, exec_lo, s0
	s_and_saveexec_b32 s0, s16
	s_cbranch_execz .LBB5_52
.LBB5_68:
	v_add_co_u32 v3, vcc_lo, 0x1000, v3
	s_waitcnt lgkmcnt(0)
	v_ashrrev_i32_e32 v2, 31, v1
	v_add_co_ci_u32_e32 v4, vcc_lo, 0, v4, vcc_lo
	global_store_b64 v[3:4], v[1:2], off offset:3584
	s_nop 0
	s_sendmsg sendmsg(MSG_DEALLOC_VGPRS)
	s_endpgm
	.section	.rodata,"a",@progbits
	.p2align	6, 0x0
	.amdhsa_kernel _ZN7rocprim6detail18single_scan_kernelILb0ENS0_19wrapped_scan_configINS_14default_configEiEEN6hipcub22TransformInputIteratorIiNS5_6CastOpIiEEPilEEPlNS5_3SumEiiEEvT1_mT4_T2_T3_
		.amdhsa_group_segment_fixed_size 4224
		.amdhsa_private_segment_fixed_size 0
		.amdhsa_kernarg_size 44
		.amdhsa_user_sgpr_count 15
		.amdhsa_user_sgpr_dispatch_ptr 0
		.amdhsa_user_sgpr_queue_ptr 0
		.amdhsa_user_sgpr_kernarg_segment_ptr 1
		.amdhsa_user_sgpr_dispatch_id 0
		.amdhsa_user_sgpr_private_segment_size 0
		.amdhsa_wavefront_size32 1
		.amdhsa_uses_dynamic_stack 0
		.amdhsa_enable_private_segment 0
		.amdhsa_system_sgpr_workgroup_id_x 1
		.amdhsa_system_sgpr_workgroup_id_y 0
		.amdhsa_system_sgpr_workgroup_id_z 0
		.amdhsa_system_sgpr_workgroup_info 0
		.amdhsa_system_vgpr_workitem_id 0
		.amdhsa_next_free_vgpr 43
		.amdhsa_next_free_sgpr 21
		.amdhsa_reserve_vcc 1
		.amdhsa_float_round_mode_32 0
		.amdhsa_float_round_mode_16_64 0
		.amdhsa_float_denorm_mode_32 3
		.amdhsa_float_denorm_mode_16_64 3
		.amdhsa_dx10_clamp 1
		.amdhsa_ieee_mode 1
		.amdhsa_fp16_overflow 0
		.amdhsa_workgroup_processor_mode 1
		.amdhsa_memory_ordered 1
		.amdhsa_forward_progress 0
		.amdhsa_shared_vgpr_count 0
		.amdhsa_exception_fp_ieee_invalid_op 0
		.amdhsa_exception_fp_denorm_src 0
		.amdhsa_exception_fp_ieee_div_zero 0
		.amdhsa_exception_fp_ieee_overflow 0
		.amdhsa_exception_fp_ieee_underflow 0
		.amdhsa_exception_fp_ieee_inexact 0
		.amdhsa_exception_int_div_zero 0
	.end_amdhsa_kernel
	.section	.text._ZN7rocprim6detail18single_scan_kernelILb0ENS0_19wrapped_scan_configINS_14default_configEiEEN6hipcub22TransformInputIteratorIiNS5_6CastOpIiEEPilEEPlNS5_3SumEiiEEvT1_mT4_T2_T3_,"axG",@progbits,_ZN7rocprim6detail18single_scan_kernelILb0ENS0_19wrapped_scan_configINS_14default_configEiEEN6hipcub22TransformInputIteratorIiNS5_6CastOpIiEEPilEEPlNS5_3SumEiiEEvT1_mT4_T2_T3_,comdat
.Lfunc_end5:
	.size	_ZN7rocprim6detail18single_scan_kernelILb0ENS0_19wrapped_scan_configINS_14default_configEiEEN6hipcub22TransformInputIteratorIiNS5_6CastOpIiEEPilEEPlNS5_3SumEiiEEvT1_mT4_T2_T3_, .Lfunc_end5-_ZN7rocprim6detail18single_scan_kernelILb0ENS0_19wrapped_scan_configINS_14default_configEiEEN6hipcub22TransformInputIteratorIiNS5_6CastOpIiEEPilEEPlNS5_3SumEiiEEvT1_mT4_T2_T3_
                                        ; -- End function
	.section	.AMDGPU.csdata,"",@progbits
; Kernel info:
; codeLenInByte = 2976
; NumSgprs: 23
; NumVgprs: 43
; ScratchSize: 0
; MemoryBound: 0
; FloatMode: 240
; IeeeMode: 1
; LDSByteSize: 4224 bytes/workgroup (compile time only)
; SGPRBlocks: 2
; VGPRBlocks: 5
; NumSGPRsForWavesPerEU: 23
; NumVGPRsForWavesPerEU: 43
; Occupancy: 16
; WaveLimiterHint : 0
; COMPUTE_PGM_RSRC2:SCRATCH_EN: 0
; COMPUTE_PGM_RSRC2:USER_SGPR: 15
; COMPUTE_PGM_RSRC2:TRAP_HANDLER: 0
; COMPUTE_PGM_RSRC2:TGID_X_EN: 1
; COMPUTE_PGM_RSRC2:TGID_Y_EN: 0
; COMPUTE_PGM_RSRC2:TGID_Z_EN: 0
; COMPUTE_PGM_RSRC2:TIDIG_COMP_CNT: 0
	.section	.text._ZN7rocprim6detail31init_lookback_scan_state_kernelINS0_19lookback_scan_stateI6__halfLb1ELb1EEEEEvT_jjPNS5_10value_typeE,"axG",@progbits,_ZN7rocprim6detail31init_lookback_scan_state_kernelINS0_19lookback_scan_stateI6__halfLb1ELb1EEEEEvT_jjPNS5_10value_typeE,comdat
	.protected	_ZN7rocprim6detail31init_lookback_scan_state_kernelINS0_19lookback_scan_stateI6__halfLb1ELb1EEEEEvT_jjPNS5_10value_typeE ; -- Begin function _ZN7rocprim6detail31init_lookback_scan_state_kernelINS0_19lookback_scan_stateI6__halfLb1ELb1EEEEEvT_jjPNS5_10value_typeE
	.globl	_ZN7rocprim6detail31init_lookback_scan_state_kernelINS0_19lookback_scan_stateI6__halfLb1ELb1EEEEEvT_jjPNS5_10value_typeE
	.p2align	8
	.type	_ZN7rocprim6detail31init_lookback_scan_state_kernelINS0_19lookback_scan_stateI6__halfLb1ELb1EEEEEvT_jjPNS5_10value_typeE,@function
_ZN7rocprim6detail31init_lookback_scan_state_kernelINS0_19lookback_scan_stateI6__halfLb1ELb1EEEEEvT_jjPNS5_10value_typeE: ; @_ZN7rocprim6detail31init_lookback_scan_state_kernelINS0_19lookback_scan_stateI6__halfLb1ELb1EEEEEvT_jjPNS5_10value_typeE
; %bb.0:
	s_clause 0x2
	s_load_b32 s6, s[0:1], 0x24
	s_load_b64 s[4:5], s[0:1], 0x10
	s_load_b128 s[0:3], s[0:1], 0x0
	s_waitcnt lgkmcnt(0)
	s_and_b32 s6, s6, 0xffff
	s_cmp_eq_u64 s[4:5], 0
	v_mad_u64_u32 v[1:2], null, s15, s6, v[0:1]
	s_cbranch_scc1 .LBB6_9
; %bb.1:
	s_cmp_lt_u32 s3, s2
	s_mov_b32 s7, 0
	s_cselect_b32 s6, s3, 0
	s_mov_b32 s8, exec_lo
	s_delay_alu instid0(VALU_DEP_1)
	v_cmpx_eq_u32_e64 s6, v1
	s_cbranch_execz .LBB6_8
; %bb.2:
	s_add_i32 s6, s3, 32
	v_mov_b32_e32 v0, 0
	s_lshl_b64 s[6:7], s[6:7], 2
	s_delay_alu instid0(SALU_CYCLE_1) | instskip(SKIP_4) | instid1(VALU_DEP_1)
	s_add_u32 s6, s0, s6
	s_addc_u32 s7, s1, s7
	global_load_b32 v2, v0, s[6:7] glc
	s_waitcnt vmcnt(0)
	v_and_b32_e32 v3, 0xff0000, v2
	v_cmp_ne_u32_e32 vcc_lo, 0, v3
	s_cbranch_vccnz .LBB6_7
; %bb.3:
	s_mov_b32 s3, 1
.LBB6_4:                                ; =>This Loop Header: Depth=1
                                        ;     Child Loop BB6_5 Depth 2
	s_delay_alu instid0(SALU_CYCLE_1)
	s_max_u32 s9, s3, 1
.LBB6_5:                                ;   Parent Loop BB6_4 Depth=1
                                        ; =>  This Inner Loop Header: Depth=2
	s_delay_alu instid0(SALU_CYCLE_1)
	s_add_i32 s9, s9, -1
	s_sleep 1
	s_cmp_eq_u32 s9, 0
	s_cbranch_scc0 .LBB6_5
; %bb.6:                                ;   in Loop: Header=BB6_4 Depth=1
	global_load_b32 v2, v0, s[6:7] glc
	s_cmp_lt_u32 s3, 32
	s_cselect_b32 s9, -1, 0
	s_delay_alu instid0(SALU_CYCLE_1) | instskip(SKIP_3) | instid1(VALU_DEP_1)
	s_cmp_lg_u32 s9, 0
	s_addc_u32 s3, s3, 0
	s_waitcnt vmcnt(0)
	v_and_b32_e32 v3, 0xff0000, v2
	v_cmp_ne_u32_e32 vcc_lo, 0, v3
	s_cbranch_vccz .LBB6_4
.LBB6_7:
	v_mov_b32_e32 v0, 0
	global_store_b16 v0, v2, s[4:5]
.LBB6_8:
	s_or_b32 exec_lo, exec_lo, s8
.LBB6_9:
	s_delay_alu instid0(VALU_DEP_1)
	v_cmp_gt_u32_e32 vcc_lo, s2, v1
	s_and_saveexec_b32 s2, vcc_lo
	s_cbranch_execz .LBB6_11
; %bb.10:
	v_dual_mov_b32 v3, 0 :: v_dual_add_nc_u32 v2, 32, v1
	s_delay_alu instid0(VALU_DEP_1) | instskip(NEXT) | instid1(VALU_DEP_1)
	v_lshlrev_b64 v[4:5], 2, v[2:3]
	v_add_co_u32 v4, vcc_lo, s0, v4
	s_delay_alu instid0(VALU_DEP_2)
	v_add_co_ci_u32_e32 v5, vcc_lo, s1, v5, vcc_lo
	global_store_b32 v[4:5], v3, off
.LBB6_11:
	s_or_b32 exec_lo, exec_lo, s2
	s_delay_alu instid0(SALU_CYCLE_1)
	s_mov_b32 s2, exec_lo
	v_cmpx_gt_u32_e32 32, v1
	s_cbranch_execz .LBB6_13
; %bb.12:
	v_mov_b32_e32 v2, 0
	s_delay_alu instid0(VALU_DEP_1) | instskip(SKIP_1) | instid1(VALU_DEP_2)
	v_lshlrev_b64 v[0:1], 2, v[1:2]
	v_mov_b32_e32 v2, 0xff0000
	v_add_co_u32 v0, vcc_lo, s0, v0
	s_delay_alu instid0(VALU_DEP_3)
	v_add_co_ci_u32_e32 v1, vcc_lo, s1, v1, vcc_lo
	global_store_b32 v[0:1], v2, off
.LBB6_13:
	s_nop 0
	s_sendmsg sendmsg(MSG_DEALLOC_VGPRS)
	s_endpgm
	.section	.rodata,"a",@progbits
	.p2align	6, 0x0
	.amdhsa_kernel _ZN7rocprim6detail31init_lookback_scan_state_kernelINS0_19lookback_scan_stateI6__halfLb1ELb1EEEEEvT_jjPNS5_10value_typeE
		.amdhsa_group_segment_fixed_size 0
		.amdhsa_private_segment_fixed_size 0
		.amdhsa_kernarg_size 280
		.amdhsa_user_sgpr_count 15
		.amdhsa_user_sgpr_dispatch_ptr 0
		.amdhsa_user_sgpr_queue_ptr 0
		.amdhsa_user_sgpr_kernarg_segment_ptr 1
		.amdhsa_user_sgpr_dispatch_id 0
		.amdhsa_user_sgpr_private_segment_size 0
		.amdhsa_wavefront_size32 1
		.amdhsa_uses_dynamic_stack 0
		.amdhsa_enable_private_segment 0
		.amdhsa_system_sgpr_workgroup_id_x 1
		.amdhsa_system_sgpr_workgroup_id_y 0
		.amdhsa_system_sgpr_workgroup_id_z 0
		.amdhsa_system_sgpr_workgroup_info 0
		.amdhsa_system_vgpr_workitem_id 0
		.amdhsa_next_free_vgpr 6
		.amdhsa_next_free_sgpr 16
		.amdhsa_reserve_vcc 1
		.amdhsa_float_round_mode_32 0
		.amdhsa_float_round_mode_16_64 0
		.amdhsa_float_denorm_mode_32 3
		.amdhsa_float_denorm_mode_16_64 3
		.amdhsa_dx10_clamp 1
		.amdhsa_ieee_mode 1
		.amdhsa_fp16_overflow 0
		.amdhsa_workgroup_processor_mode 1
		.amdhsa_memory_ordered 1
		.amdhsa_forward_progress 0
		.amdhsa_shared_vgpr_count 0
		.amdhsa_exception_fp_ieee_invalid_op 0
		.amdhsa_exception_fp_denorm_src 0
		.amdhsa_exception_fp_ieee_div_zero 0
		.amdhsa_exception_fp_ieee_overflow 0
		.amdhsa_exception_fp_ieee_underflow 0
		.amdhsa_exception_fp_ieee_inexact 0
		.amdhsa_exception_int_div_zero 0
	.end_amdhsa_kernel
	.section	.text._ZN7rocprim6detail31init_lookback_scan_state_kernelINS0_19lookback_scan_stateI6__halfLb1ELb1EEEEEvT_jjPNS5_10value_typeE,"axG",@progbits,_ZN7rocprim6detail31init_lookback_scan_state_kernelINS0_19lookback_scan_stateI6__halfLb1ELb1EEEEEvT_jjPNS5_10value_typeE,comdat
.Lfunc_end6:
	.size	_ZN7rocprim6detail31init_lookback_scan_state_kernelINS0_19lookback_scan_stateI6__halfLb1ELb1EEEEEvT_jjPNS5_10value_typeE, .Lfunc_end6-_ZN7rocprim6detail31init_lookback_scan_state_kernelINS0_19lookback_scan_stateI6__halfLb1ELb1EEEEEvT_jjPNS5_10value_typeE
                                        ; -- End function
	.section	.AMDGPU.csdata,"",@progbits
; Kernel info:
; codeLenInByte = 376
; NumSgprs: 18
; NumVgprs: 6
; ScratchSize: 0
; MemoryBound: 0
; FloatMode: 240
; IeeeMode: 1
; LDSByteSize: 0 bytes/workgroup (compile time only)
; SGPRBlocks: 2
; VGPRBlocks: 0
; NumSGPRsForWavesPerEU: 18
; NumVGPRsForWavesPerEU: 6
; Occupancy: 16
; WaveLimiterHint : 0
; COMPUTE_PGM_RSRC2:SCRATCH_EN: 0
; COMPUTE_PGM_RSRC2:USER_SGPR: 15
; COMPUTE_PGM_RSRC2:TRAP_HANDLER: 0
; COMPUTE_PGM_RSRC2:TGID_X_EN: 1
; COMPUTE_PGM_RSRC2:TGID_Y_EN: 0
; COMPUTE_PGM_RSRC2:TGID_Z_EN: 0
; COMPUTE_PGM_RSRC2:TIDIG_COMP_CNT: 0
	.section	.text._ZN7rocprim6detail31init_lookback_scan_state_kernelINS0_19lookback_scan_stateI6__halfLb0ELb1EEEEEvT_jjPNS5_10value_typeE,"axG",@progbits,_ZN7rocprim6detail31init_lookback_scan_state_kernelINS0_19lookback_scan_stateI6__halfLb0ELb1EEEEEvT_jjPNS5_10value_typeE,comdat
	.protected	_ZN7rocprim6detail31init_lookback_scan_state_kernelINS0_19lookback_scan_stateI6__halfLb0ELb1EEEEEvT_jjPNS5_10value_typeE ; -- Begin function _ZN7rocprim6detail31init_lookback_scan_state_kernelINS0_19lookback_scan_stateI6__halfLb0ELb1EEEEEvT_jjPNS5_10value_typeE
	.globl	_ZN7rocprim6detail31init_lookback_scan_state_kernelINS0_19lookback_scan_stateI6__halfLb0ELb1EEEEEvT_jjPNS5_10value_typeE
	.p2align	8
	.type	_ZN7rocprim6detail31init_lookback_scan_state_kernelINS0_19lookback_scan_stateI6__halfLb0ELb1EEEEEvT_jjPNS5_10value_typeE,@function
_ZN7rocprim6detail31init_lookback_scan_state_kernelINS0_19lookback_scan_stateI6__halfLb0ELb1EEEEEvT_jjPNS5_10value_typeE: ; @_ZN7rocprim6detail31init_lookback_scan_state_kernelINS0_19lookback_scan_stateI6__halfLb0ELb1EEEEEvT_jjPNS5_10value_typeE
; %bb.0:
	s_clause 0x2
	s_load_b32 s6, s[0:1], 0x24
	s_load_b64 s[4:5], s[0:1], 0x10
	s_load_b128 s[0:3], s[0:1], 0x0
	s_waitcnt lgkmcnt(0)
	s_and_b32 s6, s6, 0xffff
	s_cmp_eq_u64 s[4:5], 0
	v_mad_u64_u32 v[1:2], null, s15, s6, v[0:1]
	s_cbranch_scc1 .LBB7_6
; %bb.1:
	s_cmp_lt_u32 s3, s2
	s_mov_b32 s7, 0
	s_cselect_b32 s6, s3, 0
	s_mov_b32 s8, exec_lo
	s_delay_alu instid0(VALU_DEP_1)
	v_cmpx_eq_u32_e64 s6, v1
	s_cbranch_execz .LBB7_5
; %bb.2:
	s_add_i32 s6, s3, 32
	v_mov_b32_e32 v2, 0
	s_lshl_b64 s[6:7], s[6:7], 2
	s_delay_alu instid0(SALU_CYCLE_1) | instskip(SKIP_4) | instid1(VALU_DEP_1)
	s_add_u32 s6, s0, s6
	s_addc_u32 s7, s1, s7
	global_load_b32 v0, v2, s[6:7] glc
	s_waitcnt vmcnt(0)
	v_and_b32_e32 v3, 0xff0000, v0
	v_cmp_ne_u32_e32 vcc_lo, 0, v3
	s_cbranch_vccnz .LBB7_4
.LBB7_3:                                ; =>This Inner Loop Header: Depth=1
	global_load_b32 v0, v2, s[6:7] glc
	s_waitcnt vmcnt(0)
	v_and_b32_e32 v3, 0xff0000, v0
	s_delay_alu instid0(VALU_DEP_1)
	v_cmp_eq_u32_e32 vcc_lo, 0, v3
	s_cbranch_vccnz .LBB7_3
.LBB7_4:
	v_mov_b32_e32 v2, 0
	global_store_b16 v2, v0, s[4:5]
.LBB7_5:
	s_or_b32 exec_lo, exec_lo, s8
.LBB7_6:
	s_delay_alu instid0(VALU_DEP_1)
	v_cmp_gt_u32_e32 vcc_lo, s2, v1
	s_and_saveexec_b32 s2, vcc_lo
	s_cbranch_execz .LBB7_8
; %bb.7:
	v_dual_mov_b32 v3, 0 :: v_dual_add_nc_u32 v2, 32, v1
	s_delay_alu instid0(VALU_DEP_1) | instskip(NEXT) | instid1(VALU_DEP_1)
	v_lshlrev_b64 v[4:5], 2, v[2:3]
	v_add_co_u32 v4, vcc_lo, s0, v4
	s_delay_alu instid0(VALU_DEP_2)
	v_add_co_ci_u32_e32 v5, vcc_lo, s1, v5, vcc_lo
	global_store_b32 v[4:5], v3, off
.LBB7_8:
	s_or_b32 exec_lo, exec_lo, s2
	s_delay_alu instid0(SALU_CYCLE_1)
	s_mov_b32 s2, exec_lo
	v_cmpx_gt_u32_e32 32, v1
	s_cbranch_execz .LBB7_10
; %bb.9:
	v_mov_b32_e32 v2, 0
	s_delay_alu instid0(VALU_DEP_1) | instskip(SKIP_1) | instid1(VALU_DEP_2)
	v_lshlrev_b64 v[0:1], 2, v[1:2]
	v_mov_b32_e32 v2, 0xff0000
	v_add_co_u32 v0, vcc_lo, s0, v0
	s_delay_alu instid0(VALU_DEP_3)
	v_add_co_ci_u32_e32 v1, vcc_lo, s1, v1, vcc_lo
	global_store_b32 v[0:1], v2, off
.LBB7_10:
	s_nop 0
	s_sendmsg sendmsg(MSG_DEALLOC_VGPRS)
	s_endpgm
	.section	.rodata,"a",@progbits
	.p2align	6, 0x0
	.amdhsa_kernel _ZN7rocprim6detail31init_lookback_scan_state_kernelINS0_19lookback_scan_stateI6__halfLb0ELb1EEEEEvT_jjPNS5_10value_typeE
		.amdhsa_group_segment_fixed_size 0
		.amdhsa_private_segment_fixed_size 0
		.amdhsa_kernarg_size 280
		.amdhsa_user_sgpr_count 15
		.amdhsa_user_sgpr_dispatch_ptr 0
		.amdhsa_user_sgpr_queue_ptr 0
		.amdhsa_user_sgpr_kernarg_segment_ptr 1
		.amdhsa_user_sgpr_dispatch_id 0
		.amdhsa_user_sgpr_private_segment_size 0
		.amdhsa_wavefront_size32 1
		.amdhsa_uses_dynamic_stack 0
		.amdhsa_enable_private_segment 0
		.amdhsa_system_sgpr_workgroup_id_x 1
		.amdhsa_system_sgpr_workgroup_id_y 0
		.amdhsa_system_sgpr_workgroup_id_z 0
		.amdhsa_system_sgpr_workgroup_info 0
		.amdhsa_system_vgpr_workitem_id 0
		.amdhsa_next_free_vgpr 6
		.amdhsa_next_free_sgpr 16
		.amdhsa_reserve_vcc 1
		.amdhsa_float_round_mode_32 0
		.amdhsa_float_round_mode_16_64 0
		.amdhsa_float_denorm_mode_32 3
		.amdhsa_float_denorm_mode_16_64 3
		.amdhsa_dx10_clamp 1
		.amdhsa_ieee_mode 1
		.amdhsa_fp16_overflow 0
		.amdhsa_workgroup_processor_mode 1
		.amdhsa_memory_ordered 1
		.amdhsa_forward_progress 0
		.amdhsa_shared_vgpr_count 0
		.amdhsa_exception_fp_ieee_invalid_op 0
		.amdhsa_exception_fp_denorm_src 0
		.amdhsa_exception_fp_ieee_div_zero 0
		.amdhsa_exception_fp_ieee_overflow 0
		.amdhsa_exception_fp_ieee_underflow 0
		.amdhsa_exception_fp_ieee_inexact 0
		.amdhsa_exception_int_div_zero 0
	.end_amdhsa_kernel
	.section	.text._ZN7rocprim6detail31init_lookback_scan_state_kernelINS0_19lookback_scan_stateI6__halfLb0ELb1EEEEEvT_jjPNS5_10value_typeE,"axG",@progbits,_ZN7rocprim6detail31init_lookback_scan_state_kernelINS0_19lookback_scan_stateI6__halfLb0ELb1EEEEEvT_jjPNS5_10value_typeE,comdat
.Lfunc_end7:
	.size	_ZN7rocprim6detail31init_lookback_scan_state_kernelINS0_19lookback_scan_stateI6__halfLb0ELb1EEEEEvT_jjPNS5_10value_typeE, .Lfunc_end7-_ZN7rocprim6detail31init_lookback_scan_state_kernelINS0_19lookback_scan_stateI6__halfLb0ELb1EEEEEvT_jjPNS5_10value_typeE
                                        ; -- End function
	.section	.AMDGPU.csdata,"",@progbits
; Kernel info:
; codeLenInByte = 328
; NumSgprs: 18
; NumVgprs: 6
; ScratchSize: 0
; MemoryBound: 0
; FloatMode: 240
; IeeeMode: 1
; LDSByteSize: 0 bytes/workgroup (compile time only)
; SGPRBlocks: 2
; VGPRBlocks: 0
; NumSGPRsForWavesPerEU: 18
; NumVGPRsForWavesPerEU: 6
; Occupancy: 16
; WaveLimiterHint : 0
; COMPUTE_PGM_RSRC2:SCRATCH_EN: 0
; COMPUTE_PGM_RSRC2:USER_SGPR: 15
; COMPUTE_PGM_RSRC2:TRAP_HANDLER: 0
; COMPUTE_PGM_RSRC2:TGID_X_EN: 1
; COMPUTE_PGM_RSRC2:TGID_Y_EN: 0
; COMPUTE_PGM_RSRC2:TGID_Z_EN: 0
; COMPUTE_PGM_RSRC2:TIDIG_COMP_CNT: 0
	.section	.text._ZN7rocprim6detail20lookback_scan_kernelILNS0_25lookback_scan_determinismE0ELb0ENS0_19wrapped_scan_configINS_14default_configE6__halfEEPS5_S7_N6hipcub3MaxES5_S5_NS0_19lookback_scan_stateIS5_Lb1ELb1EEEEEvT2_T3_mT5_T4_T7_jPT6_SI_bb,"axG",@progbits,_ZN7rocprim6detail20lookback_scan_kernelILNS0_25lookback_scan_determinismE0ELb0ENS0_19wrapped_scan_configINS_14default_configE6__halfEEPS5_S7_N6hipcub3MaxES5_S5_NS0_19lookback_scan_stateIS5_Lb1ELb1EEEEEvT2_T3_mT5_T4_T7_jPT6_SI_bb,comdat
	.protected	_ZN7rocprim6detail20lookback_scan_kernelILNS0_25lookback_scan_determinismE0ELb0ENS0_19wrapped_scan_configINS_14default_configE6__halfEEPS5_S7_N6hipcub3MaxES5_S5_NS0_19lookback_scan_stateIS5_Lb1ELb1EEEEEvT2_T3_mT5_T4_T7_jPT6_SI_bb ; -- Begin function _ZN7rocprim6detail20lookback_scan_kernelILNS0_25lookback_scan_determinismE0ELb0ENS0_19wrapped_scan_configINS_14default_configE6__halfEEPS5_S7_N6hipcub3MaxES5_S5_NS0_19lookback_scan_stateIS5_Lb1ELb1EEEEEvT2_T3_mT5_T4_T7_jPT6_SI_bb
	.globl	_ZN7rocprim6detail20lookback_scan_kernelILNS0_25lookback_scan_determinismE0ELb0ENS0_19wrapped_scan_configINS_14default_configE6__halfEEPS5_S7_N6hipcub3MaxES5_S5_NS0_19lookback_scan_stateIS5_Lb1ELb1EEEEEvT2_T3_mT5_T4_T7_jPT6_SI_bb
	.p2align	8
	.type	_ZN7rocprim6detail20lookback_scan_kernelILNS0_25lookback_scan_determinismE0ELb0ENS0_19wrapped_scan_configINS_14default_configE6__halfEEPS5_S7_N6hipcub3MaxES5_S5_NS0_19lookback_scan_stateIS5_Lb1ELb1EEEEEvT2_T3_mT5_T4_T7_jPT6_SI_bb,@function
_ZN7rocprim6detail20lookback_scan_kernelILNS0_25lookback_scan_determinismE0ELb0ENS0_19wrapped_scan_configINS_14default_configE6__halfEEPS5_S7_N6hipcub3MaxES5_S5_NS0_19lookback_scan_stateIS5_Lb1ELb1EEEEEvT2_T3_mT5_T4_T7_jPT6_SI_bb: ; @_ZN7rocprim6detail20lookback_scan_kernelILNS0_25lookback_scan_determinismE0ELb0ENS0_19wrapped_scan_configINS_14default_configE6__halfEEPS5_S7_N6hipcub3MaxES5_S5_NS0_19lookback_scan_stateIS5_Lb1ELb1EEEEEvT2_T3_mT5_T4_T7_jPT6_SI_bb
; %bb.0:
	s_endpgm
	.section	.rodata,"a",@progbits
	.p2align	6, 0x0
	.amdhsa_kernel _ZN7rocprim6detail20lookback_scan_kernelILNS0_25lookback_scan_determinismE0ELb0ENS0_19wrapped_scan_configINS_14default_configE6__halfEEPS5_S7_N6hipcub3MaxES5_S5_NS0_19lookback_scan_stateIS5_Lb1ELb1EEEEEvT2_T3_mT5_T4_T7_jPT6_SI_bb
		.amdhsa_group_segment_fixed_size 0
		.amdhsa_private_segment_fixed_size 0
		.amdhsa_kernarg_size 68
		.amdhsa_user_sgpr_count 15
		.amdhsa_user_sgpr_dispatch_ptr 0
		.amdhsa_user_sgpr_queue_ptr 0
		.amdhsa_user_sgpr_kernarg_segment_ptr 1
		.amdhsa_user_sgpr_dispatch_id 0
		.amdhsa_user_sgpr_private_segment_size 0
		.amdhsa_wavefront_size32 1
		.amdhsa_uses_dynamic_stack 0
		.amdhsa_enable_private_segment 0
		.amdhsa_system_sgpr_workgroup_id_x 1
		.amdhsa_system_sgpr_workgroup_id_y 0
		.amdhsa_system_sgpr_workgroup_id_z 0
		.amdhsa_system_sgpr_workgroup_info 0
		.amdhsa_system_vgpr_workitem_id 0
		.amdhsa_next_free_vgpr 1
		.amdhsa_next_free_sgpr 1
		.amdhsa_reserve_vcc 0
		.amdhsa_float_round_mode_32 0
		.amdhsa_float_round_mode_16_64 0
		.amdhsa_float_denorm_mode_32 3
		.amdhsa_float_denorm_mode_16_64 3
		.amdhsa_dx10_clamp 1
		.amdhsa_ieee_mode 1
		.amdhsa_fp16_overflow 0
		.amdhsa_workgroup_processor_mode 1
		.amdhsa_memory_ordered 1
		.amdhsa_forward_progress 0
		.amdhsa_shared_vgpr_count 0
		.amdhsa_exception_fp_ieee_invalid_op 0
		.amdhsa_exception_fp_denorm_src 0
		.amdhsa_exception_fp_ieee_div_zero 0
		.amdhsa_exception_fp_ieee_overflow 0
		.amdhsa_exception_fp_ieee_underflow 0
		.amdhsa_exception_fp_ieee_inexact 0
		.amdhsa_exception_int_div_zero 0
	.end_amdhsa_kernel
	.section	.text._ZN7rocprim6detail20lookback_scan_kernelILNS0_25lookback_scan_determinismE0ELb0ENS0_19wrapped_scan_configINS_14default_configE6__halfEEPS5_S7_N6hipcub3MaxES5_S5_NS0_19lookback_scan_stateIS5_Lb1ELb1EEEEEvT2_T3_mT5_T4_T7_jPT6_SI_bb,"axG",@progbits,_ZN7rocprim6detail20lookback_scan_kernelILNS0_25lookback_scan_determinismE0ELb0ENS0_19wrapped_scan_configINS_14default_configE6__halfEEPS5_S7_N6hipcub3MaxES5_S5_NS0_19lookback_scan_stateIS5_Lb1ELb1EEEEEvT2_T3_mT5_T4_T7_jPT6_SI_bb,comdat
.Lfunc_end8:
	.size	_ZN7rocprim6detail20lookback_scan_kernelILNS0_25lookback_scan_determinismE0ELb0ENS0_19wrapped_scan_configINS_14default_configE6__halfEEPS5_S7_N6hipcub3MaxES5_S5_NS0_19lookback_scan_stateIS5_Lb1ELb1EEEEEvT2_T3_mT5_T4_T7_jPT6_SI_bb, .Lfunc_end8-_ZN7rocprim6detail20lookback_scan_kernelILNS0_25lookback_scan_determinismE0ELb0ENS0_19wrapped_scan_configINS_14default_configE6__halfEEPS5_S7_N6hipcub3MaxES5_S5_NS0_19lookback_scan_stateIS5_Lb1ELb1EEEEEvT2_T3_mT5_T4_T7_jPT6_SI_bb
                                        ; -- End function
	.section	.AMDGPU.csdata,"",@progbits
; Kernel info:
; codeLenInByte = 4
; NumSgprs: 0
; NumVgprs: 0
; ScratchSize: 0
; MemoryBound: 0
; FloatMode: 240
; IeeeMode: 1
; LDSByteSize: 0 bytes/workgroup (compile time only)
; SGPRBlocks: 0
; VGPRBlocks: 0
; NumSGPRsForWavesPerEU: 1
; NumVGPRsForWavesPerEU: 1
; Occupancy: 16
; WaveLimiterHint : 0
; COMPUTE_PGM_RSRC2:SCRATCH_EN: 0
; COMPUTE_PGM_RSRC2:USER_SGPR: 15
; COMPUTE_PGM_RSRC2:TRAP_HANDLER: 0
; COMPUTE_PGM_RSRC2:TGID_X_EN: 1
; COMPUTE_PGM_RSRC2:TGID_Y_EN: 0
; COMPUTE_PGM_RSRC2:TGID_Z_EN: 0
; COMPUTE_PGM_RSRC2:TIDIG_COMP_CNT: 0
	.section	.text._ZN7rocprim6detail20lookback_scan_kernelILNS0_25lookback_scan_determinismE0ELb0ENS0_19wrapped_scan_configINS_14default_configE6__halfEEPS5_S7_N6hipcub3MaxES5_S5_NS0_19lookback_scan_stateIS5_Lb0ELb1EEEEEvT2_T3_mT5_T4_T7_jPT6_SI_bb,"axG",@progbits,_ZN7rocprim6detail20lookback_scan_kernelILNS0_25lookback_scan_determinismE0ELb0ENS0_19wrapped_scan_configINS_14default_configE6__halfEEPS5_S7_N6hipcub3MaxES5_S5_NS0_19lookback_scan_stateIS5_Lb0ELb1EEEEEvT2_T3_mT5_T4_T7_jPT6_SI_bb,comdat
	.protected	_ZN7rocprim6detail20lookback_scan_kernelILNS0_25lookback_scan_determinismE0ELb0ENS0_19wrapped_scan_configINS_14default_configE6__halfEEPS5_S7_N6hipcub3MaxES5_S5_NS0_19lookback_scan_stateIS5_Lb0ELb1EEEEEvT2_T3_mT5_T4_T7_jPT6_SI_bb ; -- Begin function _ZN7rocprim6detail20lookback_scan_kernelILNS0_25lookback_scan_determinismE0ELb0ENS0_19wrapped_scan_configINS_14default_configE6__halfEEPS5_S7_N6hipcub3MaxES5_S5_NS0_19lookback_scan_stateIS5_Lb0ELb1EEEEEvT2_T3_mT5_T4_T7_jPT6_SI_bb
	.globl	_ZN7rocprim6detail20lookback_scan_kernelILNS0_25lookback_scan_determinismE0ELb0ENS0_19wrapped_scan_configINS_14default_configE6__halfEEPS5_S7_N6hipcub3MaxES5_S5_NS0_19lookback_scan_stateIS5_Lb0ELb1EEEEEvT2_T3_mT5_T4_T7_jPT6_SI_bb
	.p2align	8
	.type	_ZN7rocprim6detail20lookback_scan_kernelILNS0_25lookback_scan_determinismE0ELb0ENS0_19wrapped_scan_configINS_14default_configE6__halfEEPS5_S7_N6hipcub3MaxES5_S5_NS0_19lookback_scan_stateIS5_Lb0ELb1EEEEEvT2_T3_mT5_T4_T7_jPT6_SI_bb,@function
_ZN7rocprim6detail20lookback_scan_kernelILNS0_25lookback_scan_determinismE0ELb0ENS0_19wrapped_scan_configINS_14default_configE6__halfEEPS5_S7_N6hipcub3MaxES5_S5_NS0_19lookback_scan_stateIS5_Lb0ELb1EEEEEvT2_T3_mT5_T4_T7_jPT6_SI_bb: ; @_ZN7rocprim6detail20lookback_scan_kernelILNS0_25lookback_scan_determinismE0ELb0ENS0_19wrapped_scan_configINS_14default_configE6__halfEEPS5_S7_N6hipcub3MaxES5_S5_NS0_19lookback_scan_stateIS5_Lb0ELb1EEEEEvT2_T3_mT5_T4_T7_jPT6_SI_bb
; %bb.0:
	s_clause 0x2
	s_load_b32 s4, s[0:1], 0x28
	s_load_b64 s[2:3], s[0:1], 0x10
	s_load_b128 s[8:11], s[0:1], 0x0
	s_mov_b32 s5, 0
	v_lshlrev_b32_e32 v15, 1, v0
	s_waitcnt lgkmcnt(0)
	s_add_i32 s4, s4, -1
	s_delay_alu instid0(SALU_CYCLE_1) | instskip(NEXT) | instid1(SALU_CYCLE_1)
	s_mul_i32 s6, s4, 0x580
	s_sub_u32 s14, s2, s6
	s_subb_u32 s18, s3, 0
	s_cmp_lg_u32 s15, s4
	s_mul_i32 s4, s15, 0x580
	s_cselect_b32 s19, -1, 0
	s_lshl_b64 s[12:13], s[4:5], 1
	s_mov_b32 s3, -1
	s_add_u32 s4, s8, s12
	s_addc_u32 s5, s9, s13
	s_and_b32 vcc_lo, exec_lo, s19
	s_cbranch_vccz .LBB9_2
; %bb.1:
	s_clause 0x15
	global_load_u16 v1, v15, s[4:5]
	global_load_u16 v2, v15, s[4:5] offset:128
	global_load_u16 v3, v15, s[4:5] offset:256
	;; [unrolled: 1-line block ×21, first 2 shown]
	s_mov_b32 s3, 0
	s_waitcnt vmcnt(21)
	ds_store_b16 v15, v1
	s_waitcnt vmcnt(20)
	ds_store_b16 v15, v2 offset:128
	s_waitcnt vmcnt(19)
	ds_store_b16 v15, v3 offset:256
	;; [unrolled: 2-line block ×21, first 2 shown]
	s_waitcnt lgkmcnt(0)
	s_barrier
.LBB9_2:
	v_cmp_gt_u32_e64 s2, s14, v0
	s_and_not1_b32 vcc_lo, exec_lo, s3
	s_cbranch_vccnz .LBB9_48
; %bb.3:
	v_mov_b32_e32 v1, 0
	global_load_u16 v3, v1, s[4:5]
	v_add_co_u32 v1, s3, s4, v15
	s_delay_alu instid0(VALU_DEP_1)
	v_add_co_ci_u32_e64 v2, null, s5, 0, s3
	s_waitcnt vmcnt(0)
	v_mov_b32_e32 v4, v3
	s_and_saveexec_b32 s3, s2
	s_cbranch_execz .LBB9_5
; %bb.4:
	global_load_u16 v4, v[1:2], off
.LBB9_5:
	s_or_b32 exec_lo, exec_lo, s3
	v_or_b32_e32 v5, 64, v0
	s_delay_alu instid0(VALU_DEP_1)
	v_cmp_gt_u32_e32 vcc_lo, s14, v5
	v_mov_b32_e32 v5, v3
	s_and_saveexec_b32 s2, vcc_lo
	s_cbranch_execz .LBB9_7
; %bb.6:
	global_load_u16 v5, v[1:2], off offset:128
.LBB9_7:
	s_or_b32 exec_lo, exec_lo, s2
	v_or_b32_e32 v6, 0x80, v0
	s_delay_alu instid0(VALU_DEP_1)
	v_cmp_gt_u32_e32 vcc_lo, s14, v6
	v_mov_b32_e32 v6, v3
	s_and_saveexec_b32 s2, vcc_lo
	s_cbranch_execz .LBB9_9
; %bb.8:
	global_load_u16 v6, v[1:2], off offset:256
.LBB9_9:
	;; [unrolled: 10-line block ×20, first 2 shown]
	s_or_b32 exec_lo, exec_lo, s2
	v_or_b32_e32 v26, 0x540, v0
	s_mov_b32 s2, exec_lo
	s_delay_alu instid0(VALU_DEP_1)
	v_cmpx_gt_u32_e64 s14, v26
	s_cbranch_execz .LBB9_47
; %bb.46:
	global_load_u16 v3, v[1:2], off offset:2688
.LBB9_47:
	s_or_b32 exec_lo, exec_lo, s2
	s_waitcnt vmcnt(0)
	ds_store_b16 v15, v4
	ds_store_b16 v15, v5 offset:128
	ds_store_b16 v15, v6 offset:256
	;; [unrolled: 1-line block ×21, first 2 shown]
	s_waitcnt lgkmcnt(0)
	s_barrier
.LBB9_48:
	v_mul_u32_u24_e32 v16, 22, v0
	buffer_gl0_inv
	s_load_b64 s[16:17], s[0:1], 0x20
	v_lshrrev_b32_e32 v30, 5, v0
	v_cmp_gt_u32_e32 vcc_lo, 32, v0
	v_lshlrev_b32_e32 v17, 1, v16
	s_cmp_lg_u32 s15, 0
	ds_load_2addr_b32 v[9:10], v17 offset1:1
	ds_load_2addr_b32 v[7:8], v17 offset0:2 offset1:3
	ds_load_2addr_b32 v[5:6], v17 offset0:4 offset1:5
	;; [unrolled: 1-line block ×4, first 2 shown]
	ds_load_b32 v18, v17 offset:40
	s_waitcnt lgkmcnt(0)
	s_barrier
	buffer_gl0_inv
	v_lshrrev_b32_e32 v29, 16, v9
	v_lshrrev_b32_e32 v28, 16, v10
	;; [unrolled: 1-line block ×11, first 2 shown]
	s_cbranch_scc0 .LBB9_73
; %bb.49:
	v_cmp_lt_f16_e64 s2, v9, v29
	v_add_lshl_u32 v12, v30, v0, 1
	s_delay_alu instid0(VALU_DEP_2) | instskip(NEXT) | instid1(VALU_DEP_1)
	v_cndmask_b32_e64 v11, v9, v29, s2
	v_cmp_lt_f16_e64 s2, v11, v10
	s_delay_alu instid0(VALU_DEP_1) | instskip(NEXT) | instid1(VALU_DEP_1)
	v_cndmask_b32_e64 v11, v11, v10, s2
	v_cmp_lt_f16_e64 s2, v11, v28
	s_delay_alu instid0(VALU_DEP_1) | instskip(NEXT) | instid1(VALU_DEP_1)
	v_cndmask_b32_e64 v11, v11, v28, s2
	v_cmp_lt_f16_e64 s2, v11, v7
	s_delay_alu instid0(VALU_DEP_1) | instskip(NEXT) | instid1(VALU_DEP_1)
	v_cndmask_b32_e64 v11, v11, v7, s2
	v_cmp_lt_f16_e64 s2, v11, v27
	s_delay_alu instid0(VALU_DEP_1) | instskip(NEXT) | instid1(VALU_DEP_1)
	v_cndmask_b32_e64 v11, v11, v27, s2
	v_cmp_lt_f16_e64 s2, v11, v8
	s_delay_alu instid0(VALU_DEP_1) | instskip(NEXT) | instid1(VALU_DEP_1)
	v_cndmask_b32_e64 v11, v11, v8, s2
	v_cmp_lt_f16_e64 s2, v11, v26
	s_delay_alu instid0(VALU_DEP_1) | instskip(NEXT) | instid1(VALU_DEP_1)
	v_cndmask_b32_e64 v11, v11, v26, s2
	v_cmp_lt_f16_e64 s2, v11, v5
	s_delay_alu instid0(VALU_DEP_1) | instskip(NEXT) | instid1(VALU_DEP_1)
	v_cndmask_b32_e64 v11, v11, v5, s2
	v_cmp_lt_f16_e64 s2, v11, v25
	s_delay_alu instid0(VALU_DEP_1) | instskip(NEXT) | instid1(VALU_DEP_1)
	v_cndmask_b32_e64 v11, v11, v25, s2
	v_cmp_lt_f16_e64 s2, v11, v6
	s_delay_alu instid0(VALU_DEP_1) | instskip(NEXT) | instid1(VALU_DEP_1)
	v_cndmask_b32_e64 v11, v11, v6, s2
	v_cmp_lt_f16_e64 s2, v11, v24
	s_delay_alu instid0(VALU_DEP_1) | instskip(NEXT) | instid1(VALU_DEP_1)
	v_cndmask_b32_e64 v11, v11, v24, s2
	v_cmp_lt_f16_e64 s2, v11, v3
	s_delay_alu instid0(VALU_DEP_1) | instskip(NEXT) | instid1(VALU_DEP_1)
	v_cndmask_b32_e64 v11, v11, v3, s2
	v_cmp_lt_f16_e64 s2, v11, v23
	s_delay_alu instid0(VALU_DEP_1) | instskip(NEXT) | instid1(VALU_DEP_1)
	v_cndmask_b32_e64 v11, v11, v23, s2
	v_cmp_lt_f16_e64 s2, v11, v4
	s_delay_alu instid0(VALU_DEP_1) | instskip(NEXT) | instid1(VALU_DEP_1)
	v_cndmask_b32_e64 v11, v11, v4, s2
	v_cmp_lt_f16_e64 s2, v11, v22
	s_delay_alu instid0(VALU_DEP_1) | instskip(NEXT) | instid1(VALU_DEP_1)
	v_cndmask_b32_e64 v11, v11, v22, s2
	v_cmp_lt_f16_e64 s2, v11, v1
	s_delay_alu instid0(VALU_DEP_1) | instskip(NEXT) | instid1(VALU_DEP_1)
	v_cndmask_b32_e64 v11, v11, v1, s2
	v_cmp_lt_f16_e64 s2, v11, v21
	s_delay_alu instid0(VALU_DEP_1) | instskip(NEXT) | instid1(VALU_DEP_1)
	v_cndmask_b32_e64 v11, v11, v21, s2
	v_cmp_lt_f16_e64 s2, v11, v2
	s_delay_alu instid0(VALU_DEP_1) | instskip(NEXT) | instid1(VALU_DEP_1)
	v_cndmask_b32_e64 v11, v11, v2, s2
	v_cmp_lt_f16_e64 s2, v11, v20
	s_delay_alu instid0(VALU_DEP_1) | instskip(NEXT) | instid1(VALU_DEP_1)
	v_cndmask_b32_e64 v11, v11, v20, s2
	v_cmp_lt_f16_e64 s2, v11, v18
	s_delay_alu instid0(VALU_DEP_1) | instskip(NEXT) | instid1(VALU_DEP_1)
	v_cndmask_b32_e64 v11, v11, v18, s2
	v_cmp_lt_f16_e64 s2, v11, v19
	s_delay_alu instid0(VALU_DEP_1)
	v_cndmask_b32_e64 v31, v11, v19, s2
	ds_store_b16 v12, v31
	s_waitcnt lgkmcnt(0)
	s_barrier
	buffer_gl0_inv
	s_and_saveexec_b32 s5, vcc_lo
	s_cbranch_execz .LBB9_51
; %bb.50:
	v_lshrrev_b32_e32 v11, 3, v0
	v_mbcnt_lo_u32_b32 v32, -1, 0
	s_delay_alu instid0(VALU_DEP_2) | instskip(NEXT) | instid1(VALU_DEP_2)
	v_and_b32_e32 v11, 6, v11
	v_and_b32_e32 v34, 15, v32
	v_add_nc_u32_e32 v35, -1, v32
	s_delay_alu instid0(VALU_DEP_3)
	v_lshl_or_b32 v11, v0, 2, v11
	ds_load_u16 v12, v11
	ds_load_u16 v13, v11 offset:2
	v_cmp_gt_i32_e64 s4, 0, v35
	s_waitcnt lgkmcnt(0)
	v_cmp_lt_f16_e64 s2, v12, v13
	s_delay_alu instid0(VALU_DEP_1) | instskip(SKIP_1) | instid1(VALU_DEP_2)
	v_cndmask_b32_e64 v14, v12, v13, s2
	v_cmp_eq_u32_e64 s2, 0, v34
	v_and_b32_e32 v33, 0xffff, v14
	s_delay_alu instid0(VALU_DEP_1) | instskip(NEXT) | instid1(VALU_DEP_1)
	v_mov_b32_dpp v33, v33 row_shr:1 row_mask:0xf bank_mask:0xf
	v_cmp_gt_f16_e64 s3, v14, v33
	s_delay_alu instid0(VALU_DEP_1) | instskip(NEXT) | instid1(SALU_CYCLE_1)
	s_or_b32 s2, s2, s3
	v_cndmask_b32_e64 v14, v33, v14, s2
	s_delay_alu instid0(VALU_DEP_1) | instskip(NEXT) | instid1(VALU_DEP_1)
	v_and_b32_e32 v33, 0xffff, v14
	v_mov_b32_dpp v33, v33 row_shr:2 row_mask:0xf bank_mask:0xf
	s_delay_alu instid0(VALU_DEP_1) | instskip(NEXT) | instid1(VALU_DEP_1)
	v_cmp_gt_f16_e64 s2, v14, v33
	v_cndmask_b32_e64 v33, v33, v14, s2
	v_cmp_lt_u32_e64 s2, 1, v34
	s_delay_alu instid0(VALU_DEP_1) | instskip(NEXT) | instid1(VALU_DEP_1)
	v_cndmask_b32_e64 v14, v14, v33, s2
	v_and_b32_e32 v33, 0xffff, v14
	s_delay_alu instid0(VALU_DEP_1) | instskip(NEXT) | instid1(VALU_DEP_1)
	v_mov_b32_dpp v33, v33 row_shr:4 row_mask:0xf bank_mask:0xf
	v_cmp_gt_f16_e64 s2, v14, v33
	s_delay_alu instid0(VALU_DEP_1) | instskip(SKIP_1) | instid1(VALU_DEP_1)
	v_cndmask_b32_e64 v33, v33, v14, s2
	v_cmp_lt_u32_e64 s2, 3, v34
	v_cndmask_b32_e64 v14, v14, v33, s2
	s_delay_alu instid0(VALU_DEP_1) | instskip(NEXT) | instid1(VALU_DEP_1)
	v_and_b32_e32 v33, 0xffff, v14
	v_mov_b32_dpp v33, v33 row_shr:8 row_mask:0xf bank_mask:0xf
	s_delay_alu instid0(VALU_DEP_1) | instskip(NEXT) | instid1(VALU_DEP_1)
	v_cmp_gt_f16_e64 s2, v14, v33
	v_cndmask_b32_e64 v33, v33, v14, s2
	v_cmp_lt_u32_e64 s2, 7, v34
	v_and_b32_e32 v34, 16, v32
	v_cndmask_b32_e64 v32, v35, v32, s4
	s_delay_alu instid0(VALU_DEP_3) | instskip(NEXT) | instid1(VALU_DEP_3)
	v_cndmask_b32_e64 v14, v14, v33, s2
	v_cmp_eq_u32_e64 s2, 0, v34
	s_delay_alu instid0(VALU_DEP_3) | instskip(NEXT) | instid1(VALU_DEP_3)
	v_lshlrev_b32_e32 v32, 2, v32
	v_and_b32_e32 v33, 0xffff, v14
	ds_swizzle_b32 v33, v33 offset:swizzle(BROADCAST,32,15)
	s_waitcnt lgkmcnt(0)
	v_cmp_gt_f16_e64 s3, v14, v33
	s_delay_alu instid0(VALU_DEP_1) | instskip(NEXT) | instid1(SALU_CYCLE_1)
	s_or_b32 s2, s2, s3
	v_cndmask_b32_e64 v14, v33, v14, s2
	s_delay_alu instid0(VALU_DEP_1) | instskip(SKIP_3) | instid1(VALU_DEP_1)
	v_and_b32_e32 v14, 0xffff, v14
	ds_bpermute_b32 v14, v32, v14
	s_waitcnt lgkmcnt(0)
	v_cmp_gt_f16_e64 s2, v12, v14
	v_cndmask_b32_e64 v12, v14, v12, s2
	v_cmp_eq_u32_e64 s2, 0, v0
	s_delay_alu instid0(VALU_DEP_1) | instskip(NEXT) | instid1(VALU_DEP_1)
	v_cndmask_b32_e64 v12, v12, v31, s2
	v_cmp_gt_f16_e64 s2, v13, v12
	s_delay_alu instid0(VALU_DEP_1)
	v_cndmask_b32_e64 v13, v12, v13, s2
	ds_store_b16 v11, v12
	ds_store_b16 v11, v13 offset:2
.LBB9_51:
	s_or_b32 exec_lo, exec_lo, s5
	v_cmp_eq_u32_e64 s2, 0, v0
	s_mov_b32 s4, exec_lo
	s_waitcnt lgkmcnt(0)
	s_barrier
	buffer_gl0_inv
	v_cmpx_ne_u32_e32 0, v0
	s_cbranch_execz .LBB9_53
; %bb.52:
	v_add_nc_u32_e32 v11, -1, v0
	s_delay_alu instid0(VALU_DEP_1) | instskip(NEXT) | instid1(VALU_DEP_1)
	v_lshrrev_b32_e32 v12, 5, v11
	v_add_lshl_u32 v11, v12, v11, 1
	ds_load_u16 v31, v11
.LBB9_53:
	s_or_b32 exec_lo, exec_lo, s4
	s_and_saveexec_b32 s20, vcc_lo
	s_cbranch_execz .LBB9_72
; %bb.54:
	v_mov_b32_e32 v13, 0
	v_mbcnt_lo_u32_b32 v14, -1, 0
	s_mov_b32 s5, 0
	ds_load_u16 v32, v13 offset:128
	v_cmp_eq_u32_e64 s3, 0, v14
	s_delay_alu instid0(VALU_DEP_1)
	s_and_saveexec_b32 s6, s3
	s_cbranch_execz .LBB9_56
; %bb.55:
	s_waitcnt lgkmcnt(0)
	v_and_b32_e32 v11, 0xffff, v32
	s_add_i32 s4, s15, 32
	s_delay_alu instid0(SALU_CYCLE_1) | instskip(NEXT) | instid1(SALU_CYCLE_1)
	s_lshl_b64 s[4:5], s[4:5], 2
	s_add_u32 s4, s16, s4
	s_delay_alu instid0(VALU_DEP_1)
	v_or_b32_e32 v11, 0x10000, v11
	s_addc_u32 s5, s17, s5
	global_store_b32 v13, v11, s[4:5]
.LBB9_56:
	s_or_b32 exec_lo, exec_lo, s6
	v_xad_u32 v11, v14, -1, s15
	s_mov_b32 s4, exec_lo
	s_delay_alu instid0(VALU_DEP_1) | instskip(NEXT) | instid1(VALU_DEP_1)
	v_add_nc_u32_e32 v12, 32, v11
	v_lshlrev_b64 v[12:13], 2, v[12:13]
	s_delay_alu instid0(VALU_DEP_1) | instskip(NEXT) | instid1(VALU_DEP_2)
	v_add_co_u32 v12, vcc_lo, s16, v12
	v_add_co_ci_u32_e32 v13, vcc_lo, s17, v13, vcc_lo
	global_load_b32 v43, v[12:13], off glc
	s_waitcnt vmcnt(0)
	v_lshrrev_b32_e32 v33, 16, v43
	s_delay_alu instid0(VALU_DEP_1) | instskip(NEXT) | instid1(VALU_DEP_1)
	v_and_b32_e32 v34, 0xff, v33
	v_cmpx_eq_u16_e32 0, v34
	s_cbranch_execz .LBB9_60
; %bb.57:
	s_mov_b32 s5, 0
.LBB9_58:                               ; =>This Inner Loop Header: Depth=1
	global_load_b32 v43, v[12:13], off glc
	s_waitcnt vmcnt(0)
	v_lshrrev_b32_e32 v33, 16, v43
	s_delay_alu instid0(VALU_DEP_1) | instskip(NEXT) | instid1(VALU_DEP_1)
	v_and_b32_e32 v34, 0xff, v33
	v_cmp_ne_u16_e32 vcc_lo, 0, v34
	s_or_b32 s5, vcc_lo, s5
	s_delay_alu instid0(SALU_CYCLE_1)
	s_and_not1_b32 exec_lo, exec_lo, s5
	s_cbranch_execnz .LBB9_58
; %bb.59:
	s_or_b32 exec_lo, exec_lo, s5
.LBB9_60:
	s_delay_alu instid0(SALU_CYCLE_1)
	s_or_b32 exec_lo, exec_lo, s4
	v_cmp_ne_u32_e32 vcc_lo, 31, v14
	v_and_b32_e32 v13, 0xffff, v43
	v_and_b32_e32 v36, 0xff, v33
	v_lshlrev_b32_e64 v35, v14, -1
	v_cmp_gt_u32_e64 s4, 30, v14
	v_add_co_ci_u32_e32 v12, vcc_lo, 0, v14, vcc_lo
	s_delay_alu instid0(VALU_DEP_4) | instskip(SKIP_1) | instid1(VALU_DEP_4)
	v_cmp_eq_u16_e32 vcc_lo, 2, v36
	v_add_nc_u32_e32 v36, 1, v14
	v_cndmask_b32_e64 v37, 0, 1, s4
	s_delay_alu instid0(VALU_DEP_4)
	v_lshlrev_b32_e32 v34, 2, v12
	v_cmp_gt_u32_e64 s4, 28, v14
	v_and_or_b32 v38, vcc_lo, v35, 0x80000000
	v_cmp_gt_u32_e64 s5, 24, v14
	v_cmp_gt_u32_e64 s6, 16, v14
	ds_bpermute_b32 v12, v34, v13
	v_cndmask_b32_e64 v39, 0, 1, s4
	v_ctz_i32_b32_e32 v46, v38
	v_lshlrev_b32_e32 v37, 1, v37
	s_delay_alu instid0(VALU_DEP_3) | instskip(NEXT) | instid1(VALU_DEP_2)
	v_lshlrev_b32_e32 v39, 2, v39
	v_add_lshl_u32 v37, v37, v14, 2
	s_delay_alu instid0(VALU_DEP_2) | instskip(SKIP_4) | instid1(VALU_DEP_2)
	v_add_lshl_u32 v39, v39, v14, 2
	s_waitcnt lgkmcnt(0)
	v_cmp_gt_f16_e32 vcc_lo, v43, v12
	v_cndmask_b32_e32 v12, v12, v43, vcc_lo
	v_cmp_le_u32_e32 vcc_lo, v36, v46
	v_and_b32_e32 v38, 0xffff, v12
	s_delay_alu instid0(VALU_DEP_1) | instskip(SKIP_3) | instid1(VALU_DEP_1)
	v_dual_cndmask_b32 v12, v43, v12 :: v_dual_cndmask_b32 v13, v13, v38
	ds_bpermute_b32 v38, v37, v13
	s_waitcnt lgkmcnt(0)
	v_cmp_gt_f16_e64 s4, v12, v38
	v_cndmask_b32_e64 v40, v38, v12, s4
	v_add_nc_u32_e32 v38, 2, v14
	s_delay_alu instid0(VALU_DEP_2) | instskip(NEXT) | instid1(VALU_DEP_2)
	v_and_b32_e32 v41, 0xffff, v40
	v_cmp_le_u32_e64 s4, v38, v46
	s_delay_alu instid0(VALU_DEP_1)
	v_cndmask_b32_e64 v13, v13, v41, s4
	v_cndmask_b32_e64 v12, v12, v40, s4
	;; [unrolled: 1-line block ×3, first 2 shown]
	ds_bpermute_b32 v41, v39, v13
	s_waitcnt lgkmcnt(0)
	v_cmp_gt_f16_e64 s5, v12, v41
	s_delay_alu instid0(VALU_DEP_1) | instskip(SKIP_2) | instid1(VALU_DEP_3)
	v_cndmask_b32_e64 v42, v41, v12, s5
	v_lshlrev_b32_e32 v41, 3, v40
	v_add_nc_u32_e32 v40, 4, v14
	v_and_b32_e32 v44, 0xffff, v42
	s_delay_alu instid0(VALU_DEP_3) | instskip(NEXT) | instid1(VALU_DEP_3)
	v_add_lshl_u32 v41, v41, v14, 2
	v_cmp_le_u32_e64 s5, v40, v46
	s_delay_alu instid0(VALU_DEP_1)
	v_cndmask_b32_e64 v13, v13, v44, s5
	v_cndmask_b32_e64 v12, v12, v42, s5
	;; [unrolled: 1-line block ×3, first 2 shown]
	ds_bpermute_b32 v44, v41, v13
	s_waitcnt lgkmcnt(0)
	v_cmp_gt_f16_e64 s6, v12, v44
	s_delay_alu instid0(VALU_DEP_1) | instskip(SKIP_2) | instid1(VALU_DEP_3)
	v_cndmask_b32_e64 v47, v44, v12, s6
	v_lshlrev_b32_e32 v44, 4, v42
	v_add_nc_u32_e32 v42, 8, v14
	v_and_b32_e32 v45, 0xffff, v47
	s_delay_alu instid0(VALU_DEP_3) | instskip(NEXT) | instid1(VALU_DEP_3)
	v_add_lshl_u32 v44, v44, v14, 2
	v_cmp_le_u32_e64 s6, v42, v46
	s_delay_alu instid0(VALU_DEP_1)
	v_cndmask_b32_e64 v13, v13, v45, s6
	v_add_nc_u32_e32 v45, 16, v14
	v_cndmask_b32_e64 v12, v12, v47, s6
	ds_bpermute_b32 v13, v44, v13
	v_cmp_le_u32_e64 s7, v45, v46
	v_cmp_gt_u32_e64 s8, v45, v46
	s_delay_alu instid0(VALU_DEP_2) | instskip(NEXT) | instid1(SALU_CYCLE_1)
	s_or_b32 s4, s4, s7
	s_or_b32 s4, vcc_lo, s4
	s_delay_alu instid0(SALU_CYCLE_1) | instskip(SKIP_2) | instid1(VALU_DEP_1)
	s_or_b32 s4, s5, s4
	s_waitcnt lgkmcnt(0)
	v_cmp_gt_f16_e64 s9, v12, v13
	s_or_b32 vcc_lo, s8, s9
	v_cndmask_b32_e32 v12, v13, v12, vcc_lo
	s_or_b32 vcc_lo, s6, s4
	s_delay_alu instid0(VALU_DEP_1)
	v_dual_cndmask_b32 v13, v43, v12 :: v_dual_mov_b32 v12, 0
	s_branch .LBB9_62
.LBB9_61:                               ;   in Loop: Header=BB9_62 Depth=1
	s_or_b32 exec_lo, exec_lo, s4
	v_and_b32_e32 v13, 0xffff, v46
	v_subrev_nc_u32_e32 v11, 32, v11
	ds_bpermute_b32 v14, v34, v13
	v_and_b32_e32 v47, 0xff, v33
	s_delay_alu instid0(VALU_DEP_1) | instskip(SKIP_1) | instid1(VALU_DEP_1)
	v_cmp_eq_u16_e32 vcc_lo, 2, v47
	v_and_or_b32 v47, vcc_lo, v35, 0x80000000
	v_ctz_i32_b32_e32 v47, v47
	s_waitcnt lgkmcnt(0)
	v_cmp_gt_f16_e32 vcc_lo, v46, v14
	s_delay_alu instid0(VALU_DEP_2) | instskip(SKIP_3) | instid1(VALU_DEP_2)
	v_cmp_le_u32_e64 s7, v45, v47
	v_cmp_gt_u32_e64 s8, v45, v47
	v_cndmask_b32_e32 v14, v14, v46, vcc_lo
	v_cmp_le_u32_e32 vcc_lo, v36, v47
	v_and_b32_e32 v48, 0xffff, v14
	s_delay_alu instid0(VALU_DEP_1) | instskip(SKIP_3) | instid1(VALU_DEP_1)
	v_dual_cndmask_b32 v14, v46, v14 :: v_dual_cndmask_b32 v13, v13, v48
	ds_bpermute_b32 v48, v37, v13
	s_waitcnt lgkmcnt(0)
	v_cmp_gt_f16_e64 s4, v14, v48
	v_cndmask_b32_e64 v48, v48, v14, s4
	v_cmp_le_u32_e64 s4, v38, v47
	s_delay_alu instid0(VALU_DEP_2) | instskip(NEXT) | instid1(VALU_DEP_2)
	v_and_b32_e32 v49, 0xffff, v48
	v_cndmask_b32_e64 v14, v14, v48, s4
	s_delay_alu instid0(VALU_DEP_2) | instskip(SKIP_1) | instid1(SALU_CYCLE_1)
	v_cndmask_b32_e64 v13, v13, v49, s4
	s_or_b32 s4, s4, s7
	s_or_b32 s4, vcc_lo, s4
	ds_bpermute_b32 v49, v39, v13
	s_waitcnt lgkmcnt(0)
	v_cmp_gt_f16_e64 s5, v14, v49
	s_delay_alu instid0(VALU_DEP_1) | instskip(SKIP_1) | instid1(VALU_DEP_2)
	v_cndmask_b32_e64 v48, v49, v14, s5
	v_cmp_le_u32_e64 s5, v40, v47
	v_and_b32_e32 v49, 0xffff, v48
	s_delay_alu instid0(VALU_DEP_2) | instskip(SKIP_1) | instid1(VALU_DEP_2)
	v_cndmask_b32_e64 v14, v14, v48, s5
	s_or_b32 s4, s5, s4
	v_cndmask_b32_e64 v13, v13, v49, s5
	ds_bpermute_b32 v49, v41, v13
	s_waitcnt lgkmcnt(0)
	v_cmp_gt_f16_e64 s6, v14, v49
	s_delay_alu instid0(VALU_DEP_1) | instskip(SKIP_1) | instid1(VALU_DEP_2)
	v_cndmask_b32_e64 v48, v49, v14, s6
	v_cmp_le_u32_e64 s6, v42, v47
	v_and_b32_e32 v49, 0xffff, v48
	s_delay_alu instid0(VALU_DEP_2) | instskip(NEXT) | instid1(VALU_DEP_2)
	v_cndmask_b32_e64 v14, v14, v48, s6
	v_cndmask_b32_e64 v13, v13, v49, s6
	ds_bpermute_b32 v13, v44, v13
	s_waitcnt lgkmcnt(0)
	v_cmp_gt_f16_e64 s9, v14, v13
	s_delay_alu instid0(VALU_DEP_1) | instskip(SKIP_2) | instid1(VALU_DEP_1)
	s_or_b32 vcc_lo, s8, s9
	v_cndmask_b32_e32 v13, v13, v14, vcc_lo
	s_or_b32 vcc_lo, s6, s4
	v_cndmask_b32_e32 v13, v46, v13, vcc_lo
	s_delay_alu instid0(VALU_DEP_1)
	v_cmp_lt_f16_e32 vcc_lo, v13, v43
	v_cndmask_b32_e32 v13, v13, v43, vcc_lo
.LBB9_62:                               ; =>This Loop Header: Depth=1
                                        ;     Child Loop BB9_65 Depth 2
	s_delay_alu instid0(VALU_DEP_1) | instskip(NEXT) | instid1(VALU_DEP_1)
	v_dual_mov_b32 v43, v13 :: v_dual_and_b32 v14, 0xff, v33
	v_cmp_ne_u16_e32 vcc_lo, 2, v14
	v_cndmask_b32_e64 v14, 0, 1, vcc_lo
	;;#ASMSTART
	;;#ASMEND
	s_delay_alu instid0(VALU_DEP_1)
	v_cmp_ne_u32_e32 vcc_lo, 0, v14
	s_cmp_lg_u32 vcc_lo, exec_lo
	s_cbranch_scc1 .LBB9_67
; %bb.63:                               ;   in Loop: Header=BB9_62 Depth=1
	v_lshlrev_b64 v[13:14], 2, v[11:12]
	s_mov_b32 s4, exec_lo
	s_delay_alu instid0(VALU_DEP_1) | instskip(NEXT) | instid1(VALU_DEP_2)
	v_add_co_u32 v13, vcc_lo, s16, v13
	v_add_co_ci_u32_e32 v14, vcc_lo, s17, v14, vcc_lo
	global_load_b32 v46, v[13:14], off glc
	s_waitcnt vmcnt(0)
	v_lshrrev_b32_e32 v33, 16, v46
	s_delay_alu instid0(VALU_DEP_1) | instskip(NEXT) | instid1(VALU_DEP_1)
	v_and_b32_e32 v47, 0xff, v33
	v_cmpx_eq_u16_e32 0, v47
	s_cbranch_execz .LBB9_61
; %bb.64:                               ;   in Loop: Header=BB9_62 Depth=1
	s_mov_b32 s5, 0
.LBB9_65:                               ;   Parent Loop BB9_62 Depth=1
                                        ; =>  This Inner Loop Header: Depth=2
	global_load_b32 v46, v[13:14], off glc
	s_waitcnt vmcnt(0)
	v_lshrrev_b32_e32 v33, 16, v46
	s_delay_alu instid0(VALU_DEP_1) | instskip(NEXT) | instid1(VALU_DEP_1)
	v_and_b32_e32 v47, 0xff, v33
	v_cmp_ne_u16_e32 vcc_lo, 0, v47
	s_or_b32 s5, vcc_lo, s5
	s_delay_alu instid0(SALU_CYCLE_1)
	s_and_not1_b32 exec_lo, exec_lo, s5
	s_cbranch_execnz .LBB9_65
; %bb.66:                               ;   in Loop: Header=BB9_62 Depth=1
	s_or_b32 exec_lo, exec_lo, s5
	s_branch .LBB9_61
.LBB9_67:                               ;   in Loop: Header=BB9_62 Depth=1
                                        ; implicit-def: $vgpr13
                                        ; implicit-def: $vgpr33
	s_cbranch_execz .LBB9_62
; %bb.68:
	s_and_saveexec_b32 s4, s3
	s_cbranch_execz .LBB9_70
; %bb.69:
	v_cmp_lt_f16_e32 vcc_lo, v43, v32
	s_add_i32 s6, s15, 32
	s_mov_b32 s7, 0
	v_mov_b32_e32 v12, 0
	s_lshl_b64 s[6:7], s[6:7], 2
	v_cndmask_b32_e32 v11, v43, v32, vcc_lo
	s_add_u32 s6, s16, s6
	s_addc_u32 s7, s17, s7
	s_delay_alu instid0(VALU_DEP_1) | instskip(NEXT) | instid1(VALU_DEP_1)
	v_and_b32_e32 v11, 0xffff, v11
	v_or_b32_e32 v11, 0x20000, v11
	global_store_b32 v12, v11, s[6:7]
.LBB9_70:
	s_or_b32 exec_lo, exec_lo, s4
	s_delay_alu instid0(SALU_CYCLE_1)
	s_and_b32 exec_lo, exec_lo, s2
	s_cbranch_execz .LBB9_72
; %bb.71:
	v_mov_b32_e32 v11, 0
	ds_store_b16 v11, v43
.LBB9_72:
	s_or_b32 exec_lo, exec_lo, s20
	s_waitcnt lgkmcnt(0)
	v_cmp_lt_f16_e32 vcc_lo, v31, v9
	s_waitcnt_vscnt null, 0x0
	s_barrier
	buffer_gl0_inv
	s_or_b32 vcc_lo, s2, vcc_lo
	v_dual_mov_b32 v11, 0 :: v_dual_cndmask_b32 v12, v31, v9
	ds_load_u16 v11, v11
	s_waitcnt lgkmcnt(0)
	v_cmp_lt_f16_e32 vcc_lo, v11, v12
	v_cndmask_b32_e32 v11, v11, v12, vcc_lo
	s_delay_alu instid0(VALU_DEP_1) | instskip(SKIP_1) | instid1(VALU_DEP_1)
	v_cmp_lt_f16_e32 vcc_lo, v11, v29
	v_cndmask_b32_e32 v12, v11, v29, vcc_lo
	v_cmp_lt_f16_e32 vcc_lo, v12, v10
	v_cndmask_b32_e32 v13, v12, v10, vcc_lo
	s_delay_alu instid0(VALU_DEP_1) | instskip(SKIP_1) | instid1(VALU_DEP_1)
	v_cmp_lt_f16_e32 vcc_lo, v13, v28
	v_cndmask_b32_e32 v14, v13, v28, vcc_lo
	;; [unrolled: 5-line block ×10, first 2 shown]
	v_cmp_lt_f16_e32 vcc_lo, v46, v18
	v_cndmask_b32_e32 v47, v46, v18, vcc_lo
	s_delay_alu instid0(VALU_DEP_1)
	v_cmp_lt_f16_e32 vcc_lo, v47, v19
	v_cndmask_b32_e32 v48, v47, v19, vcc_lo
	s_load_b128 s[4:7], s[0:1], 0x30
	s_branch .LBB9_83
.LBB9_73:
                                        ; implicit-def: $vgpr11
                                        ; implicit-def: $vgpr12
                                        ; implicit-def: $vgpr13
                                        ; implicit-def: $vgpr14
                                        ; implicit-def: $vgpr31
                                        ; implicit-def: $vgpr32
                                        ; implicit-def: $vgpr33
                                        ; implicit-def: $vgpr34
                                        ; implicit-def: $vgpr35
                                        ; implicit-def: $vgpr36
                                        ; implicit-def: $vgpr37
                                        ; implicit-def: $vgpr38
                                        ; implicit-def: $vgpr39
                                        ; implicit-def: $vgpr40
                                        ; implicit-def: $vgpr41
                                        ; implicit-def: $vgpr42
                                        ; implicit-def: $vgpr43
                                        ; implicit-def: $vgpr44
                                        ; implicit-def: $vgpr45
                                        ; implicit-def: $vgpr46
                                        ; implicit-def: $vgpr47
                                        ; implicit-def: $vgpr48
	s_load_b128 s[4:7], s[0:1], 0x30
	s_cbranch_execz .LBB9_83
; %bb.74:
	s_load_b32 s2, s[0:1], 0x40
	v_cmp_eq_u32_e32 vcc_lo, 0, v0
	s_waitcnt lgkmcnt(0)
	s_bitcmp1_b32 s2, 0
	v_cmp_ne_u32_e64 s2, 0, v0
	s_cselect_b32 s3, -1, 0
	s_delay_alu instid0(SALU_CYCLE_1) | instskip(NEXT) | instid1(SALU_CYCLE_1)
	s_and_b32 s3, vcc_lo, s3
	s_and_saveexec_b32 s8, s3
	s_cbranch_execz .LBB9_76
; %bb.75:
	v_mov_b32_e32 v11, 0
	global_load_u16 v11, v11, s[4:5]
	s_waitcnt vmcnt(0)
	v_cmp_lt_f16_e64 s3, v11, v9
	s_delay_alu instid0(VALU_DEP_1)
	v_cndmask_b32_e64 v9, v11, v9, s3
.LBB9_76:
	s_or_b32 exec_lo, exec_lo, s8
	s_delay_alu instid0(VALU_DEP_1) | instskip(SKIP_2) | instid1(VALU_DEP_2)
	v_cmp_lt_f16_e64 s3, v9, v29
	v_add_lshl_u32 v12, v30, v0, 1
	s_mov_b32 s8, exec_lo
	v_cndmask_b32_e64 v11, v9, v29, s3
	s_delay_alu instid0(VALU_DEP_1) | instskip(NEXT) | instid1(VALU_DEP_1)
	v_cmp_lt_f16_e64 s3, v11, v10
	v_cndmask_b32_e64 v11, v11, v10, s3
	s_delay_alu instid0(VALU_DEP_1) | instskip(NEXT) | instid1(VALU_DEP_1)
	v_cmp_lt_f16_e64 s3, v11, v28
	;; [unrolled: 3-line block ×20, first 2 shown]
	v_cndmask_b32_e64 v11, v11, v19, s3
	ds_store_b16 v12, v11
	s_waitcnt lgkmcnt(0)
	s_barrier
	buffer_gl0_inv
	v_cmpx_gt_u32_e32 32, v0
	s_cbranch_execz .LBB9_78
; %bb.77:
	v_lshrrev_b32_e32 v12, 3, v0
	v_mbcnt_lo_u32_b32 v31, -1, 0
	s_delay_alu instid0(VALU_DEP_2) | instskip(NEXT) | instid1(VALU_DEP_2)
	v_and_b32_e32 v12, 6, v12
	v_and_b32_e32 v33, 15, v31
	v_add_nc_u32_e32 v34, -1, v31
	s_delay_alu instid0(VALU_DEP_3)
	v_lshl_or_b32 v12, v0, 2, v12
	ds_load_u16 v13, v12
	ds_load_u16 v14, v12 offset:2
	v_cmp_gt_i32_e64 s5, 0, v34
	s_waitcnt lgkmcnt(0)
	v_cmp_lt_f16_e64 s3, v13, v14
	s_delay_alu instid0(VALU_DEP_1) | instskip(SKIP_1) | instid1(VALU_DEP_2)
	v_cndmask_b32_e64 v30, v13, v14, s3
	v_cmp_eq_u32_e64 s3, 0, v33
	v_and_b32_e32 v32, 0xffff, v30
	s_delay_alu instid0(VALU_DEP_1) | instskip(NEXT) | instid1(VALU_DEP_1)
	v_mov_b32_dpp v32, v32 row_shr:1 row_mask:0xf bank_mask:0xf
	v_cmp_gt_f16_e64 s4, v30, v32
	s_delay_alu instid0(VALU_DEP_1) | instskip(NEXT) | instid1(SALU_CYCLE_1)
	s_or_b32 s3, s3, s4
	v_cndmask_b32_e64 v30, v32, v30, s3
	s_delay_alu instid0(VALU_DEP_1) | instskip(NEXT) | instid1(VALU_DEP_1)
	v_and_b32_e32 v32, 0xffff, v30
	v_mov_b32_dpp v32, v32 row_shr:2 row_mask:0xf bank_mask:0xf
	s_delay_alu instid0(VALU_DEP_1) | instskip(NEXT) | instid1(VALU_DEP_1)
	v_cmp_gt_f16_e64 s3, v30, v32
	v_cndmask_b32_e64 v32, v32, v30, s3
	v_cmp_lt_u32_e64 s3, 1, v33
	s_delay_alu instid0(VALU_DEP_1) | instskip(NEXT) | instid1(VALU_DEP_1)
	v_cndmask_b32_e64 v30, v30, v32, s3
	v_and_b32_e32 v32, 0xffff, v30
	s_delay_alu instid0(VALU_DEP_1) | instskip(NEXT) | instid1(VALU_DEP_1)
	v_mov_b32_dpp v32, v32 row_shr:4 row_mask:0xf bank_mask:0xf
	v_cmp_gt_f16_e64 s3, v30, v32
	s_delay_alu instid0(VALU_DEP_1) | instskip(SKIP_1) | instid1(VALU_DEP_1)
	v_cndmask_b32_e64 v32, v32, v30, s3
	v_cmp_lt_u32_e64 s3, 3, v33
	v_cndmask_b32_e64 v30, v30, v32, s3
	s_delay_alu instid0(VALU_DEP_1) | instskip(NEXT) | instid1(VALU_DEP_1)
	v_and_b32_e32 v32, 0xffff, v30
	v_mov_b32_dpp v32, v32 row_shr:8 row_mask:0xf bank_mask:0xf
	s_delay_alu instid0(VALU_DEP_1) | instskip(NEXT) | instid1(VALU_DEP_1)
	v_cmp_gt_f16_e64 s3, v30, v32
	v_cndmask_b32_e64 v32, v32, v30, s3
	v_cmp_lt_u32_e64 s3, 7, v33
	v_and_b32_e32 v33, 16, v31
	v_cndmask_b32_e64 v31, v34, v31, s5
	s_delay_alu instid0(VALU_DEP_3) | instskip(NEXT) | instid1(VALU_DEP_3)
	v_cndmask_b32_e64 v30, v30, v32, s3
	v_cmp_eq_u32_e64 s3, 0, v33
	s_delay_alu instid0(VALU_DEP_3) | instskip(NEXT) | instid1(VALU_DEP_3)
	v_lshlrev_b32_e32 v31, 2, v31
	v_and_b32_e32 v32, 0xffff, v30
	ds_swizzle_b32 v32, v32 offset:swizzle(BROADCAST,32,15)
	s_waitcnt lgkmcnt(0)
	v_cmp_gt_f16_e64 s4, v30, v32
	s_delay_alu instid0(VALU_DEP_1) | instskip(NEXT) | instid1(SALU_CYCLE_1)
	s_or_b32 s3, s3, s4
	v_cndmask_b32_e64 v30, v32, v30, s3
	s_delay_alu instid0(VALU_DEP_1) | instskip(SKIP_3) | instid1(VALU_DEP_1)
	v_and_b32_e32 v30, 0xffff, v30
	ds_bpermute_b32 v30, v31, v30
	s_waitcnt lgkmcnt(0)
	v_cmp_gt_f16_e64 s3, v13, v30
	v_cndmask_b32_e64 v13, v30, v13, s3
	s_delay_alu instid0(VALU_DEP_1) | instskip(NEXT) | instid1(VALU_DEP_1)
	v_cndmask_b32_e32 v13, v13, v11, vcc_lo
	v_cmp_gt_f16_e64 s3, v14, v13
	s_delay_alu instid0(VALU_DEP_1)
	v_cndmask_b32_e64 v14, v13, v14, s3
	ds_store_b16 v12, v13
	ds_store_b16 v12, v14 offset:2
.LBB9_78:
	s_or_b32 exec_lo, exec_lo, s8
	s_waitcnt lgkmcnt(0)
	s_barrier
	buffer_gl0_inv
	s_and_saveexec_b32 s3, s2
	s_cbranch_execz .LBB9_80
; %bb.79:
	v_add_nc_u32_e32 v11, -1, v0
	s_delay_alu instid0(VALU_DEP_1) | instskip(NEXT) | instid1(VALU_DEP_1)
	v_lshrrev_b32_e32 v12, 5, v11
	v_add_lshl_u32 v11, v12, v11, 1
	ds_load_u16 v11, v11
.LBB9_80:
	s_or_b32 exec_lo, exec_lo, s3
	s_waitcnt lgkmcnt(0)
	v_cmp_lt_f16_e64 s2, v11, v9
	s_delay_alu instid0(VALU_DEP_1) | instskip(NEXT) | instid1(SALU_CYCLE_1)
	s_or_b32 s2, vcc_lo, s2
	v_cndmask_b32_e64 v11, v11, v9, s2
	s_delay_alu instid0(VALU_DEP_1) | instskip(NEXT) | instid1(VALU_DEP_1)
	v_cmp_lt_f16_e64 s2, v11, v29
	v_cndmask_b32_e64 v12, v11, v29, s2
	s_delay_alu instid0(VALU_DEP_1) | instskip(NEXT) | instid1(VALU_DEP_1)
	v_cmp_lt_f16_e64 s2, v12, v10
	;; [unrolled: 3-line block ×20, first 2 shown]
	v_cndmask_b32_e64 v47, v46, v18, s2
	s_delay_alu instid0(VALU_DEP_1)
	v_cmp_lt_f16_e64 s2, v47, v19
	s_and_saveexec_b32 s3, vcc_lo
	s_cbranch_execz .LBB9_82
; %bb.81:
	v_mov_b32_e32 v1, 0
	ds_load_u16 v2, v1 offset:128
	s_waitcnt lgkmcnt(0)
	v_or_b32_e32 v2, 0x20000, v2
	global_store_b32 v1, v2, s[16:17] offset:128
.LBB9_82:
	s_or_b32 exec_lo, exec_lo, s3
	s_delay_alu instid0(VALU_DEP_1)
	v_cndmask_b32_e64 v48, v47, v19, s2
.LBB9_83:
	v_perm_b32 v4, v14, v13, 0x5040100
	v_perm_b32 v5, v12, v11, 0x5040100
	;; [unrolled: 1-line block ×11, first 2 shown]
	s_add_u32 s2, s10, s12
	s_addc_u32 s3, s11, s13
	s_and_b32 vcc_lo, exec_lo, s19
	s_waitcnt lgkmcnt(0)
	s_mov_b32 s4, -1
	s_waitcnt_vscnt null, 0x0
	s_barrier
	buffer_gl0_inv
	s_cbranch_vccz .LBB9_85
; %bb.84:
	ds_store_2addr_b32 v17, v5, v4 offset1:1
	ds_store_2addr_b32 v17, v7, v6 offset0:2 offset1:3
	ds_store_2addr_b32 v17, v9, v8 offset0:4 offset1:5
	;; [unrolled: 1-line block ×4, first 2 shown]
	ds_store_b32 v17, v3 offset:40
	s_waitcnt lgkmcnt(0)
	s_barrier
	buffer_gl0_inv
	ds_load_u16 v12, v15
	ds_load_u16 v13, v15 offset:128
	ds_load_u16 v14, v15 offset:256
	;; [unrolled: 1-line block ×21, first 2 shown]
	s_mov_b32 s4, 0
	s_waitcnt lgkmcnt(21)
	global_store_b16 v15, v12, s[2:3]
	s_waitcnt lgkmcnt(20)
	global_store_b16 v15, v13, s[2:3] offset:128
	s_waitcnt lgkmcnt(19)
	global_store_b16 v15, v14, s[2:3] offset:256
	;; [unrolled: 2-line block ×21, first 2 shown]
.LBB9_85:
	s_and_not1_b32 vcc_lo, exec_lo, s4
	s_cbranch_vccnz .LBB9_212
; %bb.86:
	v_mad_i32_i24 v27, 0xffffffd6, v0, v17
	ds_store_2addr_b32 v17, v5, v4 offset1:1
	ds_store_2addr_b32 v17, v7, v6 offset0:2 offset1:3
	ds_store_2addr_b32 v17, v9, v8 offset0:4 offset1:5
	;; [unrolled: 1-line block ×4, first 2 shown]
	ds_store_b32 v17, v3 offset:40
	s_waitcnt lgkmcnt(0)
	s_waitcnt_vscnt null, 0x0
	s_barrier
	buffer_gl0_inv
	ds_load_u16 v5, v27
	ds_load_u16 v4, v27 offset:128
	ds_load_u16 v7, v27 offset:256
	;; [unrolled: 1-line block ×21, first 2 shown]
	v_add_co_u32 v2, s2, s2, v15
	v_mov_b32_e32 v1, 0
	v_add_co_ci_u32_e64 v3, null, s3, 0, s2
	s_mov_b32 s2, exec_lo
	v_cmpx_gt_u32_e64 s14, v0
	s_cbranch_execz .LBB9_88
; %bb.87:
	s_waitcnt lgkmcnt(21)
	global_store_b16 v[2:3], v5, off
.LBB9_88:
	s_or_b32 exec_lo, exec_lo, s2
	v_or_b32_e32 v15, 64, v0
	s_mov_b32 s2, exec_lo
	s_delay_alu instid0(VALU_DEP_1)
	v_cmpx_gt_u32_e64 s14, v15
	s_cbranch_execz .LBB9_90
; %bb.89:
	s_waitcnt lgkmcnt(20)
	global_store_b16 v[2:3], v4, off offset:128
.LBB9_90:
	s_or_b32 exec_lo, exec_lo, s2
	v_or_b32_e32 v15, 0x80, v0
	s_mov_b32 s2, exec_lo
	s_delay_alu instid0(VALU_DEP_1)
	v_cmpx_gt_u32_e64 s14, v15
	s_cbranch_execz .LBB9_92
; %bb.91:
	s_waitcnt lgkmcnt(19)
	global_store_b16 v[2:3], v7, off offset:256
.LBB9_92:
	;; [unrolled: 10-line block ×21, first 2 shown]
	s_or_b32 exec_lo, exec_lo, s2
	s_load_b32 s0, s[0:1], 0x40
	s_waitcnt lgkmcnt(0)
	s_bfe_u32 s0, s0, 0x10008
	s_delay_alu instid0(SALU_CYCLE_1)
	s_cmp_eq_u32 s0, 0
	s_cbranch_scc1 .LBB9_212
; %bb.131:
	s_add_u32 s0, s14, -1
	s_addc_u32 s1, s18, -1
	s_add_u32 s2, 0, 0x2e8b0a00
	s_addc_u32 s3, 0, 42
	s_mul_hi_u32 s5, s2, 0xffffffea
	s_add_i32 s3, s3, 0xba2e890
	s_sub_i32 s5, s5, s2
	s_mul_i32 s8, s3, 0xffffffea
	s_mul_i32 s4, s2, 0xffffffea
	s_add_i32 s5, s5, s8
	s_mul_hi_u32 s9, s3, s4
	s_mul_i32 s8, s3, s4
	s_mul_i32 s10, s2, s5
	s_mul_hi_u32 s4, s2, s4
	s_mul_hi_u32 s11, s2, s5
	s_add_u32 s4, s4, s10
	s_addc_u32 s10, 0, s11
	s_mul_hi_u32 s11, s3, s5
	s_add_u32 s4, s4, s8
	s_addc_u32 s4, s10, s9
	s_mul_i32 s5, s3, s5
	s_addc_u32 s8, s11, 0
	s_add_u32 s4, s4, s5
	s_delay_alu instid0(SALU_CYCLE_1) | instskip(SKIP_2) | instid1(VALU_DEP_1)
	v_add_co_u32 v2, s2, s2, s4
	s_addc_u32 s4, 0, s8
	s_cmp_lg_u32 s2, 0
	v_readfirstlane_b32 s2, v2
	s_addc_u32 s3, s3, s4
	s_delay_alu instid0(SALU_CYCLE_1) | instskip(SKIP_1) | instid1(VALU_DEP_1)
	s_mul_i32 s4, s0, s3
	s_mul_hi_u32 s8, s0, s3
	s_mul_hi_u32 s5, s0, s2
	s_mul_i32 s9, s1, s2
	s_add_u32 s4, s5, s4
	s_addc_u32 s5, 0, s8
	s_mul_hi_u32 s2, s1, s2
	s_mul_hi_u32 s8, s1, s3
	s_add_u32 s4, s4, s9
	s_addc_u32 s2, s5, s2
	s_mul_i32 s3, s1, s3
	s_addc_u32 s4, s8, 0
	s_add_u32 s2, s2, s3
	s_addc_u32 s3, 0, s4
	s_mul_i32 s5, s2, 22
	s_add_u32 s4, s2, 1
	v_sub_co_u32 v2, s5, s0, s5
	s_addc_u32 s8, s3, 0
	s_mul_i32 s10, s3, 22
	s_mul_hi_u32 s12, s2, 22
	s_delay_alu instid0(VALU_DEP_1)
	v_sub_co_u32 v3, s11, v2, 22
	s_add_u32 s9, s2, 2
	s_addc_u32 s13, s3, 0
	s_add_i32 s12, s12, s10
	s_cmp_lg_u32 s5, 0
	v_readfirstlane_b32 s5, v3
	s_subb_u32 s10, s1, s12
	s_cmp_lg_u32 s11, 0
	s_subb_u32 s11, s10, 0
	s_delay_alu instid0(VALU_DEP_1) | instskip(SKIP_4) | instid1(SALU_CYCLE_1)
	s_cmp_gt_u32 s5, 21
	s_cselect_b32 s5, -1, 0
	s_cmp_eq_u32 s11, 0
	v_readfirstlane_b32 s11, v2
	s_cselect_b32 s5, s5, -1
	s_cmp_lg_u32 s5, 0
	s_cselect_b32 s4, s9, s4
	s_cselect_b32 s5, s13, s8
	s_cmp_gt_u32 s11, 21
	s_cselect_b32 s8, -1, 0
	s_cmp_eq_u32 s10, 0
	s_cselect_b32 s8, s8, -1
	s_delay_alu instid0(SALU_CYCLE_1) | instskip(SKIP_2) | instid1(SALU_CYCLE_1)
	s_cmp_lg_u32 s8, 0
	s_cselect_b32 s3, s5, s3
	s_cselect_b32 s2, s4, s2
	v_cmp_eq_u64_e32 vcc_lo, s[2:3], v[0:1]
	s_and_saveexec_b32 s2, vcc_lo
	s_cbranch_execz .LBB9_212
; %bb.132:
	v_mul_hi_u32_u24_e32 v1, 22, v0
	v_sub_co_u32 v0, vcc_lo, s0, v16
	s_mov_b32 s0, 0
	s_mov_b32 s2, 0
	s_delay_alu instid0(VALU_DEP_2) | instskip(SKIP_1) | instid1(VALU_DEP_1)
	v_sub_co_ci_u32_e32 v1, vcc_lo, s1, v1, vcc_lo
	s_mov_b32 s1, exec_lo
	v_cmpx_lt_i64_e32 10, v[0:1]
	s_xor_b32 s1, exec_lo, s1
	s_cbranch_execnz .LBB9_136
; %bb.133:
	s_or_saveexec_b32 s1, s1
	s_mov_b32 s3, 0
	s_xor_b32 exec_lo, exec_lo, s1
	s_cbranch_execnz .LBB9_177
.LBB9_134:
	s_or_b32 exec_lo, exec_lo, s1
	s_and_saveexec_b32 s1, s2
	s_cbranch_execnz .LBB9_188
.LBB9_135:
	s_or_b32 exec_lo, exec_lo, s1
	s_and_saveexec_b32 s1, s0
	s_cbranch_execnz .LBB9_189
	s_branch .LBB9_193
.LBB9_136:
	s_mov_b32 s3, 0
	s_mov_b32 s2, exec_lo
	v_cmpx_lt_i64_e32 15, v[0:1]
	s_xor_b32 s2, exec_lo, s2
	s_cbranch_execz .LBB9_158
; %bb.137:
	s_mov_b32 s4, exec_lo
                                        ; implicit-def: $vgpr12
	v_cmpx_lt_i64_e32 18, v[0:1]
	s_xor_b32 s4, exec_lo, s4
	s_cbranch_execz .LBB9_147
; %bb.138:
	s_mov_b32 s5, 0
	s_mov_b32 s3, exec_lo
                                        ; implicit-def: $vgpr12
	v_cmpx_lt_i64_e32 19, v[0:1]
	s_xor_b32 s3, exec_lo, s3
	s_cbranch_execz .LBB9_144
; %bb.139:
	s_mov_b32 s5, exec_lo
	v_cmpx_lt_i64_e32 20, v[0:1]
	s_xor_b32 s5, exec_lo, s5
	s_cbranch_execz .LBB9_141
; %bb.140:
	v_mov_b32_e32 v2, 0
                                        ; implicit-def: $vgpr21
	global_store_b16 v2, v27, s[6:7]
.LBB9_141:
	s_or_saveexec_b32 s5, s5
	s_mov_b32 s8, 0
	s_xor_b32 exec_lo, exec_lo, s5
; %bb.142:
	s_delay_alu instid0(SALU_CYCLE_1)
	s_mov_b32 s8, exec_lo
; %bb.143:
	s_or_b32 exec_lo, exec_lo, s5
	v_mov_b32_e32 v12, v21
	s_and_b32 s5, s8, exec_lo
                                        ; implicit-def: $vgpr26
.LBB9_144:
	s_and_not1_saveexec_b32 s3, s3
	s_cbranch_execz .LBB9_146
; %bb.145:
	v_mov_b32_e32 v2, 0
                                        ; implicit-def: $vgpr12
	global_store_b16 v2, v26, s[6:7]
.LBB9_146:
	s_or_b32 exec_lo, exec_lo, s3
	s_delay_alu instid0(SALU_CYCLE_1)
	s_and_b32 s3, s5, exec_lo
                                        ; implicit-def: $vgpr23
                                        ; implicit-def: $vgpr20
                                        ; implicit-def: $vgpr25
.LBB9_147:
	s_and_not1_saveexec_b32 s4, s4
	s_cbranch_execz .LBB9_157
; %bb.148:
	s_mov_b32 s5, exec_lo
	v_cmpx_lt_i64_e32 16, v[0:1]
	s_xor_b32 s5, exec_lo, s5
	s_cbranch_execz .LBB9_154
; %bb.149:
	s_mov_b32 s8, exec_lo
	v_cmpx_lt_i64_e32 17, v[0:1]
	s_xor_b32 s8, exec_lo, s8
	s_cbranch_execz .LBB9_151
; %bb.150:
	v_mov_b32_e32 v2, 0
                                        ; implicit-def: $vgpr20
	global_store_b16 v2, v25, s[6:7]
.LBB9_151:
	s_and_not1_saveexec_b32 s8, s8
	s_cbranch_execz .LBB9_153
; %bb.152:
	v_mov_b32_e32 v2, 0
	global_store_b16 v2, v20, s[6:7]
.LBB9_153:
	s_or_b32 exec_lo, exec_lo, s8
                                        ; implicit-def: $vgpr23
.LBB9_154:
	s_and_not1_saveexec_b32 s5, s5
	s_cbranch_execz .LBB9_156
; %bb.155:
	v_mov_b32_e32 v2, 0
	global_store_b16 v2, v23, s[6:7]
.LBB9_156:
	s_or_b32 exec_lo, exec_lo, s5
                                        ; implicit-def: $vgpr12
.LBB9_157:
	s_delay_alu instid0(SALU_CYCLE_1) | instskip(NEXT) | instid1(SALU_CYCLE_1)
	s_or_b32 exec_lo, exec_lo, s4
	s_and_b32 s3, s3, exec_lo
                                        ; implicit-def: $vgpr22
                                        ; implicit-def: $vgpr19
                                        ; implicit-def: $vgpr18
                                        ; implicit-def: $vgpr24
.LBB9_158:
	s_and_not1_saveexec_b32 s2, s2
	s_cbranch_execz .LBB9_176
; %bb.159:
	s_mov_b32 s4, exec_lo
	v_cmpx_lt_i64_e32 12, v[0:1]
	s_xor_b32 s4, exec_lo, s4
	s_cbranch_execz .LBB9_169
; %bb.160:
	s_mov_b32 s5, exec_lo
	v_cmpx_lt_i64_e32 13, v[0:1]
	s_xor_b32 s5, exec_lo, s5
	s_cbranch_execz .LBB9_166
; %bb.161:
	s_mov_b32 s8, exec_lo
	v_cmpx_lt_i64_e32 14, v[0:1]
	s_xor_b32 s8, exec_lo, s8
	s_cbranch_execz .LBB9_163
; %bb.162:
	v_mov_b32_e32 v2, 0
                                        ; implicit-def: $vgpr18
	global_store_b16 v2, v24, s[6:7]
.LBB9_163:
	s_and_not1_saveexec_b32 s8, s8
	s_cbranch_execz .LBB9_165
; %bb.164:
	v_mov_b32_e32 v2, 0
	global_store_b16 v2, v18, s[6:7]
.LBB9_165:
	s_or_b32 exec_lo, exec_lo, s8
                                        ; implicit-def: $vgpr22
.LBB9_166:
	s_and_not1_saveexec_b32 s5, s5
	s_cbranch_execz .LBB9_168
; %bb.167:
	v_mov_b32_e32 v2, 0
	global_store_b16 v2, v22, s[6:7]
.LBB9_168:
	s_or_b32 exec_lo, exec_lo, s5
                                        ; implicit-def: $vgpr12
                                        ; implicit-def: $vgpr19
.LBB9_169:
	s_or_saveexec_b32 s4, s4
	s_mov_b32 s5, s3
	s_xor_b32 exec_lo, exec_lo, s4
	s_cbranch_execz .LBB9_175
; %bb.170:
	s_mov_b32 s5, exec_lo
	v_cmpx_lt_i64_e32 11, v[0:1]
	s_xor_b32 s5, exec_lo, s5
	s_cbranch_execz .LBB9_172
; %bb.171:
	v_mov_b32_e32 v2, 0
                                        ; implicit-def: $vgpr12
	global_store_b16 v2, v19, s[6:7]
.LBB9_172:
	s_or_saveexec_b32 s5, s5
	s_mov_b32 s8, s3
	s_xor_b32 exec_lo, exec_lo, s5
; %bb.173:
	s_delay_alu instid0(SALU_CYCLE_1)
	s_or_b32 s8, s3, exec_lo
; %bb.174:
	s_or_b32 exec_lo, exec_lo, s5
	s_delay_alu instid0(SALU_CYCLE_1) | instskip(SKIP_1) | instid1(SALU_CYCLE_1)
	s_and_not1_b32 s5, s3, exec_lo
	s_and_b32 s8, s8, exec_lo
	s_or_b32 s5, s5, s8
.LBB9_175:
	s_or_b32 exec_lo, exec_lo, s4
	s_delay_alu instid0(SALU_CYCLE_1) | instskip(SKIP_1) | instid1(SALU_CYCLE_1)
	s_and_not1_b32 s3, s3, exec_lo
	s_and_b32 s4, s5, exec_lo
	s_or_b32 s3, s3, s4
.LBB9_176:
	s_or_b32 exec_lo, exec_lo, s2
	s_delay_alu instid0(SALU_CYCLE_1)
	s_and_b32 s2, s3, exec_lo
                                        ; implicit-def: $vgpr14
                                        ; implicit-def: $vgpr17
                                        ; implicit-def: $vgpr13
	s_or_saveexec_b32 s1, s1
	s_mov_b32 s3, 0
	s_xor_b32 exec_lo, exec_lo, s1
	s_cbranch_execz .LBB9_134
.LBB9_177:
	s_mov_b32 s4, 0
	s_mov_b32 s3, -1
	s_mov_b32 s5, s2
	s_mov_b32 s0, exec_lo
                                        ; implicit-def: $vgpr12
	v_cmpx_lt_i64_e32 5, v[0:1]
	s_cbranch_execz .LBB9_187
; %bb.178:
	s_mov_b32 s4, -1
	s_mov_b32 s5, s2
	s_mov_b32 s3, exec_lo
	v_cmpx_lt_i64_e32 7, v[0:1]
	s_cbranch_execz .LBB9_186
; %bb.179:
	s_mov_b32 s4, exec_lo
	v_cmpx_lt_i64_e32 8, v[0:1]
	s_cbranch_execz .LBB9_185
; %bb.180:
	s_mov_b32 s5, exec_lo
	v_cmpx_lt_i64_e32 9, v[0:1]
	s_xor_b32 s5, exec_lo, s5
; %bb.181:
                                        ; implicit-def: $vgpr17
; %bb.182:
	s_delay_alu instid0(SALU_CYCLE_1)
	s_and_not1_saveexec_b32 s5, s5
; %bb.183:
	v_mov_b32_e32 v13, v17
; %bb.184:
	s_or_b32 exec_lo, exec_lo, s5
	s_delay_alu instid0(VALU_DEP_1)
	v_mov_b32_e32 v14, v13
.LBB9_185:
	s_or_b32 exec_lo, exec_lo, s4
	s_delay_alu instid0(SALU_CYCLE_1)
	s_xor_b32 s4, exec_lo, -1
	s_or_b32 s5, s2, exec_lo
.LBB9_186:
	s_or_b32 exec_lo, exec_lo, s3
	v_mov_b32_e32 v12, v14
	s_and_not1_b32 s8, s2, exec_lo
	s_and_b32 s5, s5, exec_lo
	s_xor_b32 s3, exec_lo, -1
	s_and_b32 s4, s4, exec_lo
	s_or_b32 s5, s8, s5
.LBB9_187:
	s_or_b32 exec_lo, exec_lo, s0
	s_delay_alu instid0(SALU_CYCLE_1)
	s_and_not1_b32 s2, s2, exec_lo
	s_and_b32 s5, s5, exec_lo
	s_and_b32 s3, s3, exec_lo
	s_and_b32 s0, s4, exec_lo
	s_or_b32 s2, s2, s5
	s_or_b32 exec_lo, exec_lo, s1
	s_and_saveexec_b32 s1, s2
	s_cbranch_execz .LBB9_135
.LBB9_188:
	v_mov_b32_e32 v2, 0
	global_store_b16 v2, v12, s[6:7]
	s_or_b32 exec_lo, exec_lo, s1
	s_and_saveexec_b32 s1, s0
	s_cbranch_execz .LBB9_193
.LBB9_189:
	s_mov_b32 s0, exec_lo
	v_cmpx_lt_i64_e32 6, v[0:1]
	s_xor_b32 s0, exec_lo, s0
	s_cbranch_execz .LBB9_191
; %bb.190:
	v_mov_b32_e32 v2, 0
                                        ; implicit-def: $vgpr10
	global_store_b16 v2, v11, s[6:7]
.LBB9_191:
	s_and_not1_saveexec_b32 s0, s0
	s_cbranch_execz .LBB9_193
; %bb.192:
	v_mov_b32_e32 v2, 0
	global_store_b16 v2, v10, s[6:7]
.LBB9_193:
	s_or_b32 exec_lo, exec_lo, s1
	s_delay_alu instid0(SALU_CYCLE_1)
	s_and_b32 exec_lo, exec_lo, s3
	s_cbranch_execz .LBB9_212
; %bb.194:
	s_mov_b32 s0, exec_lo
	v_cmpx_lt_i64_e32 2, v[0:1]
	s_xor_b32 s0, exec_lo, s0
	s_cbranch_execz .LBB9_204
; %bb.195:
	s_mov_b32 s1, exec_lo
	v_cmpx_lt_i64_e32 3, v[0:1]
	s_xor_b32 s1, exec_lo, s1
	;; [unrolled: 5-line block ×3, first 2 shown]
	s_cbranch_execz .LBB9_198
; %bb.197:
	v_mov_b32_e32 v0, 0
                                        ; implicit-def: $vgpr6
	global_store_b16 v0, v9, s[6:7]
.LBB9_198:
	s_and_not1_saveexec_b32 s2, s2
	s_cbranch_execz .LBB9_200
; %bb.199:
	v_mov_b32_e32 v0, 0
	global_store_b16 v0, v6, s[6:7]
.LBB9_200:
	s_or_b32 exec_lo, exec_lo, s2
                                        ; implicit-def: $vgpr8
.LBB9_201:
	s_and_not1_saveexec_b32 s1, s1
	s_cbranch_execz .LBB9_203
; %bb.202:
	v_mov_b32_e32 v0, 0
	global_store_b16 v0, v8, s[6:7]
.LBB9_203:
	s_or_b32 exec_lo, exec_lo, s1
                                        ; implicit-def: $vgpr0_vgpr1
                                        ; implicit-def: $vgpr7
                                        ; implicit-def: $vgpr4
                                        ; implicit-def: $vgpr5
.LBB9_204:
	s_and_not1_saveexec_b32 s0, s0
	s_cbranch_execz .LBB9_212
; %bb.205:
	s_mov_b32 s0, exec_lo
	v_cmpx_lt_i64_e32 1, v[0:1]
	s_xor_b32 s0, exec_lo, s0
	s_cbranch_execz .LBB9_207
; %bb.206:
	v_mov_b32_e32 v0, 0
                                        ; implicit-def: $vgpr4
                                        ; implicit-def: $vgpr5
	global_store_b16 v0, v7, s[6:7]
                                        ; implicit-def: $vgpr0_vgpr1
.LBB9_207:
	s_and_not1_saveexec_b32 s0, s0
	s_cbranch_execz .LBB9_212
; %bb.208:
	s_mov_b32 s0, exec_lo
	v_cmpx_ne_u64_e32 1, v[0:1]
	s_xor_b32 s0, exec_lo, s0
	s_cbranch_execz .LBB9_210
; %bb.209:
	v_mov_b32_e32 v0, 0
                                        ; implicit-def: $vgpr4
	global_store_b16 v0, v5, s[6:7]
.LBB9_210:
	s_and_not1_saveexec_b32 s0, s0
	s_cbranch_execz .LBB9_212
; %bb.211:
	v_mov_b32_e32 v0, 0
	global_store_b16 v0, v4, s[6:7]
.LBB9_212:
	s_nop 0
	s_sendmsg sendmsg(MSG_DEALLOC_VGPRS)
	s_endpgm
	.section	.rodata,"a",@progbits
	.p2align	6, 0x0
	.amdhsa_kernel _ZN7rocprim6detail20lookback_scan_kernelILNS0_25lookback_scan_determinismE0ELb0ENS0_19wrapped_scan_configINS_14default_configE6__halfEEPS5_S7_N6hipcub3MaxES5_S5_NS0_19lookback_scan_stateIS5_Lb0ELb1EEEEEvT2_T3_mT5_T4_T7_jPT6_SI_bb
		.amdhsa_group_segment_fixed_size 2816
		.amdhsa_private_segment_fixed_size 0
		.amdhsa_kernarg_size 68
		.amdhsa_user_sgpr_count 15
		.amdhsa_user_sgpr_dispatch_ptr 0
		.amdhsa_user_sgpr_queue_ptr 0
		.amdhsa_user_sgpr_kernarg_segment_ptr 1
		.amdhsa_user_sgpr_dispatch_id 0
		.amdhsa_user_sgpr_private_segment_size 0
		.amdhsa_wavefront_size32 1
		.amdhsa_uses_dynamic_stack 0
		.amdhsa_enable_private_segment 0
		.amdhsa_system_sgpr_workgroup_id_x 1
		.amdhsa_system_sgpr_workgroup_id_y 0
		.amdhsa_system_sgpr_workgroup_id_z 0
		.amdhsa_system_sgpr_workgroup_info 0
		.amdhsa_system_vgpr_workitem_id 0
		.amdhsa_next_free_vgpr 50
		.amdhsa_next_free_sgpr 21
		.amdhsa_reserve_vcc 1
		.amdhsa_float_round_mode_32 0
		.amdhsa_float_round_mode_16_64 0
		.amdhsa_float_denorm_mode_32 3
		.amdhsa_float_denorm_mode_16_64 3
		.amdhsa_dx10_clamp 1
		.amdhsa_ieee_mode 1
		.amdhsa_fp16_overflow 0
		.amdhsa_workgroup_processor_mode 1
		.amdhsa_memory_ordered 1
		.amdhsa_forward_progress 0
		.amdhsa_shared_vgpr_count 0
		.amdhsa_exception_fp_ieee_invalid_op 0
		.amdhsa_exception_fp_denorm_src 0
		.amdhsa_exception_fp_ieee_div_zero 0
		.amdhsa_exception_fp_ieee_overflow 0
		.amdhsa_exception_fp_ieee_underflow 0
		.amdhsa_exception_fp_ieee_inexact 0
		.amdhsa_exception_int_div_zero 0
	.end_amdhsa_kernel
	.section	.text._ZN7rocprim6detail20lookback_scan_kernelILNS0_25lookback_scan_determinismE0ELb0ENS0_19wrapped_scan_configINS_14default_configE6__halfEEPS5_S7_N6hipcub3MaxES5_S5_NS0_19lookback_scan_stateIS5_Lb0ELb1EEEEEvT2_T3_mT5_T4_T7_jPT6_SI_bb,"axG",@progbits,_ZN7rocprim6detail20lookback_scan_kernelILNS0_25lookback_scan_determinismE0ELb0ENS0_19wrapped_scan_configINS_14default_configE6__halfEEPS5_S7_N6hipcub3MaxES5_S5_NS0_19lookback_scan_stateIS5_Lb0ELb1EEEEEvT2_T3_mT5_T4_T7_jPT6_SI_bb,comdat
.Lfunc_end9:
	.size	_ZN7rocprim6detail20lookback_scan_kernelILNS0_25lookback_scan_determinismE0ELb0ENS0_19wrapped_scan_configINS_14default_configE6__halfEEPS5_S7_N6hipcub3MaxES5_S5_NS0_19lookback_scan_stateIS5_Lb0ELb1EEEEEvT2_T3_mT5_T4_T7_jPT6_SI_bb, .Lfunc_end9-_ZN7rocprim6detail20lookback_scan_kernelILNS0_25lookback_scan_determinismE0ELb0ENS0_19wrapped_scan_configINS_14default_configE6__halfEEPS5_S7_N6hipcub3MaxES5_S5_NS0_19lookback_scan_stateIS5_Lb0ELb1EEEEEvT2_T3_mT5_T4_T7_jPT6_SI_bb
                                        ; -- End function
	.section	.AMDGPU.csdata,"",@progbits
; Kernel info:
; codeLenInByte = 9516
; NumSgprs: 23
; NumVgprs: 50
; ScratchSize: 0
; MemoryBound: 0
; FloatMode: 240
; IeeeMode: 1
; LDSByteSize: 2816 bytes/workgroup (compile time only)
; SGPRBlocks: 2
; VGPRBlocks: 6
; NumSGPRsForWavesPerEU: 23
; NumVGPRsForWavesPerEU: 50
; Occupancy: 16
; WaveLimiterHint : 1
; COMPUTE_PGM_RSRC2:SCRATCH_EN: 0
; COMPUTE_PGM_RSRC2:USER_SGPR: 15
; COMPUTE_PGM_RSRC2:TRAP_HANDLER: 0
; COMPUTE_PGM_RSRC2:TGID_X_EN: 1
; COMPUTE_PGM_RSRC2:TGID_Y_EN: 0
; COMPUTE_PGM_RSRC2:TGID_Z_EN: 0
; COMPUTE_PGM_RSRC2:TIDIG_COMP_CNT: 0
	.section	.text._ZN7rocprim6detail16transform_kernelINS0_24wrapped_transform_configINS_14default_configE6__halfEES4_PS4_S6_NS_8identityIS4_EEEEvT1_mT2_T3_,"axG",@progbits,_ZN7rocprim6detail16transform_kernelINS0_24wrapped_transform_configINS_14default_configE6__halfEES4_PS4_S6_NS_8identityIS4_EEEEvT1_mT2_T3_,comdat
	.protected	_ZN7rocprim6detail16transform_kernelINS0_24wrapped_transform_configINS_14default_configE6__halfEES4_PS4_S6_NS_8identityIS4_EEEEvT1_mT2_T3_ ; -- Begin function _ZN7rocprim6detail16transform_kernelINS0_24wrapped_transform_configINS_14default_configE6__halfEES4_PS4_S6_NS_8identityIS4_EEEEvT1_mT2_T3_
	.globl	_ZN7rocprim6detail16transform_kernelINS0_24wrapped_transform_configINS_14default_configE6__halfEES4_PS4_S6_NS_8identityIS4_EEEEvT1_mT2_T3_
	.p2align	8
	.type	_ZN7rocprim6detail16transform_kernelINS0_24wrapped_transform_configINS_14default_configE6__halfEES4_PS4_S6_NS_8identityIS4_EEEEvT1_mT2_T3_,@function
_ZN7rocprim6detail16transform_kernelINS0_24wrapped_transform_configINS_14default_configE6__halfEES4_PS4_S6_NS_8identityIS4_EEEEvT1_mT2_T3_: ; @_ZN7rocprim6detail16transform_kernelINS0_24wrapped_transform_configINS_14default_configE6__halfEES4_PS4_S6_NS_8identityIS4_EEEEvT1_mT2_T3_
; %bb.0:
	s_clause 0x2
	s_load_b32 s10, s[0:1], 0x20
	s_load_b128 s[4:7], s[0:1], 0x0
	s_load_b64 s[0:1], s[0:1], 0x10
	s_mov_b32 s9, 0
	s_lshl_b32 s8, s15, 11
	v_lshlrev_b32_e32 v3, 1, v0
	s_lshl_b64 s[2:3], s[8:9], 1
	s_waitcnt lgkmcnt(0)
	s_add_i32 s10, s10, -1
	s_add_u32 s4, s4, s2
	s_addc_u32 s5, s5, s3
	v_add_co_u32 v1, s4, s4, v3
	s_delay_alu instid0(VALU_DEP_1)
	v_add_co_ci_u32_e64 v2, null, s5, 0, s4
	s_cmp_lg_u32 s15, s10
	s_mov_b32 s4, -1
	s_cbranch_scc0 .LBB10_2
; %bb.1:
	s_clause 0x1
	global_load_u16 v5, v[1:2], off
	global_load_u16 v4, v[1:2], off offset:2048
	s_add_u32 s10, s0, s2
	s_addc_u32 s11, s1, s3
	s_mov_b32 s9, -1
	s_waitcnt vmcnt(1)
	global_store_b16 v3, v5, s[10:11]
	s_cbranch_execz .LBB10_3
	s_branch .LBB10_10
.LBB10_2:
                                        ; implicit-def: $vgpr4
	s_and_not1_b32 vcc_lo, exec_lo, s4
	s_cbranch_vccnz .LBB10_10
.LBB10_3:
	s_sub_i32 s4, s6, s8
                                        ; implicit-def: $vgpr5
	s_delay_alu instid0(SALU_CYCLE_1)
	v_cmp_gt_u32_e32 vcc_lo, s4, v0
	s_and_saveexec_b32 s5, vcc_lo
	s_cbranch_execz .LBB10_5
; %bb.4:
	global_load_u16 v5, v[1:2], off
.LBB10_5:
	s_or_b32 exec_lo, exec_lo, s5
	v_or_b32_e32 v0, 0x400, v0
                                        ; implicit-def: $vgpr4
	s_delay_alu instid0(VALU_DEP_1) | instskip(NEXT) | instid1(VALU_DEP_1)
	v_cmp_gt_u32_e64 s9, s4, v0
	s_and_saveexec_b32 s4, s9
	s_cbranch_execz .LBB10_7
; %bb.6:
	global_load_u16 v4, v[1:2], off offset:2048
.LBB10_7:
	s_or_b32 exec_lo, exec_lo, s4
	s_and_saveexec_b32 s4, vcc_lo
	s_delay_alu instid0(SALU_CYCLE_1)
	s_xor_b32 s4, exec_lo, s4
	s_cbranch_execz .LBB10_9
; %bb.8:
	s_add_u32 s6, s0, s2
	s_addc_u32 s7, s1, s3
	s_waitcnt vmcnt(0)
	global_store_b16 v3, v5, s[6:7]
.LBB10_9:
	s_or_b32 exec_lo, exec_lo, s4
.LBB10_10:
	s_and_saveexec_b32 s4, s9
	s_cbranch_execnz .LBB10_12
; %bb.11:
	s_nop 0
	s_sendmsg sendmsg(MSG_DEALLOC_VGPRS)
	s_endpgm
.LBB10_12:
	s_add_u32 s0, s0, s2
	s_addc_u32 s1, s1, s3
	s_waitcnt vmcnt(0)
	global_store_b16 v3, v4, s[0:1] offset:2048
	s_nop 0
	s_sendmsg sendmsg(MSG_DEALLOC_VGPRS)
	s_endpgm
	.section	.rodata,"a",@progbits
	.p2align	6, 0x0
	.amdhsa_kernel _ZN7rocprim6detail16transform_kernelINS0_24wrapped_transform_configINS_14default_configE6__halfEES4_PS4_S6_NS_8identityIS4_EEEEvT1_mT2_T3_
		.amdhsa_group_segment_fixed_size 0
		.amdhsa_private_segment_fixed_size 0
		.amdhsa_kernarg_size 288
		.amdhsa_user_sgpr_count 15
		.amdhsa_user_sgpr_dispatch_ptr 0
		.amdhsa_user_sgpr_queue_ptr 0
		.amdhsa_user_sgpr_kernarg_segment_ptr 1
		.amdhsa_user_sgpr_dispatch_id 0
		.amdhsa_user_sgpr_private_segment_size 0
		.amdhsa_wavefront_size32 1
		.amdhsa_uses_dynamic_stack 0
		.amdhsa_enable_private_segment 0
		.amdhsa_system_sgpr_workgroup_id_x 1
		.amdhsa_system_sgpr_workgroup_id_y 0
		.amdhsa_system_sgpr_workgroup_id_z 0
		.amdhsa_system_sgpr_workgroup_info 0
		.amdhsa_system_vgpr_workitem_id 0
		.amdhsa_next_free_vgpr 6
		.amdhsa_next_free_sgpr 16
		.amdhsa_reserve_vcc 1
		.amdhsa_float_round_mode_32 0
		.amdhsa_float_round_mode_16_64 0
		.amdhsa_float_denorm_mode_32 3
		.amdhsa_float_denorm_mode_16_64 3
		.amdhsa_dx10_clamp 1
		.amdhsa_ieee_mode 1
		.amdhsa_fp16_overflow 0
		.amdhsa_workgroup_processor_mode 1
		.amdhsa_memory_ordered 1
		.amdhsa_forward_progress 0
		.amdhsa_shared_vgpr_count 0
		.amdhsa_exception_fp_ieee_invalid_op 0
		.amdhsa_exception_fp_denorm_src 0
		.amdhsa_exception_fp_ieee_div_zero 0
		.amdhsa_exception_fp_ieee_overflow 0
		.amdhsa_exception_fp_ieee_underflow 0
		.amdhsa_exception_fp_ieee_inexact 0
		.amdhsa_exception_int_div_zero 0
	.end_amdhsa_kernel
	.section	.text._ZN7rocprim6detail16transform_kernelINS0_24wrapped_transform_configINS_14default_configE6__halfEES4_PS4_S6_NS_8identityIS4_EEEEvT1_mT2_T3_,"axG",@progbits,_ZN7rocprim6detail16transform_kernelINS0_24wrapped_transform_configINS_14default_configE6__halfEES4_PS4_S6_NS_8identityIS4_EEEEvT1_mT2_T3_,comdat
.Lfunc_end10:
	.size	_ZN7rocprim6detail16transform_kernelINS0_24wrapped_transform_configINS_14default_configE6__halfEES4_PS4_S6_NS_8identityIS4_EEEEvT1_mT2_T3_, .Lfunc_end10-_ZN7rocprim6detail16transform_kernelINS0_24wrapped_transform_configINS_14default_configE6__halfEES4_PS4_S6_NS_8identityIS4_EEEEvT1_mT2_T3_
                                        ; -- End function
	.section	.AMDGPU.csdata,"",@progbits
; Kernel info:
; codeLenInByte = 316
; NumSgprs: 18
; NumVgprs: 6
; ScratchSize: 0
; MemoryBound: 0
; FloatMode: 240
; IeeeMode: 1
; LDSByteSize: 0 bytes/workgroup (compile time only)
; SGPRBlocks: 2
; VGPRBlocks: 0
; NumSGPRsForWavesPerEU: 18
; NumVGPRsForWavesPerEU: 6
; Occupancy: 16
; WaveLimiterHint : 1
; COMPUTE_PGM_RSRC2:SCRATCH_EN: 0
; COMPUTE_PGM_RSRC2:USER_SGPR: 15
; COMPUTE_PGM_RSRC2:TRAP_HANDLER: 0
; COMPUTE_PGM_RSRC2:TGID_X_EN: 1
; COMPUTE_PGM_RSRC2:TGID_Y_EN: 0
; COMPUTE_PGM_RSRC2:TGID_Z_EN: 0
; COMPUTE_PGM_RSRC2:TIDIG_COMP_CNT: 0
	.section	.text._ZN7rocprim6detail18single_scan_kernelILb0ENS0_19wrapped_scan_configINS_14default_configE6__halfEEPS4_S6_N6hipcub3MaxES4_S4_EEvT1_mT4_T2_T3_,"axG",@progbits,_ZN7rocprim6detail18single_scan_kernelILb0ENS0_19wrapped_scan_configINS_14default_configE6__halfEEPS4_S6_N6hipcub3MaxES4_S4_EEvT1_mT4_T2_T3_,comdat
	.protected	_ZN7rocprim6detail18single_scan_kernelILb0ENS0_19wrapped_scan_configINS_14default_configE6__halfEEPS4_S6_N6hipcub3MaxES4_S4_EEvT1_mT4_T2_T3_ ; -- Begin function _ZN7rocprim6detail18single_scan_kernelILb0ENS0_19wrapped_scan_configINS_14default_configE6__halfEEPS4_S6_N6hipcub3MaxES4_S4_EEvT1_mT4_T2_T3_
	.globl	_ZN7rocprim6detail18single_scan_kernelILb0ENS0_19wrapped_scan_configINS_14default_configE6__halfEEPS4_S6_N6hipcub3MaxES4_S4_EEvT1_mT4_T2_T3_
	.p2align	8
	.type	_ZN7rocprim6detail18single_scan_kernelILb0ENS0_19wrapped_scan_configINS_14default_configE6__halfEEPS4_S6_N6hipcub3MaxES4_S4_EEvT1_mT4_T2_T3_,@function
_ZN7rocprim6detail18single_scan_kernelILb0ENS0_19wrapped_scan_configINS_14default_configE6__halfEEPS4_S6_N6hipcub3MaxES4_S4_EEvT1_mT4_T2_T3_: ; @_ZN7rocprim6detail18single_scan_kernelILb0ENS0_19wrapped_scan_configINS_14default_configE6__halfEEPS4_S6_N6hipcub3MaxES4_S4_EEvT1_mT4_T2_T3_
; %bb.0:
	s_load_b128 s[20:23], s[0:1], 0x0
	v_mov_b32_e32 v1, 0
	v_lshlrev_b32_e32 v11, 1, v0
	s_waitcnt lgkmcnt(0)
	global_load_u16 v3, v1, s[20:21]
	v_add_co_u32 v1, s2, s20, v11
	s_delay_alu instid0(VALU_DEP_1)
	v_add_co_ci_u32_e64 v2, null, s21, 0, s2
	v_cmp_gt_u32_e32 vcc_lo, s22, v0
	s_waitcnt vmcnt(0)
	v_mov_b32_e32 v4, v3
	s_and_saveexec_b32 s2, vcc_lo
	s_cbranch_execz .LBB11_2
; %bb.1:
	global_load_u16 v4, v[1:2], off
.LBB11_2:
	s_or_b32 exec_lo, exec_lo, s2
	v_or_b32_e32 v5, 64, v0
	s_delay_alu instid0(VALU_DEP_1) | instskip(SKIP_1) | instid1(VALU_DEP_2)
	v_cmp_gt_u32_e64 s2, s22, v5
	v_mov_b32_e32 v5, v3
	s_and_saveexec_b32 s3, s2
	s_cbranch_execz .LBB11_4
; %bb.3:
	global_load_u16 v5, v[1:2], off offset:128
.LBB11_4:
	s_or_b32 exec_lo, exec_lo, s3
	v_or_b32_e32 v6, 0x80, v0
	s_delay_alu instid0(VALU_DEP_1) | instskip(SKIP_1) | instid1(VALU_DEP_2)
	v_cmp_gt_u32_e64 s3, s22, v6
	v_mov_b32_e32 v6, v3
	s_and_saveexec_b32 s4, s3
	s_cbranch_execz .LBB11_6
; %bb.5:
	global_load_u16 v6, v[1:2], off offset:256
.LBB11_6:
	;; [unrolled: 10-line block ×20, first 2 shown]
	s_or_b32 exec_lo, exec_lo, s23
	v_or_b32_e32 v26, 0x540, v0
	s_delay_alu instid0(VALU_DEP_1) | instskip(NEXT) | instid1(VALU_DEP_1)
	v_cmp_gt_u32_e64 s22, s22, v26
	s_and_saveexec_b32 s23, s22
	s_cbranch_execz .LBB11_44
; %bb.43:
	global_load_u16 v3, v[1:2], off offset:2688
.LBB11_44:
	s_or_b32 exec_lo, exec_lo, s23
	s_waitcnt vmcnt(0)
	ds_store_b16 v11, v4
	ds_store_b16 v11, v5 offset:128
	ds_store_b16 v11, v6 offset:256
	;; [unrolled: 1-line block ×15, first 2 shown]
	v_mad_u32_u24 v12, v0, 42, v11
	ds_store_b16 v11, v21 offset:2048
	ds_store_b16 v11, v22 offset:2176
	;; [unrolled: 1-line block ×6, first 2 shown]
	s_waitcnt lgkmcnt(0)
	s_barrier
	buffer_gl0_inv
	ds_load_2addr_b32 v[7:8], v12 offset1:1
	ds_load_2addr_b32 v[5:6], v12 offset0:2 offset1:3
	ds_load_2addr_b32 v[3:4], v12 offset0:4 offset1:5
	;; [unrolled: 1-line block ×3, first 2 shown]
	v_lshrrev_b32_e32 v25, 4, v0
	s_mov_b32 s26, exec_lo
	s_delay_alu instid0(VALU_DEP_1) | instskip(NEXT) | instid1(VALU_DEP_1)
	v_and_b32_e32 v25, 2, v25
	v_add_nc_u32_e32 v27, v11, v25
	s_waitcnt lgkmcnt(3)
	v_lshrrev_b32_e32 v15, 16, v7
	v_lshrrev_b32_e32 v16, 16, v8
	s_waitcnt lgkmcnt(2)
	v_lshrrev_b32_e32 v17, 16, v5
	v_lshrrev_b32_e32 v19, 16, v6
	s_waitcnt lgkmcnt(1)
	v_lshrrev_b32_e32 v20, 16, v3
	v_cmp_lt_f16_e64 s23, v7, v15
	v_lshrrev_b32_e32 v21, 16, v4
	s_waitcnt lgkmcnt(0)
	v_lshrrev_b32_e32 v22, 16, v1
	v_lshrrev_b32_e32 v23, 16, v2
	v_cndmask_b32_e64 v9, v7, v15, s23
	s_delay_alu instid0(VALU_DEP_1) | instskip(NEXT) | instid1(VALU_DEP_1)
	v_cmp_lt_f16_e64 s23, v9, v8
	v_cndmask_b32_e64 v9, v9, v8, s23
	s_delay_alu instid0(VALU_DEP_1) | instskip(NEXT) | instid1(VALU_DEP_1)
	v_cmp_lt_f16_e64 s23, v9, v16
	v_cndmask_b32_e64 v9, v9, v16, s23
	s_delay_alu instid0(VALU_DEP_1) | instskip(NEXT) | instid1(VALU_DEP_1)
	v_cmp_lt_f16_e64 s23, v9, v5
	v_cndmask_b32_e64 v9, v9, v5, s23
	s_delay_alu instid0(VALU_DEP_1) | instskip(NEXT) | instid1(VALU_DEP_1)
	v_cmp_lt_f16_e64 s23, v9, v17
	v_cndmask_b32_e64 v9, v9, v17, s23
	s_delay_alu instid0(VALU_DEP_1) | instskip(NEXT) | instid1(VALU_DEP_1)
	v_cmp_lt_f16_e64 s23, v9, v6
	v_cndmask_b32_e64 v9, v9, v6, s23
	s_delay_alu instid0(VALU_DEP_1) | instskip(NEXT) | instid1(VALU_DEP_1)
	v_cmp_lt_f16_e64 s23, v9, v19
	v_cndmask_b32_e64 v9, v9, v19, s23
	s_delay_alu instid0(VALU_DEP_1) | instskip(NEXT) | instid1(VALU_DEP_1)
	v_cmp_lt_f16_e64 s23, v9, v3
	v_cndmask_b32_e64 v9, v9, v3, s23
	s_delay_alu instid0(VALU_DEP_1) | instskip(NEXT) | instid1(VALU_DEP_1)
	v_cmp_lt_f16_e64 s23, v9, v20
	v_cndmask_b32_e64 v9, v9, v20, s23
	s_delay_alu instid0(VALU_DEP_1) | instskip(NEXT) | instid1(VALU_DEP_1)
	v_cmp_lt_f16_e64 s23, v9, v4
	v_cndmask_b32_e64 v9, v9, v4, s23
	s_delay_alu instid0(VALU_DEP_1) | instskip(NEXT) | instid1(VALU_DEP_1)
	v_cmp_lt_f16_e64 s23, v9, v21
	v_cndmask_b32_e64 v9, v9, v21, s23
	s_delay_alu instid0(VALU_DEP_1) | instskip(NEXT) | instid1(VALU_DEP_1)
	v_cmp_lt_f16_e64 s23, v9, v1
	v_cndmask_b32_e64 v13, v9, v1, s23
	ds_load_2addr_b32 v[9:10], v12 offset0:8 offset1:9
	v_cmp_lt_f16_e64 s23, v13, v22
	s_delay_alu instid0(VALU_DEP_1) | instskip(NEXT) | instid1(VALU_DEP_1)
	v_cndmask_b32_e64 v13, v13, v22, s23
	v_cmp_lt_f16_e64 s23, v13, v2
	s_delay_alu instid0(VALU_DEP_1) | instskip(NEXT) | instid1(VALU_DEP_1)
	v_cndmask_b32_e64 v13, v13, v2, s23
	v_cmp_lt_f16_e64 s23, v13, v23
	s_delay_alu instid0(VALU_DEP_1)
	v_cndmask_b32_e64 v14, v13, v23, s23
	ds_load_b32 v13, v12 offset:40
	s_waitcnt lgkmcnt(1)
	v_lshrrev_b32_e32 v24, 16, v9
	v_lshrrev_b32_e32 v18, 16, v10
	s_waitcnt lgkmcnt(0)
	v_cmp_lt_f16_e64 s23, v14, v9
	s_barrier
	buffer_gl0_inv
	v_cndmask_b32_e64 v14, v14, v9, s23
	s_delay_alu instid0(VALU_DEP_1) | instskip(NEXT) | instid1(VALU_DEP_1)
	v_cmp_lt_f16_e64 s23, v14, v24
	v_cndmask_b32_e64 v14, v14, v24, s23
	s_delay_alu instid0(VALU_DEP_1) | instskip(NEXT) | instid1(VALU_DEP_1)
	v_cmp_lt_f16_e64 s23, v14, v10
	;; [unrolled: 3-line block ×3, first 2 shown]
	v_cndmask_b32_e64 v26, v14, v18, s23
	v_lshrrev_b32_e32 v14, 16, v13
	s_delay_alu instid0(VALU_DEP_2) | instskip(NEXT) | instid1(VALU_DEP_1)
	v_cmp_lt_f16_e64 s23, v26, v13
	v_cndmask_b32_e64 v26, v26, v13, s23
	s_delay_alu instid0(VALU_DEP_1) | instskip(NEXT) | instid1(VALU_DEP_1)
	v_cmp_lt_f16_e64 s23, v26, v14
	v_cndmask_b32_e64 v25, v26, v14, s23
	ds_store_b16 v27, v25
	s_waitcnt lgkmcnt(0)
	s_barrier
	buffer_gl0_inv
	v_cmpx_gt_u32_e32 32, v0
	s_cbranch_execz .LBB11_46
; %bb.45:
	v_lshrrev_b32_e32 v26, 3, v0
	v_mbcnt_lo_u32_b32 v30, -1, 0
	s_delay_alu instid0(VALU_DEP_2) | instskip(NEXT) | instid1(VALU_DEP_2)
	v_and_b32_e32 v26, 6, v26
	v_and_b32_e32 v32, 15, v30
	v_add_nc_u32_e32 v33, -1, v30
	s_delay_alu instid0(VALU_DEP_3)
	v_lshl_or_b32 v26, v0, 2, v26
	ds_load_u16 v27, v26
	ds_load_u16 v28, v26 offset:2
	v_cmp_gt_i32_e64 s25, 0, v33
	s_waitcnt lgkmcnt(0)
	v_cmp_lt_f16_e64 s23, v27, v28
	s_delay_alu instid0(VALU_DEP_1) | instskip(SKIP_1) | instid1(VALU_DEP_2)
	v_cndmask_b32_e64 v29, v27, v28, s23
	v_cmp_eq_u32_e64 s23, 0, v32
	v_and_b32_e32 v31, 0xffff, v29
	s_delay_alu instid0(VALU_DEP_1) | instskip(NEXT) | instid1(VALU_DEP_1)
	v_mov_b32_dpp v31, v31 row_shr:1 row_mask:0xf bank_mask:0xf
	v_cmp_gt_f16_e64 s24, v29, v31
	s_delay_alu instid0(VALU_DEP_1) | instskip(NEXT) | instid1(SALU_CYCLE_1)
	s_or_b32 s23, s23, s24
	v_cndmask_b32_e64 v29, v31, v29, s23
	s_delay_alu instid0(VALU_DEP_1) | instskip(NEXT) | instid1(VALU_DEP_1)
	v_and_b32_e32 v31, 0xffff, v29
	v_mov_b32_dpp v31, v31 row_shr:2 row_mask:0xf bank_mask:0xf
	s_delay_alu instid0(VALU_DEP_1) | instskip(NEXT) | instid1(VALU_DEP_1)
	v_cmp_gt_f16_e64 s23, v29, v31
	v_cndmask_b32_e64 v31, v31, v29, s23
	v_cmp_lt_u32_e64 s23, 1, v32
	s_delay_alu instid0(VALU_DEP_1) | instskip(NEXT) | instid1(VALU_DEP_1)
	v_cndmask_b32_e64 v29, v29, v31, s23
	v_and_b32_e32 v31, 0xffff, v29
	s_delay_alu instid0(VALU_DEP_1) | instskip(NEXT) | instid1(VALU_DEP_1)
	v_mov_b32_dpp v31, v31 row_shr:4 row_mask:0xf bank_mask:0xf
	v_cmp_gt_f16_e64 s23, v29, v31
	s_delay_alu instid0(VALU_DEP_1) | instskip(SKIP_1) | instid1(VALU_DEP_1)
	v_cndmask_b32_e64 v31, v31, v29, s23
	v_cmp_lt_u32_e64 s23, 3, v32
	v_cndmask_b32_e64 v29, v29, v31, s23
	s_delay_alu instid0(VALU_DEP_1) | instskip(NEXT) | instid1(VALU_DEP_1)
	v_and_b32_e32 v31, 0xffff, v29
	v_mov_b32_dpp v31, v31 row_shr:8 row_mask:0xf bank_mask:0xf
	s_delay_alu instid0(VALU_DEP_1) | instskip(NEXT) | instid1(VALU_DEP_1)
	v_cmp_gt_f16_e64 s23, v29, v31
	v_cndmask_b32_e64 v31, v31, v29, s23
	v_cmp_lt_u32_e64 s23, 7, v32
	v_and_b32_e32 v32, 16, v30
	v_cndmask_b32_e64 v30, v33, v30, s25
	s_delay_alu instid0(VALU_DEP_3) | instskip(NEXT) | instid1(VALU_DEP_3)
	v_cndmask_b32_e64 v29, v29, v31, s23
	v_cmp_eq_u32_e64 s23, 0, v32
	s_delay_alu instid0(VALU_DEP_3) | instskip(NEXT) | instid1(VALU_DEP_3)
	v_lshlrev_b32_e32 v30, 2, v30
	v_and_b32_e32 v31, 0xffff, v29
	ds_swizzle_b32 v31, v31 offset:swizzle(BROADCAST,32,15)
	s_waitcnt lgkmcnt(0)
	v_cmp_gt_f16_e64 s24, v29, v31
	s_delay_alu instid0(VALU_DEP_1) | instskip(NEXT) | instid1(SALU_CYCLE_1)
	s_or_b32 s23, s23, s24
	v_cndmask_b32_e64 v29, v31, v29, s23
	s_delay_alu instid0(VALU_DEP_1) | instskip(SKIP_3) | instid1(VALU_DEP_1)
	v_and_b32_e32 v29, 0xffff, v29
	ds_bpermute_b32 v29, v30, v29
	s_waitcnt lgkmcnt(0)
	v_cmp_gt_f16_e64 s23, v27, v29
	v_cndmask_b32_e64 v27, v29, v27, s23
	v_cmp_eq_u32_e64 s23, 0, v0
	s_delay_alu instid0(VALU_DEP_1) | instskip(NEXT) | instid1(VALU_DEP_1)
	v_cndmask_b32_e64 v27, v27, v25, s23
	v_cmp_gt_f16_e64 s23, v28, v27
	s_delay_alu instid0(VALU_DEP_1)
	v_cndmask_b32_e64 v28, v27, v28, s23
	ds_store_b16 v26, v27
	ds_store_b16 v26, v28 offset:2
.LBB11_46:
	s_or_b32 exec_lo, exec_lo, s26
	v_cmp_eq_u32_e64 s23, 0, v0
	s_mov_b32 s25, exec_lo
	s_waitcnt lgkmcnt(0)
	s_barrier
	buffer_gl0_inv
	v_cmpx_ne_u32_e32 0, v0
	s_cbranch_execz .LBB11_48
; %bb.47:
	v_add_nc_u32_e32 v25, -1, v0
	s_delay_alu instid0(VALU_DEP_1) | instskip(NEXT) | instid1(VALU_DEP_1)
	v_lshrrev_b32_e32 v26, 5, v25
	v_add_lshl_u32 v25, v26, v25, 1
	ds_load_u16 v25, v25
.LBB11_48:
	s_or_b32 exec_lo, exec_lo, s25
	s_waitcnt lgkmcnt(0)
	v_cmp_lt_f16_e64 s24, v25, v7
	v_mad_i32_i24 v0, 0xffffffd6, v0, v12
	s_barrier
	buffer_gl0_inv
	s_or_b32 s23, s23, s24
	s_load_b64 s[24:25], s[0:1], 0x18
	v_cndmask_b32_e64 v7, v25, v7, s23
	s_delay_alu instid0(VALU_DEP_1) | instskip(NEXT) | instid1(VALU_DEP_1)
	v_cmp_lt_f16_e64 s23, v7, v15
	v_cndmask_b32_e64 v15, v7, v15, s23
	s_delay_alu instid0(VALU_DEP_1) | instskip(SKIP_1) | instid1(VALU_DEP_2)
	v_cmp_lt_f16_e64 s23, v15, v8
	v_perm_b32 v7, v15, v7, 0x5040100
	v_cndmask_b32_e64 v8, v15, v8, s23
	s_delay_alu instid0(VALU_DEP_1) | instskip(NEXT) | instid1(VALU_DEP_1)
	v_cmp_lt_f16_e64 s23, v8, v16
	v_cndmask_b32_e64 v16, v8, v16, s23
	s_delay_alu instid0(VALU_DEP_1) | instskip(SKIP_1) | instid1(VALU_DEP_2)
	v_cmp_lt_f16_e64 s23, v16, v5
	v_perm_b32 v8, v16, v8, 0x5040100
	;; [unrolled: 7-line block ×10, first 2 shown]
	v_cndmask_b32_e64 v13, v18, v13, s0
	s_delay_alu instid0(VALU_DEP_1) | instskip(NEXT) | instid1(VALU_DEP_1)
	v_cmp_lt_f16_e64 s0, v13, v14
	v_cndmask_b32_e64 v14, v13, v14, s0
	s_delay_alu instid0(VALU_DEP_1)
	v_perm_b32 v13, v14, v13, 0x5040100
	ds_store_2addr_b32 v12, v7, v8 offset1:1
	ds_store_2addr_b32 v12, v5, v6 offset0:2 offset1:3
	ds_store_2addr_b32 v12, v3, v4 offset0:4 offset1:5
	;; [unrolled: 1-line block ×4, first 2 shown]
	ds_store_b32 v12, v13 offset:40
	s_waitcnt lgkmcnt(0)
	s_barrier
	buffer_gl0_inv
	ds_load_u16 v22, v0 offset:256
	ds_load_u16 v21, v0 offset:384
	;; [unrolled: 1-line block ×21, first 2 shown]
	v_add_co_u32 v0, s0, s24, v11
	s_delay_alu instid0(VALU_DEP_1)
	v_add_co_ci_u32_e64 v1, null, s25, 0, s0
	s_and_saveexec_b32 s0, vcc_lo
	s_cbranch_execnz .LBB11_71
; %bb.49:
	s_or_b32 exec_lo, exec_lo, s0
	s_and_saveexec_b32 s0, s2
	s_cbranch_execnz .LBB11_72
.LBB11_50:
	s_or_b32 exec_lo, exec_lo, s0
	s_and_saveexec_b32 s0, s3
	s_cbranch_execnz .LBB11_73
.LBB11_51:
	s_or_b32 exec_lo, exec_lo, s0
	s_and_saveexec_b32 s0, s4
	s_cbranch_execnz .LBB11_74
.LBB11_52:
	s_or_b32 exec_lo, exec_lo, s0
	s_and_saveexec_b32 s0, s5
	s_cbranch_execnz .LBB11_75
.LBB11_53:
	s_or_b32 exec_lo, exec_lo, s0
	s_and_saveexec_b32 s0, s6
	s_cbranch_execnz .LBB11_76
.LBB11_54:
	s_or_b32 exec_lo, exec_lo, s0
	s_and_saveexec_b32 s0, s7
	s_cbranch_execnz .LBB11_77
.LBB11_55:
	s_or_b32 exec_lo, exec_lo, s0
	s_and_saveexec_b32 s0, s8
	s_cbranch_execnz .LBB11_78
.LBB11_56:
	s_or_b32 exec_lo, exec_lo, s0
	s_and_saveexec_b32 s0, s9
	s_cbranch_execnz .LBB11_79
.LBB11_57:
	s_or_b32 exec_lo, exec_lo, s0
	s_and_saveexec_b32 s0, s10
	s_cbranch_execnz .LBB11_80
.LBB11_58:
	s_or_b32 exec_lo, exec_lo, s0
	s_and_saveexec_b32 s0, s11
	s_cbranch_execnz .LBB11_81
.LBB11_59:
	s_or_b32 exec_lo, exec_lo, s0
	s_and_saveexec_b32 s0, s12
	s_cbranch_execnz .LBB11_82
.LBB11_60:
	s_or_b32 exec_lo, exec_lo, s0
	s_and_saveexec_b32 s0, s13
	s_cbranch_execnz .LBB11_83
.LBB11_61:
	s_or_b32 exec_lo, exec_lo, s0
	s_and_saveexec_b32 s0, s14
	s_cbranch_execnz .LBB11_84
.LBB11_62:
	s_or_b32 exec_lo, exec_lo, s0
	s_and_saveexec_b32 s0, s15
	s_cbranch_execnz .LBB11_85
.LBB11_63:
	s_or_b32 exec_lo, exec_lo, s0
	s_and_saveexec_b32 s0, s16
	s_cbranch_execnz .LBB11_86
.LBB11_64:
	s_or_b32 exec_lo, exec_lo, s0
	s_and_saveexec_b32 s0, s17
	s_cbranch_execnz .LBB11_87
.LBB11_65:
	s_or_b32 exec_lo, exec_lo, s0
	s_and_saveexec_b32 s0, s18
	s_cbranch_execnz .LBB11_88
.LBB11_66:
	s_or_b32 exec_lo, exec_lo, s0
	s_and_saveexec_b32 s0, s19
	s_cbranch_execnz .LBB11_89
.LBB11_67:
	s_or_b32 exec_lo, exec_lo, s0
	s_and_saveexec_b32 s0, s20
	s_cbranch_execnz .LBB11_90
.LBB11_68:
	s_or_b32 exec_lo, exec_lo, s0
	s_and_saveexec_b32 s0, s21
	s_cbranch_execnz .LBB11_91
.LBB11_69:
	s_or_b32 exec_lo, exec_lo, s0
	s_and_saveexec_b32 s0, s22
	s_cbranch_execnz .LBB11_92
.LBB11_70:
	s_nop 0
	s_sendmsg sendmsg(MSG_DEALLOC_VGPRS)
	s_endpgm
.LBB11_71:
	ds_load_u16 v11, v11
	s_waitcnt lgkmcnt(0)
	global_store_b16 v[0:1], v11, off
	s_or_b32 exec_lo, exec_lo, s0
	s_and_saveexec_b32 s0, s2
	s_cbranch_execz .LBB11_50
.LBB11_72:
	s_waitcnt lgkmcnt(6)
	global_store_b16 v[0:1], v23, off offset:128
	s_or_b32 exec_lo, exec_lo, s0
	s_and_saveexec_b32 s0, s3
	s_cbranch_execz .LBB11_51
.LBB11_73:
	s_waitcnt lgkmcnt(20)
	global_store_b16 v[0:1], v22, off offset:256
	s_or_b32 exec_lo, exec_lo, s0
	s_and_saveexec_b32 s0, s4
	s_cbranch_execz .LBB11_52
.LBB11_74:
	s_waitcnt lgkmcnt(19)
	global_store_b16 v[0:1], v21, off offset:384
	s_or_b32 exec_lo, exec_lo, s0
	s_and_saveexec_b32 s0, s5
	s_cbranch_execz .LBB11_53
.LBB11_75:
	s_waitcnt lgkmcnt(18)
	global_store_b16 v[0:1], v20, off offset:512
	s_or_b32 exec_lo, exec_lo, s0
	s_and_saveexec_b32 s0, s6
	s_cbranch_execz .LBB11_54
.LBB11_76:
	s_waitcnt lgkmcnt(17)
	global_store_b16 v[0:1], v19, off offset:640
	s_or_b32 exec_lo, exec_lo, s0
	s_and_saveexec_b32 s0, s7
	s_cbranch_execz .LBB11_55
.LBB11_77:
	s_waitcnt lgkmcnt(16)
	global_store_b16 v[0:1], v18, off offset:768
	s_or_b32 exec_lo, exec_lo, s0
	s_and_saveexec_b32 s0, s8
	s_cbranch_execz .LBB11_56
.LBB11_78:
	s_waitcnt lgkmcnt(15)
	global_store_b16 v[0:1], v17, off offset:896
	s_or_b32 exec_lo, exec_lo, s0
	s_and_saveexec_b32 s0, s9
	s_cbranch_execz .LBB11_57
.LBB11_79:
	s_waitcnt lgkmcnt(14)
	global_store_b16 v[0:1], v16, off offset:1024
	s_or_b32 exec_lo, exec_lo, s0
	s_and_saveexec_b32 s0, s10
	s_cbranch_execz .LBB11_58
.LBB11_80:
	s_waitcnt lgkmcnt(13)
	global_store_b16 v[0:1], v15, off offset:1152
	s_or_b32 exec_lo, exec_lo, s0
	s_and_saveexec_b32 s0, s11
	s_cbranch_execz .LBB11_59
.LBB11_81:
	s_waitcnt lgkmcnt(12)
	global_store_b16 v[0:1], v14, off offset:1280
	s_or_b32 exec_lo, exec_lo, s0
	s_and_saveexec_b32 s0, s12
	s_cbranch_execz .LBB11_60
.LBB11_82:
	s_waitcnt lgkmcnt(11)
	global_store_b16 v[0:1], v13, off offset:1408
	s_or_b32 exec_lo, exec_lo, s0
	s_and_saveexec_b32 s0, s13
	s_cbranch_execz .LBB11_61
.LBB11_83:
	s_waitcnt lgkmcnt(10)
	global_store_b16 v[0:1], v12, off offset:1536
	s_or_b32 exec_lo, exec_lo, s0
	s_and_saveexec_b32 s0, s14
	s_cbranch_execz .LBB11_62
.LBB11_84:
	s_waitcnt lgkmcnt(9)
	global_store_b16 v[0:1], v10, off offset:1664
	s_or_b32 exec_lo, exec_lo, s0
	s_and_saveexec_b32 s0, s15
	s_cbranch_execz .LBB11_63
.LBB11_85:
	s_waitcnt lgkmcnt(8)
	global_store_b16 v[0:1], v9, off offset:1792
	s_or_b32 exec_lo, exec_lo, s0
	s_and_saveexec_b32 s0, s16
	s_cbranch_execz .LBB11_64
.LBB11_86:
	s_waitcnt lgkmcnt(7)
	global_store_b16 v[0:1], v8, off offset:1920
	s_or_b32 exec_lo, exec_lo, s0
	s_and_saveexec_b32 s0, s17
	s_cbranch_execz .LBB11_65
.LBB11_87:
	s_waitcnt lgkmcnt(5)
	global_store_b16 v[0:1], v7, off offset:2048
	s_or_b32 exec_lo, exec_lo, s0
	s_and_saveexec_b32 s0, s18
	s_cbranch_execz .LBB11_66
.LBB11_88:
	s_waitcnt lgkmcnt(4)
	global_store_b16 v[0:1], v6, off offset:2176
	s_or_b32 exec_lo, exec_lo, s0
	s_and_saveexec_b32 s0, s19
	s_cbranch_execz .LBB11_67
.LBB11_89:
	s_waitcnt lgkmcnt(3)
	global_store_b16 v[0:1], v5, off offset:2304
	s_or_b32 exec_lo, exec_lo, s0
	s_and_saveexec_b32 s0, s20
	s_cbranch_execz .LBB11_68
.LBB11_90:
	s_waitcnt lgkmcnt(2)
	global_store_b16 v[0:1], v4, off offset:2432
	s_or_b32 exec_lo, exec_lo, s0
	s_and_saveexec_b32 s0, s21
	s_cbranch_execz .LBB11_69
.LBB11_91:
	s_waitcnt lgkmcnt(1)
	global_store_b16 v[0:1], v3, off offset:2560
	s_or_b32 exec_lo, exec_lo, s0
	s_and_saveexec_b32 s0, s22
	s_cbranch_execz .LBB11_70
.LBB11_92:
	s_waitcnt lgkmcnt(0)
	global_store_b16 v[0:1], v2, off offset:2688
	s_nop 0
	s_sendmsg sendmsg(MSG_DEALLOC_VGPRS)
	s_endpgm
	.section	.rodata,"a",@progbits
	.p2align	6, 0x0
	.amdhsa_kernel _ZN7rocprim6detail18single_scan_kernelILb0ENS0_19wrapped_scan_configINS_14default_configE6__halfEEPS4_S6_N6hipcub3MaxES4_S4_EEvT1_mT4_T2_T3_
		.amdhsa_group_segment_fixed_size 2816
		.amdhsa_private_segment_fixed_size 0
		.amdhsa_kernarg_size 36
		.amdhsa_user_sgpr_count 15
		.amdhsa_user_sgpr_dispatch_ptr 0
		.amdhsa_user_sgpr_queue_ptr 0
		.amdhsa_user_sgpr_kernarg_segment_ptr 1
		.amdhsa_user_sgpr_dispatch_id 0
		.amdhsa_user_sgpr_private_segment_size 0
		.amdhsa_wavefront_size32 1
		.amdhsa_uses_dynamic_stack 0
		.amdhsa_enable_private_segment 0
		.amdhsa_system_sgpr_workgroup_id_x 1
		.amdhsa_system_sgpr_workgroup_id_y 0
		.amdhsa_system_sgpr_workgroup_id_z 0
		.amdhsa_system_sgpr_workgroup_info 0
		.amdhsa_system_vgpr_workitem_id 0
		.amdhsa_next_free_vgpr 34
		.amdhsa_next_free_sgpr 27
		.amdhsa_reserve_vcc 1
		.amdhsa_float_round_mode_32 0
		.amdhsa_float_round_mode_16_64 0
		.amdhsa_float_denorm_mode_32 3
		.amdhsa_float_denorm_mode_16_64 3
		.amdhsa_dx10_clamp 1
		.amdhsa_ieee_mode 1
		.amdhsa_fp16_overflow 0
		.amdhsa_workgroup_processor_mode 1
		.amdhsa_memory_ordered 1
		.amdhsa_forward_progress 0
		.amdhsa_shared_vgpr_count 0
		.amdhsa_exception_fp_ieee_invalid_op 0
		.amdhsa_exception_fp_denorm_src 0
		.amdhsa_exception_fp_ieee_div_zero 0
		.amdhsa_exception_fp_ieee_overflow 0
		.amdhsa_exception_fp_ieee_underflow 0
		.amdhsa_exception_fp_ieee_inexact 0
		.amdhsa_exception_int_div_zero 0
	.end_amdhsa_kernel
	.section	.text._ZN7rocprim6detail18single_scan_kernelILb0ENS0_19wrapped_scan_configINS_14default_configE6__halfEEPS4_S6_N6hipcub3MaxES4_S4_EEvT1_mT4_T2_T3_,"axG",@progbits,_ZN7rocprim6detail18single_scan_kernelILb0ENS0_19wrapped_scan_configINS_14default_configE6__halfEEPS4_S6_N6hipcub3MaxES4_S4_EEvT1_mT4_T2_T3_,comdat
.Lfunc_end11:
	.size	_ZN7rocprim6detail18single_scan_kernelILb0ENS0_19wrapped_scan_configINS_14default_configE6__halfEEPS4_S6_N6hipcub3MaxES4_S4_EEvT1_mT4_T2_T3_, .Lfunc_end11-_ZN7rocprim6detail18single_scan_kernelILb0ENS0_19wrapped_scan_configINS_14default_configE6__halfEEPS4_S6_N6hipcub3MaxES4_S4_EEvT1_mT4_T2_T3_
                                        ; -- End function
	.section	.AMDGPU.csdata,"",@progbits
; Kernel info:
; codeLenInByte = 4020
; NumSgprs: 29
; NumVgprs: 34
; ScratchSize: 0
; MemoryBound: 0
; FloatMode: 240
; IeeeMode: 1
; LDSByteSize: 2816 bytes/workgroup (compile time only)
; SGPRBlocks: 3
; VGPRBlocks: 4
; NumSGPRsForWavesPerEU: 29
; NumVGPRsForWavesPerEU: 34
; Occupancy: 16
; WaveLimiterHint : 0
; COMPUTE_PGM_RSRC2:SCRATCH_EN: 0
; COMPUTE_PGM_RSRC2:USER_SGPR: 15
; COMPUTE_PGM_RSRC2:TRAP_HANDLER: 0
; COMPUTE_PGM_RSRC2:TGID_X_EN: 1
; COMPUTE_PGM_RSRC2:TGID_Y_EN: 0
; COMPUTE_PGM_RSRC2:TGID_Z_EN: 0
; COMPUTE_PGM_RSRC2:TIDIG_COMP_CNT: 0
	.section	.text._ZN7rocprim6detail31init_lookback_scan_state_kernelINS0_19lookback_scan_stateI12hip_bfloat16Lb1ELb1EEEEEvT_jjPNS5_10value_typeE,"axG",@progbits,_ZN7rocprim6detail31init_lookback_scan_state_kernelINS0_19lookback_scan_stateI12hip_bfloat16Lb1ELb1EEEEEvT_jjPNS5_10value_typeE,comdat
	.protected	_ZN7rocprim6detail31init_lookback_scan_state_kernelINS0_19lookback_scan_stateI12hip_bfloat16Lb1ELb1EEEEEvT_jjPNS5_10value_typeE ; -- Begin function _ZN7rocprim6detail31init_lookback_scan_state_kernelINS0_19lookback_scan_stateI12hip_bfloat16Lb1ELb1EEEEEvT_jjPNS5_10value_typeE
	.globl	_ZN7rocprim6detail31init_lookback_scan_state_kernelINS0_19lookback_scan_stateI12hip_bfloat16Lb1ELb1EEEEEvT_jjPNS5_10value_typeE
	.p2align	8
	.type	_ZN7rocprim6detail31init_lookback_scan_state_kernelINS0_19lookback_scan_stateI12hip_bfloat16Lb1ELb1EEEEEvT_jjPNS5_10value_typeE,@function
_ZN7rocprim6detail31init_lookback_scan_state_kernelINS0_19lookback_scan_stateI12hip_bfloat16Lb1ELb1EEEEEvT_jjPNS5_10value_typeE: ; @_ZN7rocprim6detail31init_lookback_scan_state_kernelINS0_19lookback_scan_stateI12hip_bfloat16Lb1ELb1EEEEEvT_jjPNS5_10value_typeE
; %bb.0:
	s_clause 0x2
	s_load_b32 s6, s[0:1], 0x24
	s_load_b64 s[4:5], s[0:1], 0x10
	s_load_b128 s[0:3], s[0:1], 0x0
	s_waitcnt lgkmcnt(0)
	s_and_b32 s6, s6, 0xffff
	s_cmp_eq_u64 s[4:5], 0
	v_mad_u64_u32 v[1:2], null, s15, s6, v[0:1]
	s_cbranch_scc1 .LBB12_9
; %bb.1:
	s_cmp_lt_u32 s3, s2
	s_mov_b32 s7, 0
	s_cselect_b32 s6, s3, 0
	s_mov_b32 s8, exec_lo
	s_delay_alu instid0(VALU_DEP_1)
	v_cmpx_eq_u32_e64 s6, v1
	s_cbranch_execz .LBB12_8
; %bb.2:
	s_add_i32 s6, s3, 32
	v_mov_b32_e32 v0, 0
	s_lshl_b64 s[6:7], s[6:7], 2
	s_delay_alu instid0(SALU_CYCLE_1) | instskip(SKIP_4) | instid1(VALU_DEP_1)
	s_add_u32 s6, s0, s6
	s_addc_u32 s7, s1, s7
	global_load_b32 v2, v0, s[6:7] glc
	s_waitcnt vmcnt(0)
	v_and_b32_e32 v3, 0xff0000, v2
	v_cmp_ne_u32_e32 vcc_lo, 0, v3
	s_cbranch_vccnz .LBB12_7
; %bb.3:
	s_mov_b32 s3, 1
.LBB12_4:                               ; =>This Loop Header: Depth=1
                                        ;     Child Loop BB12_5 Depth 2
	s_delay_alu instid0(SALU_CYCLE_1)
	s_max_u32 s9, s3, 1
.LBB12_5:                               ;   Parent Loop BB12_4 Depth=1
                                        ; =>  This Inner Loop Header: Depth=2
	s_delay_alu instid0(SALU_CYCLE_1)
	s_add_i32 s9, s9, -1
	s_sleep 1
	s_cmp_eq_u32 s9, 0
	s_cbranch_scc0 .LBB12_5
; %bb.6:                                ;   in Loop: Header=BB12_4 Depth=1
	global_load_b32 v2, v0, s[6:7] glc
	s_cmp_lt_u32 s3, 32
	s_cselect_b32 s9, -1, 0
	s_delay_alu instid0(SALU_CYCLE_1) | instskip(SKIP_3) | instid1(VALU_DEP_1)
	s_cmp_lg_u32 s9, 0
	s_addc_u32 s3, s3, 0
	s_waitcnt vmcnt(0)
	v_and_b32_e32 v3, 0xff0000, v2
	v_cmp_ne_u32_e32 vcc_lo, 0, v3
	s_cbranch_vccz .LBB12_4
.LBB12_7:
	v_mov_b32_e32 v0, 0
	global_store_b16 v0, v2, s[4:5]
.LBB12_8:
	s_or_b32 exec_lo, exec_lo, s8
.LBB12_9:
	s_delay_alu instid0(VALU_DEP_1)
	v_cmp_gt_u32_e32 vcc_lo, s2, v1
	s_and_saveexec_b32 s2, vcc_lo
	s_cbranch_execz .LBB12_11
; %bb.10:
	v_dual_mov_b32 v3, 0 :: v_dual_add_nc_u32 v2, 32, v1
	s_delay_alu instid0(VALU_DEP_1) | instskip(NEXT) | instid1(VALU_DEP_1)
	v_lshlrev_b64 v[4:5], 2, v[2:3]
	v_add_co_u32 v4, vcc_lo, s0, v4
	s_delay_alu instid0(VALU_DEP_2)
	v_add_co_ci_u32_e32 v5, vcc_lo, s1, v5, vcc_lo
	global_store_b32 v[4:5], v3, off
.LBB12_11:
	s_or_b32 exec_lo, exec_lo, s2
	s_delay_alu instid0(SALU_CYCLE_1)
	s_mov_b32 s2, exec_lo
	v_cmpx_gt_u32_e32 32, v1
	s_cbranch_execz .LBB12_13
; %bb.12:
	v_mov_b32_e32 v2, 0
	s_delay_alu instid0(VALU_DEP_1) | instskip(SKIP_1) | instid1(VALU_DEP_2)
	v_lshlrev_b64 v[0:1], 2, v[1:2]
	v_mov_b32_e32 v2, 0xff0000
	v_add_co_u32 v0, vcc_lo, s0, v0
	s_delay_alu instid0(VALU_DEP_3)
	v_add_co_ci_u32_e32 v1, vcc_lo, s1, v1, vcc_lo
	global_store_b32 v[0:1], v2, off
.LBB12_13:
	s_nop 0
	s_sendmsg sendmsg(MSG_DEALLOC_VGPRS)
	s_endpgm
	.section	.rodata,"a",@progbits
	.p2align	6, 0x0
	.amdhsa_kernel _ZN7rocprim6detail31init_lookback_scan_state_kernelINS0_19lookback_scan_stateI12hip_bfloat16Lb1ELb1EEEEEvT_jjPNS5_10value_typeE
		.amdhsa_group_segment_fixed_size 0
		.amdhsa_private_segment_fixed_size 0
		.amdhsa_kernarg_size 280
		.amdhsa_user_sgpr_count 15
		.amdhsa_user_sgpr_dispatch_ptr 0
		.amdhsa_user_sgpr_queue_ptr 0
		.amdhsa_user_sgpr_kernarg_segment_ptr 1
		.amdhsa_user_sgpr_dispatch_id 0
		.amdhsa_user_sgpr_private_segment_size 0
		.amdhsa_wavefront_size32 1
		.amdhsa_uses_dynamic_stack 0
		.amdhsa_enable_private_segment 0
		.amdhsa_system_sgpr_workgroup_id_x 1
		.amdhsa_system_sgpr_workgroup_id_y 0
		.amdhsa_system_sgpr_workgroup_id_z 0
		.amdhsa_system_sgpr_workgroup_info 0
		.amdhsa_system_vgpr_workitem_id 0
		.amdhsa_next_free_vgpr 6
		.amdhsa_next_free_sgpr 16
		.amdhsa_reserve_vcc 1
		.amdhsa_float_round_mode_32 0
		.amdhsa_float_round_mode_16_64 0
		.amdhsa_float_denorm_mode_32 3
		.amdhsa_float_denorm_mode_16_64 3
		.amdhsa_dx10_clamp 1
		.amdhsa_ieee_mode 1
		.amdhsa_fp16_overflow 0
		.amdhsa_workgroup_processor_mode 1
		.amdhsa_memory_ordered 1
		.amdhsa_forward_progress 0
		.amdhsa_shared_vgpr_count 0
		.amdhsa_exception_fp_ieee_invalid_op 0
		.amdhsa_exception_fp_denorm_src 0
		.amdhsa_exception_fp_ieee_div_zero 0
		.amdhsa_exception_fp_ieee_overflow 0
		.amdhsa_exception_fp_ieee_underflow 0
		.amdhsa_exception_fp_ieee_inexact 0
		.amdhsa_exception_int_div_zero 0
	.end_amdhsa_kernel
	.section	.text._ZN7rocprim6detail31init_lookback_scan_state_kernelINS0_19lookback_scan_stateI12hip_bfloat16Lb1ELb1EEEEEvT_jjPNS5_10value_typeE,"axG",@progbits,_ZN7rocprim6detail31init_lookback_scan_state_kernelINS0_19lookback_scan_stateI12hip_bfloat16Lb1ELb1EEEEEvT_jjPNS5_10value_typeE,comdat
.Lfunc_end12:
	.size	_ZN7rocprim6detail31init_lookback_scan_state_kernelINS0_19lookback_scan_stateI12hip_bfloat16Lb1ELb1EEEEEvT_jjPNS5_10value_typeE, .Lfunc_end12-_ZN7rocprim6detail31init_lookback_scan_state_kernelINS0_19lookback_scan_stateI12hip_bfloat16Lb1ELb1EEEEEvT_jjPNS5_10value_typeE
                                        ; -- End function
	.section	.AMDGPU.csdata,"",@progbits
; Kernel info:
; codeLenInByte = 376
; NumSgprs: 18
; NumVgprs: 6
; ScratchSize: 0
; MemoryBound: 0
; FloatMode: 240
; IeeeMode: 1
; LDSByteSize: 0 bytes/workgroup (compile time only)
; SGPRBlocks: 2
; VGPRBlocks: 0
; NumSGPRsForWavesPerEU: 18
; NumVGPRsForWavesPerEU: 6
; Occupancy: 16
; WaveLimiterHint : 0
; COMPUTE_PGM_RSRC2:SCRATCH_EN: 0
; COMPUTE_PGM_RSRC2:USER_SGPR: 15
; COMPUTE_PGM_RSRC2:TRAP_HANDLER: 0
; COMPUTE_PGM_RSRC2:TGID_X_EN: 1
; COMPUTE_PGM_RSRC2:TGID_Y_EN: 0
; COMPUTE_PGM_RSRC2:TGID_Z_EN: 0
; COMPUTE_PGM_RSRC2:TIDIG_COMP_CNT: 0
	.section	.text._ZN7rocprim6detail31init_lookback_scan_state_kernelINS0_19lookback_scan_stateI12hip_bfloat16Lb0ELb1EEEEEvT_jjPNS5_10value_typeE,"axG",@progbits,_ZN7rocprim6detail31init_lookback_scan_state_kernelINS0_19lookback_scan_stateI12hip_bfloat16Lb0ELb1EEEEEvT_jjPNS5_10value_typeE,comdat
	.protected	_ZN7rocprim6detail31init_lookback_scan_state_kernelINS0_19lookback_scan_stateI12hip_bfloat16Lb0ELb1EEEEEvT_jjPNS5_10value_typeE ; -- Begin function _ZN7rocprim6detail31init_lookback_scan_state_kernelINS0_19lookback_scan_stateI12hip_bfloat16Lb0ELb1EEEEEvT_jjPNS5_10value_typeE
	.globl	_ZN7rocprim6detail31init_lookback_scan_state_kernelINS0_19lookback_scan_stateI12hip_bfloat16Lb0ELb1EEEEEvT_jjPNS5_10value_typeE
	.p2align	8
	.type	_ZN7rocprim6detail31init_lookback_scan_state_kernelINS0_19lookback_scan_stateI12hip_bfloat16Lb0ELb1EEEEEvT_jjPNS5_10value_typeE,@function
_ZN7rocprim6detail31init_lookback_scan_state_kernelINS0_19lookback_scan_stateI12hip_bfloat16Lb0ELb1EEEEEvT_jjPNS5_10value_typeE: ; @_ZN7rocprim6detail31init_lookback_scan_state_kernelINS0_19lookback_scan_stateI12hip_bfloat16Lb0ELb1EEEEEvT_jjPNS5_10value_typeE
; %bb.0:
	s_clause 0x2
	s_load_b32 s6, s[0:1], 0x24
	s_load_b64 s[4:5], s[0:1], 0x10
	s_load_b128 s[0:3], s[0:1], 0x0
	s_waitcnt lgkmcnt(0)
	s_and_b32 s6, s6, 0xffff
	s_cmp_eq_u64 s[4:5], 0
	v_mad_u64_u32 v[1:2], null, s15, s6, v[0:1]
	s_cbranch_scc1 .LBB13_6
; %bb.1:
	s_cmp_lt_u32 s3, s2
	s_mov_b32 s7, 0
	s_cselect_b32 s6, s3, 0
	s_mov_b32 s8, exec_lo
	s_delay_alu instid0(VALU_DEP_1)
	v_cmpx_eq_u32_e64 s6, v1
	s_cbranch_execz .LBB13_5
; %bb.2:
	s_add_i32 s6, s3, 32
	v_mov_b32_e32 v2, 0
	s_lshl_b64 s[6:7], s[6:7], 2
	s_delay_alu instid0(SALU_CYCLE_1) | instskip(SKIP_4) | instid1(VALU_DEP_1)
	s_add_u32 s6, s0, s6
	s_addc_u32 s7, s1, s7
	global_load_b32 v0, v2, s[6:7] glc
	s_waitcnt vmcnt(0)
	v_and_b32_e32 v3, 0xff0000, v0
	v_cmp_ne_u32_e32 vcc_lo, 0, v3
	s_cbranch_vccnz .LBB13_4
.LBB13_3:                               ; =>This Inner Loop Header: Depth=1
	global_load_b32 v0, v2, s[6:7] glc
	s_waitcnt vmcnt(0)
	v_and_b32_e32 v3, 0xff0000, v0
	s_delay_alu instid0(VALU_DEP_1)
	v_cmp_eq_u32_e32 vcc_lo, 0, v3
	s_cbranch_vccnz .LBB13_3
.LBB13_4:
	v_mov_b32_e32 v2, 0
	global_store_b16 v2, v0, s[4:5]
.LBB13_5:
	s_or_b32 exec_lo, exec_lo, s8
.LBB13_6:
	s_delay_alu instid0(VALU_DEP_1)
	v_cmp_gt_u32_e32 vcc_lo, s2, v1
	s_and_saveexec_b32 s2, vcc_lo
	s_cbranch_execz .LBB13_8
; %bb.7:
	v_dual_mov_b32 v3, 0 :: v_dual_add_nc_u32 v2, 32, v1
	s_delay_alu instid0(VALU_DEP_1) | instskip(NEXT) | instid1(VALU_DEP_1)
	v_lshlrev_b64 v[4:5], 2, v[2:3]
	v_add_co_u32 v4, vcc_lo, s0, v4
	s_delay_alu instid0(VALU_DEP_2)
	v_add_co_ci_u32_e32 v5, vcc_lo, s1, v5, vcc_lo
	global_store_b32 v[4:5], v3, off
.LBB13_8:
	s_or_b32 exec_lo, exec_lo, s2
	s_delay_alu instid0(SALU_CYCLE_1)
	s_mov_b32 s2, exec_lo
	v_cmpx_gt_u32_e32 32, v1
	s_cbranch_execz .LBB13_10
; %bb.9:
	v_mov_b32_e32 v2, 0
	s_delay_alu instid0(VALU_DEP_1) | instskip(SKIP_1) | instid1(VALU_DEP_2)
	v_lshlrev_b64 v[0:1], 2, v[1:2]
	v_mov_b32_e32 v2, 0xff0000
	v_add_co_u32 v0, vcc_lo, s0, v0
	s_delay_alu instid0(VALU_DEP_3)
	v_add_co_ci_u32_e32 v1, vcc_lo, s1, v1, vcc_lo
	global_store_b32 v[0:1], v2, off
.LBB13_10:
	s_nop 0
	s_sendmsg sendmsg(MSG_DEALLOC_VGPRS)
	s_endpgm
	.section	.rodata,"a",@progbits
	.p2align	6, 0x0
	.amdhsa_kernel _ZN7rocprim6detail31init_lookback_scan_state_kernelINS0_19lookback_scan_stateI12hip_bfloat16Lb0ELb1EEEEEvT_jjPNS5_10value_typeE
		.amdhsa_group_segment_fixed_size 0
		.amdhsa_private_segment_fixed_size 0
		.amdhsa_kernarg_size 280
		.amdhsa_user_sgpr_count 15
		.amdhsa_user_sgpr_dispatch_ptr 0
		.amdhsa_user_sgpr_queue_ptr 0
		.amdhsa_user_sgpr_kernarg_segment_ptr 1
		.amdhsa_user_sgpr_dispatch_id 0
		.amdhsa_user_sgpr_private_segment_size 0
		.amdhsa_wavefront_size32 1
		.amdhsa_uses_dynamic_stack 0
		.amdhsa_enable_private_segment 0
		.amdhsa_system_sgpr_workgroup_id_x 1
		.amdhsa_system_sgpr_workgroup_id_y 0
		.amdhsa_system_sgpr_workgroup_id_z 0
		.amdhsa_system_sgpr_workgroup_info 0
		.amdhsa_system_vgpr_workitem_id 0
		.amdhsa_next_free_vgpr 6
		.amdhsa_next_free_sgpr 16
		.amdhsa_reserve_vcc 1
		.amdhsa_float_round_mode_32 0
		.amdhsa_float_round_mode_16_64 0
		.amdhsa_float_denorm_mode_32 3
		.amdhsa_float_denorm_mode_16_64 3
		.amdhsa_dx10_clamp 1
		.amdhsa_ieee_mode 1
		.amdhsa_fp16_overflow 0
		.amdhsa_workgroup_processor_mode 1
		.amdhsa_memory_ordered 1
		.amdhsa_forward_progress 0
		.amdhsa_shared_vgpr_count 0
		.amdhsa_exception_fp_ieee_invalid_op 0
		.amdhsa_exception_fp_denorm_src 0
		.amdhsa_exception_fp_ieee_div_zero 0
		.amdhsa_exception_fp_ieee_overflow 0
		.amdhsa_exception_fp_ieee_underflow 0
		.amdhsa_exception_fp_ieee_inexact 0
		.amdhsa_exception_int_div_zero 0
	.end_amdhsa_kernel
	.section	.text._ZN7rocprim6detail31init_lookback_scan_state_kernelINS0_19lookback_scan_stateI12hip_bfloat16Lb0ELb1EEEEEvT_jjPNS5_10value_typeE,"axG",@progbits,_ZN7rocprim6detail31init_lookback_scan_state_kernelINS0_19lookback_scan_stateI12hip_bfloat16Lb0ELb1EEEEEvT_jjPNS5_10value_typeE,comdat
.Lfunc_end13:
	.size	_ZN7rocprim6detail31init_lookback_scan_state_kernelINS0_19lookback_scan_stateI12hip_bfloat16Lb0ELb1EEEEEvT_jjPNS5_10value_typeE, .Lfunc_end13-_ZN7rocprim6detail31init_lookback_scan_state_kernelINS0_19lookback_scan_stateI12hip_bfloat16Lb0ELb1EEEEEvT_jjPNS5_10value_typeE
                                        ; -- End function
	.section	.AMDGPU.csdata,"",@progbits
; Kernel info:
; codeLenInByte = 328
; NumSgprs: 18
; NumVgprs: 6
; ScratchSize: 0
; MemoryBound: 0
; FloatMode: 240
; IeeeMode: 1
; LDSByteSize: 0 bytes/workgroup (compile time only)
; SGPRBlocks: 2
; VGPRBlocks: 0
; NumSGPRsForWavesPerEU: 18
; NumVGPRsForWavesPerEU: 6
; Occupancy: 16
; WaveLimiterHint : 0
; COMPUTE_PGM_RSRC2:SCRATCH_EN: 0
; COMPUTE_PGM_RSRC2:USER_SGPR: 15
; COMPUTE_PGM_RSRC2:TRAP_HANDLER: 0
; COMPUTE_PGM_RSRC2:TGID_X_EN: 1
; COMPUTE_PGM_RSRC2:TGID_Y_EN: 0
; COMPUTE_PGM_RSRC2:TGID_Z_EN: 0
; COMPUTE_PGM_RSRC2:TIDIG_COMP_CNT: 0
	.section	.text._ZN7rocprim6detail20lookback_scan_kernelILNS0_25lookback_scan_determinismE0ELb0ENS0_19wrapped_scan_configINS_14default_configE12hip_bfloat16EEPS5_S7_N6hipcub3MaxES5_S5_NS0_19lookback_scan_stateIS5_Lb1ELb1EEEEEvT2_T3_mT5_T4_T7_jPT6_SI_bb,"axG",@progbits,_ZN7rocprim6detail20lookback_scan_kernelILNS0_25lookback_scan_determinismE0ELb0ENS0_19wrapped_scan_configINS_14default_configE12hip_bfloat16EEPS5_S7_N6hipcub3MaxES5_S5_NS0_19lookback_scan_stateIS5_Lb1ELb1EEEEEvT2_T3_mT5_T4_T7_jPT6_SI_bb,comdat
	.protected	_ZN7rocprim6detail20lookback_scan_kernelILNS0_25lookback_scan_determinismE0ELb0ENS0_19wrapped_scan_configINS_14default_configE12hip_bfloat16EEPS5_S7_N6hipcub3MaxES5_S5_NS0_19lookback_scan_stateIS5_Lb1ELb1EEEEEvT2_T3_mT5_T4_T7_jPT6_SI_bb ; -- Begin function _ZN7rocprim6detail20lookback_scan_kernelILNS0_25lookback_scan_determinismE0ELb0ENS0_19wrapped_scan_configINS_14default_configE12hip_bfloat16EEPS5_S7_N6hipcub3MaxES5_S5_NS0_19lookback_scan_stateIS5_Lb1ELb1EEEEEvT2_T3_mT5_T4_T7_jPT6_SI_bb
	.globl	_ZN7rocprim6detail20lookback_scan_kernelILNS0_25lookback_scan_determinismE0ELb0ENS0_19wrapped_scan_configINS_14default_configE12hip_bfloat16EEPS5_S7_N6hipcub3MaxES5_S5_NS0_19lookback_scan_stateIS5_Lb1ELb1EEEEEvT2_T3_mT5_T4_T7_jPT6_SI_bb
	.p2align	8
	.type	_ZN7rocprim6detail20lookback_scan_kernelILNS0_25lookback_scan_determinismE0ELb0ENS0_19wrapped_scan_configINS_14default_configE12hip_bfloat16EEPS5_S7_N6hipcub3MaxES5_S5_NS0_19lookback_scan_stateIS5_Lb1ELb1EEEEEvT2_T3_mT5_T4_T7_jPT6_SI_bb,@function
_ZN7rocprim6detail20lookback_scan_kernelILNS0_25lookback_scan_determinismE0ELb0ENS0_19wrapped_scan_configINS_14default_configE12hip_bfloat16EEPS5_S7_N6hipcub3MaxES5_S5_NS0_19lookback_scan_stateIS5_Lb1ELb1EEEEEvT2_T3_mT5_T4_T7_jPT6_SI_bb: ; @_ZN7rocprim6detail20lookback_scan_kernelILNS0_25lookback_scan_determinismE0ELb0ENS0_19wrapped_scan_configINS_14default_configE12hip_bfloat16EEPS5_S7_N6hipcub3MaxES5_S5_NS0_19lookback_scan_stateIS5_Lb1ELb1EEEEEvT2_T3_mT5_T4_T7_jPT6_SI_bb
; %bb.0:
	s_endpgm
	.section	.rodata,"a",@progbits
	.p2align	6, 0x0
	.amdhsa_kernel _ZN7rocprim6detail20lookback_scan_kernelILNS0_25lookback_scan_determinismE0ELb0ENS0_19wrapped_scan_configINS_14default_configE12hip_bfloat16EEPS5_S7_N6hipcub3MaxES5_S5_NS0_19lookback_scan_stateIS5_Lb1ELb1EEEEEvT2_T3_mT5_T4_T7_jPT6_SI_bb
		.amdhsa_group_segment_fixed_size 0
		.amdhsa_private_segment_fixed_size 0
		.amdhsa_kernarg_size 68
		.amdhsa_user_sgpr_count 15
		.amdhsa_user_sgpr_dispatch_ptr 0
		.amdhsa_user_sgpr_queue_ptr 0
		.amdhsa_user_sgpr_kernarg_segment_ptr 1
		.amdhsa_user_sgpr_dispatch_id 0
		.amdhsa_user_sgpr_private_segment_size 0
		.amdhsa_wavefront_size32 1
		.amdhsa_uses_dynamic_stack 0
		.amdhsa_enable_private_segment 0
		.amdhsa_system_sgpr_workgroup_id_x 1
		.amdhsa_system_sgpr_workgroup_id_y 0
		.amdhsa_system_sgpr_workgroup_id_z 0
		.amdhsa_system_sgpr_workgroup_info 0
		.amdhsa_system_vgpr_workitem_id 0
		.amdhsa_next_free_vgpr 1
		.amdhsa_next_free_sgpr 1
		.amdhsa_reserve_vcc 0
		.amdhsa_float_round_mode_32 0
		.amdhsa_float_round_mode_16_64 0
		.amdhsa_float_denorm_mode_32 3
		.amdhsa_float_denorm_mode_16_64 3
		.amdhsa_dx10_clamp 1
		.amdhsa_ieee_mode 1
		.amdhsa_fp16_overflow 0
		.amdhsa_workgroup_processor_mode 1
		.amdhsa_memory_ordered 1
		.amdhsa_forward_progress 0
		.amdhsa_shared_vgpr_count 0
		.amdhsa_exception_fp_ieee_invalid_op 0
		.amdhsa_exception_fp_denorm_src 0
		.amdhsa_exception_fp_ieee_div_zero 0
		.amdhsa_exception_fp_ieee_overflow 0
		.amdhsa_exception_fp_ieee_underflow 0
		.amdhsa_exception_fp_ieee_inexact 0
		.amdhsa_exception_int_div_zero 0
	.end_amdhsa_kernel
	.section	.text._ZN7rocprim6detail20lookback_scan_kernelILNS0_25lookback_scan_determinismE0ELb0ENS0_19wrapped_scan_configINS_14default_configE12hip_bfloat16EEPS5_S7_N6hipcub3MaxES5_S5_NS0_19lookback_scan_stateIS5_Lb1ELb1EEEEEvT2_T3_mT5_T4_T7_jPT6_SI_bb,"axG",@progbits,_ZN7rocprim6detail20lookback_scan_kernelILNS0_25lookback_scan_determinismE0ELb0ENS0_19wrapped_scan_configINS_14default_configE12hip_bfloat16EEPS5_S7_N6hipcub3MaxES5_S5_NS0_19lookback_scan_stateIS5_Lb1ELb1EEEEEvT2_T3_mT5_T4_T7_jPT6_SI_bb,comdat
.Lfunc_end14:
	.size	_ZN7rocprim6detail20lookback_scan_kernelILNS0_25lookback_scan_determinismE0ELb0ENS0_19wrapped_scan_configINS_14default_configE12hip_bfloat16EEPS5_S7_N6hipcub3MaxES5_S5_NS0_19lookback_scan_stateIS5_Lb1ELb1EEEEEvT2_T3_mT5_T4_T7_jPT6_SI_bb, .Lfunc_end14-_ZN7rocprim6detail20lookback_scan_kernelILNS0_25lookback_scan_determinismE0ELb0ENS0_19wrapped_scan_configINS_14default_configE12hip_bfloat16EEPS5_S7_N6hipcub3MaxES5_S5_NS0_19lookback_scan_stateIS5_Lb1ELb1EEEEEvT2_T3_mT5_T4_T7_jPT6_SI_bb
                                        ; -- End function
	.section	.AMDGPU.csdata,"",@progbits
; Kernel info:
; codeLenInByte = 4
; NumSgprs: 0
; NumVgprs: 0
; ScratchSize: 0
; MemoryBound: 0
; FloatMode: 240
; IeeeMode: 1
; LDSByteSize: 0 bytes/workgroup (compile time only)
; SGPRBlocks: 0
; VGPRBlocks: 0
; NumSGPRsForWavesPerEU: 1
; NumVGPRsForWavesPerEU: 1
; Occupancy: 16
; WaveLimiterHint : 0
; COMPUTE_PGM_RSRC2:SCRATCH_EN: 0
; COMPUTE_PGM_RSRC2:USER_SGPR: 15
; COMPUTE_PGM_RSRC2:TRAP_HANDLER: 0
; COMPUTE_PGM_RSRC2:TGID_X_EN: 1
; COMPUTE_PGM_RSRC2:TGID_Y_EN: 0
; COMPUTE_PGM_RSRC2:TGID_Z_EN: 0
; COMPUTE_PGM_RSRC2:TIDIG_COMP_CNT: 0
	.section	.text._ZN7rocprim6detail20lookback_scan_kernelILNS0_25lookback_scan_determinismE0ELb0ENS0_19wrapped_scan_configINS_14default_configE12hip_bfloat16EEPS5_S7_N6hipcub3MaxES5_S5_NS0_19lookback_scan_stateIS5_Lb0ELb1EEEEEvT2_T3_mT5_T4_T7_jPT6_SI_bb,"axG",@progbits,_ZN7rocprim6detail20lookback_scan_kernelILNS0_25lookback_scan_determinismE0ELb0ENS0_19wrapped_scan_configINS_14default_configE12hip_bfloat16EEPS5_S7_N6hipcub3MaxES5_S5_NS0_19lookback_scan_stateIS5_Lb0ELb1EEEEEvT2_T3_mT5_T4_T7_jPT6_SI_bb,comdat
	.protected	_ZN7rocprim6detail20lookback_scan_kernelILNS0_25lookback_scan_determinismE0ELb0ENS0_19wrapped_scan_configINS_14default_configE12hip_bfloat16EEPS5_S7_N6hipcub3MaxES5_S5_NS0_19lookback_scan_stateIS5_Lb0ELb1EEEEEvT2_T3_mT5_T4_T7_jPT6_SI_bb ; -- Begin function _ZN7rocprim6detail20lookback_scan_kernelILNS0_25lookback_scan_determinismE0ELb0ENS0_19wrapped_scan_configINS_14default_configE12hip_bfloat16EEPS5_S7_N6hipcub3MaxES5_S5_NS0_19lookback_scan_stateIS5_Lb0ELb1EEEEEvT2_T3_mT5_T4_T7_jPT6_SI_bb
	.globl	_ZN7rocprim6detail20lookback_scan_kernelILNS0_25lookback_scan_determinismE0ELb0ENS0_19wrapped_scan_configINS_14default_configE12hip_bfloat16EEPS5_S7_N6hipcub3MaxES5_S5_NS0_19lookback_scan_stateIS5_Lb0ELb1EEEEEvT2_T3_mT5_T4_T7_jPT6_SI_bb
	.p2align	8
	.type	_ZN7rocprim6detail20lookback_scan_kernelILNS0_25lookback_scan_determinismE0ELb0ENS0_19wrapped_scan_configINS_14default_configE12hip_bfloat16EEPS5_S7_N6hipcub3MaxES5_S5_NS0_19lookback_scan_stateIS5_Lb0ELb1EEEEEvT2_T3_mT5_T4_T7_jPT6_SI_bb,@function
_ZN7rocprim6detail20lookback_scan_kernelILNS0_25lookback_scan_determinismE0ELb0ENS0_19wrapped_scan_configINS_14default_configE12hip_bfloat16EEPS5_S7_N6hipcub3MaxES5_S5_NS0_19lookback_scan_stateIS5_Lb0ELb1EEEEEvT2_T3_mT5_T4_T7_jPT6_SI_bb: ; @_ZN7rocprim6detail20lookback_scan_kernelILNS0_25lookback_scan_determinismE0ELb0ENS0_19wrapped_scan_configINS_14default_configE12hip_bfloat16EEPS5_S7_N6hipcub3MaxES5_S5_NS0_19lookback_scan_stateIS5_Lb0ELb1EEEEEvT2_T3_mT5_T4_T7_jPT6_SI_bb
; %bb.0:
	s_clause 0x2
	s_load_b32 s4, s[0:1], 0x28
	s_load_b64 s[2:3], s[0:1], 0x10
	s_load_b128 s[8:11], s[0:1], 0x0
	s_mov_b32 s5, 0
	v_lshlrev_b32_e32 v6, 1, v0
	s_waitcnt lgkmcnt(0)
	s_add_i32 s4, s4, -1
	s_delay_alu instid0(SALU_CYCLE_1) | instskip(NEXT) | instid1(SALU_CYCLE_1)
	s_mul_i32 s6, s4, 0x580
	s_sub_u32 s14, s2, s6
	s_subb_u32 s16, s3, 0
	s_cmp_lg_u32 s15, s4
	s_mul_i32 s4, s15, 0x580
	s_cselect_b32 s17, -1, 0
	s_lshl_b64 s[12:13], s[4:5], 1
	s_mov_b32 s3, -1
	s_add_u32 s4, s8, s12
	s_addc_u32 s5, s9, s13
	s_and_b32 vcc_lo, exec_lo, s17
	s_cbranch_vccz .LBB15_2
; %bb.1:
	s_clause 0x15
	global_load_u16 v1, v6, s[4:5]
	global_load_u16 v2, v6, s[4:5] offset:128
	global_load_u16 v3, v6, s[4:5] offset:256
	;; [unrolled: 1-line block ×21, first 2 shown]
	s_mov_b32 s3, 0
	s_waitcnt vmcnt(21)
	ds_store_b16 v6, v1
	s_waitcnt vmcnt(20)
	ds_store_b16 v6, v2 offset:128
	s_waitcnt vmcnt(19)
	ds_store_b16 v6, v3 offset:256
	;; [unrolled: 2-line block ×21, first 2 shown]
	s_waitcnt lgkmcnt(0)
	s_barrier
.LBB15_2:
	v_cmp_gt_u32_e64 s2, s14, v0
	s_and_not1_b32 vcc_lo, exec_lo, s3
	s_cbranch_vccnz .LBB15_48
; %bb.3:
	v_mov_b32_e32 v1, 0
	global_load_u16 v3, v1, s[4:5]
	v_add_co_u32 v1, s3, s4, v6
	s_delay_alu instid0(VALU_DEP_1)
	v_add_co_ci_u32_e64 v2, null, s5, 0, s3
	s_waitcnt vmcnt(0)
	v_mov_b32_e32 v4, v3
	s_and_saveexec_b32 s3, s2
	s_cbranch_execz .LBB15_5
; %bb.4:
	global_load_u16 v4, v[1:2], off
.LBB15_5:
	s_or_b32 exec_lo, exec_lo, s3
	v_or_b32_e32 v5, 64, v0
	s_delay_alu instid0(VALU_DEP_1)
	v_cmp_gt_u32_e32 vcc_lo, s14, v5
	v_mov_b32_e32 v5, v3
	s_and_saveexec_b32 s2, vcc_lo
	s_cbranch_execz .LBB15_7
; %bb.6:
	global_load_u16 v5, v[1:2], off offset:128
.LBB15_7:
	s_or_b32 exec_lo, exec_lo, s2
	v_or_b32_e32 v7, 0x80, v0
	s_delay_alu instid0(VALU_DEP_1)
	v_cmp_gt_u32_e32 vcc_lo, s14, v7
	v_mov_b32_e32 v7, v3
	s_and_saveexec_b32 s2, vcc_lo
	s_cbranch_execz .LBB15_9
; %bb.8:
	global_load_u16 v7, v[1:2], off offset:256
.LBB15_9:
	;; [unrolled: 10-line block ×20, first 2 shown]
	s_or_b32 exec_lo, exec_lo, s2
	v_or_b32_e32 v26, 0x540, v0
	s_mov_b32 s2, exec_lo
	s_delay_alu instid0(VALU_DEP_1)
	v_cmpx_gt_u32_e64 s14, v26
	s_cbranch_execz .LBB15_47
; %bb.46:
	global_load_u16 v3, v[1:2], off offset:2688
.LBB15_47:
	s_or_b32 exec_lo, exec_lo, s2
	s_waitcnt vmcnt(0)
	ds_store_b16 v6, v4
	ds_store_b16 v6, v5 offset:128
	ds_store_b16 v6, v7 offset:256
	;; [unrolled: 1-line block ×21, first 2 shown]
	s_waitcnt lgkmcnt(0)
	s_barrier
.LBB15_48:
	v_mul_u32_u24_e32 v7, 22, v0
	buffer_gl0_inv
	s_load_b64 s[8:9], s[0:1], 0x20
	v_lshrrev_b32_e32 v51, 5, v0
	v_cmp_gt_u32_e32 vcc_lo, 32, v0
	v_lshlrev_b32_e32 v8, 1, v7
	s_cmp_lg_u32 s15, 0
	ds_load_2addr_b32 v[1:2], v8 offset1:1
	ds_load_2addr_b32 v[3:4], v8 offset0:2 offset1:3
	ds_load_2addr_b32 v[9:10], v8 offset0:4 offset1:5
	;; [unrolled: 1-line block ×4, first 2 shown]
	ds_load_b32 v5, v8 offset:40
	s_waitcnt lgkmcnt(0)
	s_barrier
	buffer_gl0_inv
	v_lshrrev_b32_e32 v36, 16, v1
	v_lshrrev_b32_e32 v31, 16, v2
	v_and_b32_e32 v35, 0xffff, v2
	v_lshrrev_b32_e32 v27, 16, v3
	v_lshrrev_b32_e32 v22, 16, v4
	v_and_b32_e32 v32, 0xffff, v3
	v_and_b32_e32 v28, 0xffff, v4
	v_lshrrev_b32_e32 v20, 16, v9
	v_lshrrev_b32_e32 v18, 16, v10
	v_and_b32_e32 v24, 0xffff, v9
	;; [unrolled: 4-line block ×4, first 2 shown]
	v_and_b32_e32 v13, 0xffff, v26
	v_lshrrev_b32_e32 v9, 16, v5
	v_and_b32_e32 v11, 0xffff, v5
	v_lshlrev_b32_e32 v50, 16, v36
	v_lshlrev_b32_e32 v49, 16, v35
	;; [unrolled: 1-line block ×21, first 2 shown]
	s_cbranch_scc0 .LBB15_77
; %bb.49:
	v_lshlrev_b32_e32 v52, 16, v1
	v_add_lshl_u32 v4, v51, v0, 1
	s_delay_alu instid0(VALU_DEP_2) | instskip(NEXT) | instid1(VALU_DEP_1)
	v_cmp_lt_f32_e64 s2, v52, v50
	v_cndmask_b32_e64 v2, v1, v36, s2
	s_delay_alu instid0(VALU_DEP_1) | instskip(NEXT) | instid1(VALU_DEP_1)
	v_lshlrev_b32_e32 v3, 16, v2
	v_cmp_lt_f32_e64 s2, v3, v49
	s_delay_alu instid0(VALU_DEP_1) | instskip(NEXT) | instid1(VALU_DEP_1)
	v_cndmask_b32_e64 v2, v2, v35, s2
	v_lshlrev_b32_e32 v3, 16, v2
	s_delay_alu instid0(VALU_DEP_1) | instskip(NEXT) | instid1(VALU_DEP_1)
	v_cmp_lt_f32_e64 s2, v3, v48
	v_cndmask_b32_e64 v2, v2, v31, s2
	s_delay_alu instid0(VALU_DEP_1) | instskip(NEXT) | instid1(VALU_DEP_1)
	v_lshlrev_b32_e32 v3, 16, v2
	v_cmp_lt_f32_e64 s2, v3, v47
	s_delay_alu instid0(VALU_DEP_1) | instskip(NEXT) | instid1(VALU_DEP_1)
	v_cndmask_b32_e64 v2, v2, v32, s2
	v_lshlrev_b32_e32 v3, 16, v2
	s_delay_alu instid0(VALU_DEP_1) | instskip(NEXT) | instid1(VALU_DEP_1)
	;; [unrolled: 9-line block ×10, first 2 shown]
	v_cmp_lt_f32_e64 s2, v3, v23
	v_cndmask_b32_e64 v53, v2, v9, s2
	ds_store_b16 v4, v53
	s_waitcnt lgkmcnt(0)
	s_barrier
	buffer_gl0_inv
	s_and_saveexec_b32 s5, vcc_lo
	s_cbranch_execz .LBB15_51
; %bb.50:
	v_lshrrev_b32_e32 v2, 3, v0
	v_mbcnt_lo_u32_b32 v60, -1, 0
	s_delay_alu instid0(VALU_DEP_2) | instskip(NEXT) | instid1(VALU_DEP_1)
	v_and_b32_e32 v2, 6, v2
	v_lshl_or_b32 v2, v0, 2, v2
	ds_load_b32 v3, v2
	s_waitcnt lgkmcnt(0)
	v_and_b32_e32 v4, 0xffff0000, v3
	v_lshlrev_b32_e32 v5, 16, v3
	v_lshrrev_b32_e32 v54, 16, v3
	s_delay_alu instid0(VALU_DEP_2) | instskip(NEXT) | instid1(VALU_DEP_1)
	v_cmp_lt_f32_e64 s2, v5, v4
	v_cndmask_b32_e64 v55, v3, v54, s2
	s_delay_alu instid0(VALU_DEP_1) | instskip(SKIP_1) | instid1(VALU_DEP_2)
	v_and_b32_e32 v56, 0xffff, v55
	v_lshlrev_b32_e32 v58, 16, v55
	v_mov_b32_dpp v57, v56 row_shr:1 row_mask:0xf bank_mask:0xf
	s_delay_alu instid0(VALU_DEP_1) | instskip(NEXT) | instid1(VALU_DEP_1)
	v_lshlrev_b32_e32 v59, 16, v57
	v_cmp_lt_f32_e64 s2, v59, v58
	v_and_b32_e32 v58, 15, v60
	s_delay_alu instid0(VALU_DEP_2) | instskip(NEXT) | instid1(VALU_DEP_2)
	v_cndmask_b32_e64 v57, v57, v55, s2
	v_cmp_eq_u32_e64 s2, 0, v58
	s_delay_alu instid0(VALU_DEP_2) | instskip(NEXT) | instid1(VALU_DEP_2)
	v_and_b32_e32 v59, 0xffff, v57
	v_cndmask_b32_e64 v55, v57, v55, s2
	s_delay_alu instid0(VALU_DEP_2) | instskip(NEXT) | instid1(VALU_DEP_1)
	v_cndmask_b32_e64 v56, v59, v56, s2
	v_mov_b32_dpp v59, v56 row_shr:2 row_mask:0xf bank_mask:0xf
	v_lshlrev_b32_e32 v61, 16, v56
	s_delay_alu instid0(VALU_DEP_2) | instskip(NEXT) | instid1(VALU_DEP_1)
	v_lshlrev_b32_e32 v62, 16, v59
	v_cmp_lt_f32_e64 s2, v62, v61
	s_delay_alu instid0(VALU_DEP_1) | instskip(SKIP_1) | instid1(VALU_DEP_2)
	v_cndmask_b32_e64 v57, v59, v55, s2
	v_cmp_lt_u32_e64 s2, 1, v58
	v_and_b32_e32 v59, 0xffff, v57
	s_delay_alu instid0(VALU_DEP_2) | instskip(NEXT) | instid1(VALU_DEP_2)
	v_cndmask_b32_e64 v55, v55, v57, s2
	v_cndmask_b32_e64 v56, v56, v59, s2
	s_delay_alu instid0(VALU_DEP_1) | instskip(SKIP_1) | instid1(VALU_DEP_2)
	v_mov_b32_dpp v59, v56 row_shr:4 row_mask:0xf bank_mask:0xf
	v_lshlrev_b32_e32 v61, 16, v56
	v_lshlrev_b32_e32 v62, 16, v59
	s_delay_alu instid0(VALU_DEP_1) | instskip(NEXT) | instid1(VALU_DEP_1)
	v_cmp_lt_f32_e64 s2, v62, v61
	v_cndmask_b32_e64 v57, v59, v55, s2
	v_cmp_lt_u32_e64 s2, 3, v58
	s_delay_alu instid0(VALU_DEP_2) | instskip(NEXT) | instid1(VALU_DEP_2)
	v_and_b32_e32 v59, 0xffff, v57
	v_cndmask_b32_e64 v55, v55, v57, s2
	s_delay_alu instid0(VALU_DEP_2) | instskip(NEXT) | instid1(VALU_DEP_1)
	v_cndmask_b32_e64 v56, v56, v59, s2
	v_mov_b32_dpp v59, v56 row_shr:8 row_mask:0xf bank_mask:0xf
	v_lshlrev_b32_e32 v61, 16, v56
	s_delay_alu instid0(VALU_DEP_2) | instskip(NEXT) | instid1(VALU_DEP_1)
	v_lshlrev_b32_e32 v62, 16, v59
	v_cmp_lt_f32_e64 s2, v62, v61
	v_add_nc_u32_e32 v62, -1, v60
	s_delay_alu instid0(VALU_DEP_2) | instskip(SKIP_1) | instid1(VALU_DEP_2)
	v_cndmask_b32_e64 v57, v59, v55, s2
	v_cmp_lt_u32_e64 s2, 7, v58
	v_and_b32_e32 v59, 0xffff, v57
	s_delay_alu instid0(VALU_DEP_2) | instskip(NEXT) | instid1(VALU_DEP_2)
	v_cndmask_b32_e64 v55, v55, v57, s2
	v_cndmask_b32_e64 v56, v56, v59, s2
	v_and_b32_e32 v59, 16, v60
	v_cmp_gt_i32_e64 s2, 0, v62
	ds_swizzle_b32 v58, v56 offset:swizzle(BROADCAST,32,15)
	v_lshlrev_b32_e32 v56, 16, v56
	v_cmp_eq_u32_e64 s3, 0, v59
	s_waitcnt lgkmcnt(0)
	v_lshlrev_b32_e32 v61, 16, v58
	s_delay_alu instid0(VALU_DEP_1) | instskip(SKIP_1) | instid1(VALU_DEP_2)
	v_cmp_lt_f32_e64 s4, v61, v56
	v_cndmask_b32_e64 v56, v62, v60, s2
	s_or_b32 s2, s3, s4
	s_delay_alu instid0(VALU_DEP_1) | instskip(SKIP_1) | instid1(VALU_DEP_1)
	v_lshlrev_b32_e32 v56, 2, v56
	v_cndmask_b32_e64 v55, v58, v55, s2
	v_and_b32_e32 v55, 0xffff, v55
	ds_bpermute_b32 v55, v56, v55
	s_waitcnt lgkmcnt(0)
	v_lshlrev_b32_e32 v56, 16, v55
	s_delay_alu instid0(VALU_DEP_1) | instskip(NEXT) | instid1(VALU_DEP_1)
	v_cmp_gt_f32_e64 s2, v5, v56
	v_cndmask_b32_e64 v3, v55, v3, s2
	v_cmp_eq_u32_e64 s2, 0, v0
	s_delay_alu instid0(VALU_DEP_1) | instskip(NEXT) | instid1(VALU_DEP_1)
	v_cndmask_b32_e64 v3, v3, v53, s2
	v_lshlrev_b32_e32 v5, 16, v3
	s_delay_alu instid0(VALU_DEP_1) | instskip(NEXT) | instid1(VALU_DEP_1)
	v_cmp_gt_f32_e64 s2, v4, v5
	v_cndmask_b32_e64 v4, v3, v54, s2
	ds_store_b16 v2, v3
	ds_store_b16 v2, v4 offset:2
.LBB15_51:
	s_or_b32 exec_lo, exec_lo, s5
	v_cmp_eq_u32_e64 s2, 0, v0
	s_mov_b32 s4, exec_lo
	s_waitcnt lgkmcnt(0)
	s_barrier
	buffer_gl0_inv
	v_cmpx_ne_u32_e32 0, v0
	s_cbranch_execz .LBB15_53
; %bb.52:
	v_add_nc_u32_e32 v2, -1, v0
	s_delay_alu instid0(VALU_DEP_1) | instskip(NEXT) | instid1(VALU_DEP_1)
	v_lshrrev_b32_e32 v3, 5, v2
	v_add_lshl_u32 v2, v3, v2, 1
	ds_load_u16 v53, v2
.LBB15_53:
	s_or_b32 exec_lo, exec_lo, s4
	s_and_saveexec_b32 s18, vcc_lo
	s_cbranch_execz .LBB15_76
; %bb.54:
	v_mov_b32_e32 v4, 0
	v_mbcnt_lo_u32_b32 v67, -1, 0
	s_mov_b32 s5, 0
	ds_load_u16 v54, v4 offset:128
	v_cmp_eq_u32_e64 s3, 0, v67
	s_waitcnt lgkmcnt(0)
	v_and_b32_e32 v55, 0xffff, v54
	s_delay_alu instid0(VALU_DEP_2)
	s_and_saveexec_b32 s6, s3
	s_cbranch_execz .LBB15_56
; %bb.55:
	s_add_i32 s4, s15, 32
	s_delay_alu instid0(VALU_DEP_1) | instskip(SKIP_1) | instid1(SALU_CYCLE_1)
	v_or_b32_e32 v2, 0x10000, v55
	s_lshl_b64 s[4:5], s[4:5], 2
	s_add_u32 s4, s8, s4
	s_addc_u32 s5, s9, s5
	global_store_b32 v4, v2, s[4:5]
.LBB15_56:
	s_or_b32 exec_lo, exec_lo, s6
	v_xad_u32 v2, v67, -1, s15
	s_mov_b32 s4, exec_lo
	s_delay_alu instid0(VALU_DEP_1) | instskip(NEXT) | instid1(VALU_DEP_1)
	v_add_nc_u32_e32 v3, 32, v2
	v_lshlrev_b64 v[3:4], 2, v[3:4]
	s_delay_alu instid0(VALU_DEP_1) | instskip(NEXT) | instid1(VALU_DEP_2)
	v_add_co_u32 v3, vcc_lo, s8, v3
	v_add_co_ci_u32_e32 v4, vcc_lo, s9, v4, vcc_lo
	global_load_b32 v5, v[3:4], off glc
	s_waitcnt vmcnt(0)
	v_lshrrev_b32_e32 v56, 16, v5
	s_delay_alu instid0(VALU_DEP_1) | instskip(NEXT) | instid1(VALU_DEP_1)
	v_and_b32_e32 v57, 0xff, v56
	v_cmpx_eq_u16_e32 0, v57
	s_cbranch_execz .LBB15_60
; %bb.57:
	s_mov_b32 s5, 0
.LBB15_58:                              ; =>This Inner Loop Header: Depth=1
	global_load_b32 v5, v[3:4], off glc
	s_waitcnt vmcnt(0)
	v_lshrrev_b32_e32 v56, 16, v5
	s_delay_alu instid0(VALU_DEP_1) | instskip(NEXT) | instid1(VALU_DEP_1)
	v_and_b32_e32 v57, 0xff, v56
	v_cmp_ne_u16_e32 vcc_lo, 0, v57
	s_or_b32 s5, vcc_lo, s5
	s_delay_alu instid0(SALU_CYCLE_1)
	s_and_not1_b32 exec_lo, exec_lo, s5
	s_cbranch_execnz .LBB15_58
; %bb.59:
	s_or_b32 exec_lo, exec_lo, s5
.LBB15_60:
	s_delay_alu instid0(SALU_CYCLE_1)
	s_or_b32 exec_lo, exec_lo, s4
	v_cmp_ne_u32_e32 vcc_lo, 31, v67
	v_and_b32_e32 v4, 0xffff, v5
	v_and_b32_e32 v59, 0xff, v56
	v_lshlrev_b32_e64 v58, v67, -1
	v_lshlrev_b32_e32 v60, 16, v5
	v_add_co_ci_u32_e32 v3, vcc_lo, 0, v67, vcc_lo
	s_delay_alu instid0(VALU_DEP_4) | instskip(SKIP_1) | instid1(VALU_DEP_3)
	v_cmp_eq_u16_e32 vcc_lo, 2, v59
	v_cmp_gt_u32_e64 s4, 30, v67
	v_lshlrev_b32_e32 v57, 2, v3
	v_and_or_b32 v62, vcc_lo, v58, 0x80000000
	s_delay_alu instid0(VALU_DEP_3) | instskip(SKIP_4) | instid1(VALU_DEP_1)
	v_cndmask_b32_e64 v61, 0, 1, s4
	ds_bpermute_b32 v3, v57, v4
	v_ctz_i32_b32_e32 v70, v62
	s_waitcnt lgkmcnt(0)
	v_lshlrev_b32_e32 v59, 16, v3
	v_cmp_lt_f32_e32 vcc_lo, v59, v60
	v_add_nc_u32_e32 v59, 1, v67
	v_lshlrev_b32_e32 v60, 1, v61
	v_cndmask_b32_e32 v3, v3, v5, vcc_lo
	s_delay_alu instid0(VALU_DEP_3) | instskip(NEXT) | instid1(VALU_DEP_3)
	v_cmp_le_u32_e64 s4, v59, v70
	v_add_lshl_u32 v60, v60, v67, 2
	v_cmp_gt_u32_e32 vcc_lo, 28, v67
	s_delay_alu instid0(VALU_DEP_4) | instskip(SKIP_1) | instid1(VALU_DEP_2)
	v_and_b32_e32 v61, 0xffff, v3
	v_cndmask_b32_e64 v64, 0, 1, vcc_lo
	v_cndmask_b32_e64 v4, v4, v61, s4
	s_delay_alu instid0(VALU_DEP_1) | instskip(SKIP_4) | instid1(VALU_DEP_1)
	v_lshlrev_b32_e32 v62, 16, v4
	ds_bpermute_b32 v61, v60, v4
	v_cndmask_b32_e64 v3, v5, v3, s4
	s_waitcnt lgkmcnt(0)
	v_lshlrev_b32_e32 v63, 16, v61
	v_cmp_lt_f32_e32 vcc_lo, v63, v62
	s_delay_alu instid0(VALU_DEP_3) | instskip(SKIP_1) | instid1(VALU_DEP_2)
	v_dual_cndmask_b32 v63, v61, v3 :: v_dual_lshlrev_b32 v62, 2, v64
	v_add_nc_u32_e32 v61, 2, v67
	v_add_lshl_u32 v62, v62, v67, 2
	v_cmp_gt_u32_e32 vcc_lo, 24, v67
	s_delay_alu instid0(VALU_DEP_4) | instskip(NEXT) | instid1(VALU_DEP_4)
	v_and_b32_e32 v64, 0xffff, v63
	v_cmp_le_u32_e64 s5, v61, v70
	s_delay_alu instid0(VALU_DEP_1)
	v_cndmask_b32_e64 v4, v4, v64, s5
	v_cndmask_b32_e64 v3, v3, v63, s5
	v_cndmask_b32_e64 v63, 0, 1, vcc_lo
	ds_bpermute_b32 v64, v62, v4
	v_lshlrev_b32_e32 v65, 16, v4
	s_waitcnt lgkmcnt(0)
	v_lshlrev_b32_e32 v66, 16, v64
	s_delay_alu instid0(VALU_DEP_1) | instskip(SKIP_3) | instid1(VALU_DEP_3)
	v_cmp_lt_f32_e32 vcc_lo, v66, v65
	v_cndmask_b32_e32 v65, v64, v3, vcc_lo
	v_lshlrev_b32_e32 v64, 3, v63
	v_add_nc_u32_e32 v63, 4, v67
	v_and_b32_e32 v66, 0xffff, v65
	s_delay_alu instid0(VALU_DEP_3) | instskip(NEXT) | instid1(VALU_DEP_3)
	v_add_lshl_u32 v64, v64, v67, 2
	v_cmp_le_u32_e64 s6, v63, v70
	s_delay_alu instid0(VALU_DEP_1)
	v_cndmask_b32_e64 v66, v4, v66, s6
	v_cndmask_b32_e64 v3, v3, v65, s6
	v_add_nc_u32_e32 v65, 8, v67
	ds_bpermute_b32 v4, v64, v66
	v_lshlrev_b32_e32 v68, 16, v66
	s_waitcnt lgkmcnt(0)
	v_lshlrev_b32_e32 v69, 16, v4
	s_delay_alu instid0(VALU_DEP_1) | instskip(SKIP_2) | instid1(VALU_DEP_2)
	v_cmp_lt_f32_e32 vcc_lo, v69, v68
	v_cndmask_b32_e32 v4, v4, v3, vcc_lo
	v_cmp_gt_u32_e32 vcc_lo, 16, v67
	v_and_b32_e32 v69, 0xffff, v4
	v_cndmask_b32_e64 v68, 0, 1, vcc_lo
	v_cmp_le_u32_e32 vcc_lo, v65, v70
	s_delay_alu instid0(VALU_DEP_2) | instskip(NEXT) | instid1(VALU_DEP_1)
	v_dual_cndmask_b32 v69, v66, v69 :: v_dual_lshlrev_b32 v68, 4, v68
	v_add_lshl_u32 v66, v68, v67, 2
	v_add_nc_u32_e32 v67, 16, v67
	ds_bpermute_b32 v68, v66, v69
	v_cmp_le_u32_e64 s7, v67, v70
	s_delay_alu instid0(VALU_DEP_1) | instskip(NEXT) | instid1(SALU_CYCLE_1)
	s_or_b32 s5, s5, s7
	s_or_b32 s5, s4, s5
	v_cmp_gt_u32_e64 s4, v67, v70
	s_or_b32 s5, s6, s5
	s_delay_alu instid0(SALU_CYCLE_1) | instskip(NEXT) | instid1(SALU_CYCLE_1)
	s_or_b32 s5, vcc_lo, s5
	s_and_saveexec_b32 s6, s5
	s_cbranch_execz .LBB15_62
; %bb.61:
	s_waitcnt lgkmcnt(0)
	v_lshlrev_b32_e32 v5, 16, v68
	v_lshlrev_b32_e32 v69, 16, v69
	v_cndmask_b32_e32 v3, v3, v4, vcc_lo
	s_delay_alu instid0(VALU_DEP_2) | instskip(NEXT) | instid1(VALU_DEP_1)
	v_cmp_lt_f32_e64 s5, v5, v69
	s_or_b32 vcc_lo, s4, s5
	s_delay_alu instid0(VALU_DEP_2)
	v_cndmask_b32_e32 v5, v68, v3, vcc_lo
.LBB15_62:
	s_or_b32 exec_lo, exec_lo, s6
	v_mov_b32_e32 v3, 0
	s_branch .LBB15_64
.LBB15_63:                              ;   in Loop: Header=BB15_64 Depth=1
                                        ; implicit-def: $vgpr5
                                        ; implicit-def: $vgpr56
	s_cbranch_execnz .LBB15_72
.LBB15_64:                              ; =>This Loop Header: Depth=1
                                        ;     Child Loop BB15_67 Depth 2
	v_and_b32_e32 v4, 0xff, v56
	s_waitcnt lgkmcnt(0)
	s_delay_alu instid0(VALU_DEP_2) | instskip(NEXT) | instid1(VALU_DEP_2)
	v_mov_b32_e32 v68, v5
	v_cmp_ne_u16_e32 vcc_lo, 2, v4
	v_cndmask_b32_e64 v4, 0, 1, vcc_lo
	;;#ASMSTART
	;;#ASMEND
	s_delay_alu instid0(VALU_DEP_1)
	v_cmp_ne_u32_e32 vcc_lo, 0, v4
	s_cmp_lg_u32 vcc_lo, exec_lo
	s_cbranch_scc1 .LBB15_63
; %bb.65:                               ;   in Loop: Header=BB15_64 Depth=1
	v_lshlrev_b64 v[4:5], 2, v[2:3]
	s_mov_b32 s4, exec_lo
	s_delay_alu instid0(VALU_DEP_1) | instskip(NEXT) | instid1(VALU_DEP_2)
	v_add_co_u32 v4, vcc_lo, s8, v4
	v_add_co_ci_u32_e32 v5, vcc_lo, s9, v5, vcc_lo
	global_load_b32 v69, v[4:5], off glc
	s_waitcnt vmcnt(0)
	v_lshrrev_b32_e32 v56, 16, v69
	s_delay_alu instid0(VALU_DEP_1) | instskip(NEXT) | instid1(VALU_DEP_1)
	v_and_b32_e32 v70, 0xff, v56
	v_cmpx_eq_u16_e32 0, v70
	s_cbranch_execz .LBB15_69
; %bb.66:                               ;   in Loop: Header=BB15_64 Depth=1
	s_mov_b32 s5, 0
.LBB15_67:                              ;   Parent Loop BB15_64 Depth=1
                                        ; =>  This Inner Loop Header: Depth=2
	global_load_b32 v69, v[4:5], off glc
	s_waitcnt vmcnt(0)
	v_lshrrev_b32_e32 v56, 16, v69
	s_delay_alu instid0(VALU_DEP_1) | instskip(NEXT) | instid1(VALU_DEP_1)
	v_and_b32_e32 v70, 0xff, v56
	v_cmp_ne_u16_e32 vcc_lo, 0, v70
	s_or_b32 s5, vcc_lo, s5
	s_delay_alu instid0(SALU_CYCLE_1)
	s_and_not1_b32 exec_lo, exec_lo, s5
	s_cbranch_execnz .LBB15_67
; %bb.68:                               ;   in Loop: Header=BB15_64 Depth=1
	s_or_b32 exec_lo, exec_lo, s5
.LBB15_69:                              ;   in Loop: Header=BB15_64 Depth=1
	s_delay_alu instid0(SALU_CYCLE_1) | instskip(SKIP_4) | instid1(VALU_DEP_1)
	s_or_b32 exec_lo, exec_lo, s4
	v_and_b32_e32 v4, 0xffff, v69
	v_lshlrev_b32_e32 v71, 16, v69
	ds_bpermute_b32 v5, v57, v4
	v_and_b32_e32 v70, 0xff, v56
	v_cmp_eq_u16_e32 vcc_lo, 2, v70
	v_and_or_b32 v72, vcc_lo, v58, 0x80000000
	s_delay_alu instid0(VALU_DEP_1) | instskip(SKIP_2) | instid1(VALU_DEP_2)
	v_ctz_i32_b32_e32 v72, v72
	s_waitcnt lgkmcnt(0)
	v_lshlrev_b32_e32 v70, 16, v5
	v_cmp_le_u32_e64 s4, v59, v72
	v_cmp_le_u32_e64 s5, v61, v72
	v_cmp_le_u32_e64 s6, v63, v72
	v_cmp_le_u32_e64 s7, v67, v72
	v_cmp_lt_f32_e32 vcc_lo, v70, v71
	v_cndmask_b32_e32 v5, v5, v69, vcc_lo
	s_delay_alu instid0(VALU_DEP_1) | instskip(SKIP_1) | instid1(VALU_DEP_2)
	v_and_b32_e32 v70, 0xffff, v5
	v_cndmask_b32_e64 v5, v69, v5, s4
	v_cndmask_b32_e64 v4, v4, v70, s4
	ds_bpermute_b32 v70, v60, v4
	v_lshlrev_b32_e32 v71, 16, v4
	s_waitcnt lgkmcnt(0)
	v_lshlrev_b32_e32 v73, 16, v70
	s_delay_alu instid0(VALU_DEP_1) | instskip(SKIP_1) | instid1(VALU_DEP_1)
	v_cmp_lt_f32_e32 vcc_lo, v73, v71
	v_cndmask_b32_e32 v70, v70, v5, vcc_lo
	v_and_b32_e32 v71, 0xffff, v70
	v_cndmask_b32_e64 v5, v5, v70, s5
	s_delay_alu instid0(VALU_DEP_2) | instskip(SKIP_1) | instid1(SALU_CYCLE_1)
	v_cndmask_b32_e64 v4, v4, v71, s5
	s_or_b32 s5, s5, s7
	s_or_b32 s5, s4, s5
	v_cmp_gt_u32_e64 s4, v67, v72
	ds_bpermute_b32 v71, v62, v4
	v_lshlrev_b32_e32 v73, 16, v4
	s_or_b32 s5, s6, s5
	s_waitcnt lgkmcnt(0)
	v_lshlrev_b32_e32 v74, 16, v71
	s_delay_alu instid0(VALU_DEP_1) | instskip(SKIP_1) | instid1(VALU_DEP_1)
	v_cmp_lt_f32_e32 vcc_lo, v74, v73
	v_cndmask_b32_e32 v70, v71, v5, vcc_lo
	v_and_b32_e32 v71, 0xffff, v70
	s_delay_alu instid0(VALU_DEP_1)
	v_cndmask_b32_e64 v71, v4, v71, s6
	v_cndmask_b32_e64 v4, v5, v70, s6
	ds_bpermute_b32 v73, v64, v71
	v_lshlrev_b32_e32 v74, 16, v71
	s_waitcnt lgkmcnt(0)
	v_lshlrev_b32_e32 v75, 16, v73
	s_delay_alu instid0(VALU_DEP_1) | instskip(SKIP_2) | instid1(VALU_DEP_2)
	v_cmp_lt_f32_e32 vcc_lo, v75, v74
	v_cndmask_b32_e32 v5, v73, v4, vcc_lo
	v_cmp_le_u32_e32 vcc_lo, v65, v72
	v_and_b32_e32 v70, 0xffff, v5
	s_or_b32 s5, vcc_lo, s5
	s_delay_alu instid0(VALU_DEP_1)
	v_cndmask_b32_e32 v71, v71, v70, vcc_lo
	ds_bpermute_b32 v70, v66, v71
	s_and_saveexec_b32 s6, s5
	s_cbranch_execz .LBB15_71
; %bb.70:                               ;   in Loop: Header=BB15_64 Depth=1
	s_waitcnt lgkmcnt(0)
	v_dual_cndmask_b32 v4, v4, v5 :: v_dual_lshlrev_b32 v69, 16, v70
	v_lshlrev_b32_e32 v71, 16, v71
	s_delay_alu instid0(VALU_DEP_1) | instskip(NEXT) | instid1(VALU_DEP_1)
	v_cmp_lt_f32_e64 s5, v69, v71
	s_or_b32 vcc_lo, s4, s5
	s_delay_alu instid0(VALU_DEP_3)
	v_cndmask_b32_e32 v69, v70, v4, vcc_lo
.LBB15_71:                              ;   in Loop: Header=BB15_64 Depth=1
	s_or_b32 exec_lo, exec_lo, s6
	s_delay_alu instid0(VALU_DEP_1) | instskip(SKIP_2) | instid1(VALU_DEP_2)
	v_lshlrev_b32_e32 v4, 16, v69
	v_lshlrev_b32_e32 v5, 16, v68
	v_subrev_nc_u32_e32 v2, 32, v2
	v_cmp_lt_f32_e32 vcc_lo, v4, v5
	v_cndmask_b32_e32 v5, v69, v68, vcc_lo
	s_branch .LBB15_64
.LBB15_72:
	s_and_saveexec_b32 s4, s3
	s_cbranch_execz .LBB15_74
; %bb.73:
	v_lshlrev_b32_e32 v2, 16, v68
	v_lshlrev_b32_e32 v3, 16, v54
	s_add_i32 s6, s15, 32
	s_mov_b32 s7, 0
	s_delay_alu instid0(SALU_CYCLE_1) | instskip(NEXT) | instid1(VALU_DEP_1)
	s_lshl_b64 s[6:7], s[6:7], 2
	v_cmp_lt_f32_e32 vcc_lo, v2, v3
	v_mov_b32_e32 v3, 0
	s_add_u32 s6, s8, s6
	s_addc_u32 s7, s9, s7
	v_cndmask_b32_e32 v2, v68, v55, vcc_lo
	s_delay_alu instid0(VALU_DEP_1) | instskip(NEXT) | instid1(VALU_DEP_1)
	v_and_b32_e32 v2, 0xffff, v2
	v_or_b32_e32 v2, 0x20000, v2
	global_store_b32 v3, v2, s[6:7]
.LBB15_74:
	s_or_b32 exec_lo, exec_lo, s4
	s_delay_alu instid0(SALU_CYCLE_1)
	s_and_b32 exec_lo, exec_lo, s2
	s_cbranch_execz .LBB15_76
; %bb.75:
	v_mov_b32_e32 v2, 0
	ds_store_b16 v2, v68
.LBB15_76:
	s_or_b32 exec_lo, exec_lo, s18
	s_waitcnt lgkmcnt(0)
	v_dual_mov_b32 v2, 0 :: v_dual_lshlrev_b32 v3, 16, v53
	s_waitcnt_vscnt null, 0x0
	s_barrier
	buffer_gl0_inv
	ds_load_u16 v2, v2
	v_cmp_lt_f32_e32 vcc_lo, v3, v52
	s_or_b32 vcc_lo, s2, vcc_lo
	v_cndmask_b32_e32 v3, v53, v1, vcc_lo
	s_delay_alu instid0(VALU_DEP_1) | instskip(SKIP_2) | instid1(VALU_DEP_1)
	v_lshlrev_b32_e32 v4, 16, v3
	s_waitcnt lgkmcnt(0)
	v_lshlrev_b32_e32 v5, 16, v2
	v_cmp_lt_f32_e32 vcc_lo, v5, v4
	v_cndmask_b32_e32 v2, v2, v3, vcc_lo
	s_delay_alu instid0(VALU_DEP_1) | instskip(NEXT) | instid1(VALU_DEP_1)
	v_lshlrev_b32_e32 v3, 16, v2
	v_cmp_lt_f32_e32 vcc_lo, v3, v50
	v_cndmask_b32_e32 v3, v2, v36, vcc_lo
	s_delay_alu instid0(VALU_DEP_1) | instskip(NEXT) | instid1(VALU_DEP_1)
	;; [unrolled: 4-line block ×21, first 2 shown]
	v_lshlrev_b32_e32 v69, 16, v68
	v_cmp_lt_f32_e32 vcc_lo, v69, v23
	v_cndmask_b32_e32 v69, v68, v9, vcc_lo
	s_load_b128 s[4:7], s[0:1], 0x30
	s_branch .LBB15_87
.LBB15_77:
                                        ; implicit-def: $vgpr2
                                        ; implicit-def: $vgpr3
                                        ; implicit-def: $vgpr4
                                        ; implicit-def: $vgpr5
                                        ; implicit-def: $vgpr52
                                        ; implicit-def: $vgpr53
                                        ; implicit-def: $vgpr54
                                        ; implicit-def: $vgpr55
                                        ; implicit-def: $vgpr56
                                        ; implicit-def: $vgpr57
                                        ; implicit-def: $vgpr58
                                        ; implicit-def: $vgpr59
                                        ; implicit-def: $vgpr60
                                        ; implicit-def: $vgpr61
                                        ; implicit-def: $vgpr62
                                        ; implicit-def: $vgpr63
                                        ; implicit-def: $vgpr64
                                        ; implicit-def: $vgpr65
                                        ; implicit-def: $vgpr66
                                        ; implicit-def: $vgpr67
                                        ; implicit-def: $vgpr68
                                        ; implicit-def: $vgpr69
	s_load_b128 s[4:7], s[0:1], 0x30
	s_cbranch_execz .LBB15_87
; %bb.78:
	s_load_b32 s2, s[0:1], 0x40
	v_cmp_eq_u32_e32 vcc_lo, 0, v0
	s_waitcnt lgkmcnt(0)
	s_bitcmp1_b32 s2, 0
	v_cmp_ne_u32_e64 s2, 0, v0
	s_cselect_b32 s3, -1, 0
	s_delay_alu instid0(SALU_CYCLE_1) | instskip(NEXT) | instid1(SALU_CYCLE_1)
	s_and_b32 s3, vcc_lo, s3
	s_and_saveexec_b32 s15, s3
	s_cbranch_execz .LBB15_80
; %bb.79:
	v_dual_mov_b32 v2, 0 :: v_dual_lshlrev_b32 v3, 16, v1
	global_load_u16 v2, v2, s[4:5]
	s_waitcnt vmcnt(0)
	v_lshlrev_b32_e32 v4, 16, v2
	s_delay_alu instid0(VALU_DEP_1) | instskip(NEXT) | instid1(VALU_DEP_1)
	v_cmp_lt_f32_e64 s3, v4, v3
	v_cndmask_b32_e64 v1, v2, v1, s3
.LBB15_80:
	s_or_b32 exec_lo, exec_lo, s15
	s_delay_alu instid0(VALU_DEP_1) | instskip(SKIP_2) | instid1(VALU_DEP_2)
	v_lshlrev_b32_e32 v2, 16, v1
	v_add_lshl_u32 v5, v51, v0, 1
	s_mov_b32 s15, exec_lo
	v_cmp_lt_f32_e64 s3, v2, v50
	s_delay_alu instid0(VALU_DEP_1) | instskip(NEXT) | instid1(VALU_DEP_1)
	v_cndmask_b32_e64 v3, v1, v36, s3
	v_lshlrev_b32_e32 v4, 16, v3
	s_delay_alu instid0(VALU_DEP_1) | instskip(NEXT) | instid1(VALU_DEP_1)
	v_cmp_lt_f32_e64 s3, v4, v49
	v_cndmask_b32_e64 v3, v3, v35, s3
	s_delay_alu instid0(VALU_DEP_1) | instskip(NEXT) | instid1(VALU_DEP_1)
	v_lshlrev_b32_e32 v4, 16, v3
	v_cmp_lt_f32_e64 s3, v4, v48
	s_delay_alu instid0(VALU_DEP_1) | instskip(NEXT) | instid1(VALU_DEP_1)
	v_cndmask_b32_e64 v3, v3, v31, s3
	v_lshlrev_b32_e32 v4, 16, v3
	s_delay_alu instid0(VALU_DEP_1) | instskip(NEXT) | instid1(VALU_DEP_1)
	v_cmp_lt_f32_e64 s3, v4, v47
	v_cndmask_b32_e64 v3, v3, v32, s3
	s_delay_alu instid0(VALU_DEP_1) | instskip(NEXT) | instid1(VALU_DEP_1)
	v_lshlrev_b32_e32 v4, 16, v3
	;; [unrolled: 9-line block ×10, first 2 shown]
	v_cmp_lt_f32_e64 s3, v4, v23
	s_delay_alu instid0(VALU_DEP_1)
	v_cndmask_b32_e64 v3, v3, v9, s3
	ds_store_b16 v5, v3
	s_waitcnt lgkmcnt(0)
	s_barrier
	buffer_gl0_inv
	v_cmpx_gt_u32_e32 32, v0
	s_cbranch_execz .LBB15_82
; %bb.81:
	v_lshrrev_b32_e32 v4, 3, v0
	v_mbcnt_lo_u32_b32 v59, -1, 0
	s_delay_alu instid0(VALU_DEP_2) | instskip(NEXT) | instid1(VALU_DEP_1)
	v_and_b32_e32 v4, 6, v4
	v_lshl_or_b32 v4, v0, 2, v4
	ds_load_b32 v5, v4
	s_waitcnt lgkmcnt(0)
	v_and_b32_e32 v51, 0xffff0000, v5
	v_lshlrev_b32_e32 v52, 16, v5
	v_lshrrev_b32_e32 v53, 16, v5
	s_delay_alu instid0(VALU_DEP_2) | instskip(NEXT) | instid1(VALU_DEP_1)
	v_cmp_lt_f32_e64 s3, v52, v51
	v_cndmask_b32_e64 v54, v5, v53, s3
	s_delay_alu instid0(VALU_DEP_1) | instskip(SKIP_1) | instid1(VALU_DEP_2)
	v_and_b32_e32 v55, 0xffff, v54
	v_lshlrev_b32_e32 v57, 16, v54
	v_mov_b32_dpp v56, v55 row_shr:1 row_mask:0xf bank_mask:0xf
	s_delay_alu instid0(VALU_DEP_1) | instskip(NEXT) | instid1(VALU_DEP_1)
	v_lshlrev_b32_e32 v58, 16, v56
	v_cmp_lt_f32_e64 s3, v58, v57
	v_and_b32_e32 v57, 15, v59
	s_delay_alu instid0(VALU_DEP_2) | instskip(NEXT) | instid1(VALU_DEP_2)
	v_cndmask_b32_e64 v56, v56, v54, s3
	v_cmp_eq_u32_e64 s3, 0, v57
	s_delay_alu instid0(VALU_DEP_2) | instskip(NEXT) | instid1(VALU_DEP_2)
	v_and_b32_e32 v58, 0xffff, v56
	v_cndmask_b32_e64 v54, v56, v54, s3
	s_delay_alu instid0(VALU_DEP_2) | instskip(NEXT) | instid1(VALU_DEP_1)
	v_cndmask_b32_e64 v55, v58, v55, s3
	v_mov_b32_dpp v58, v55 row_shr:2 row_mask:0xf bank_mask:0xf
	v_lshlrev_b32_e32 v60, 16, v55
	s_delay_alu instid0(VALU_DEP_2) | instskip(NEXT) | instid1(VALU_DEP_1)
	v_lshlrev_b32_e32 v61, 16, v58
	v_cmp_lt_f32_e64 s3, v61, v60
	s_delay_alu instid0(VALU_DEP_1) | instskip(SKIP_1) | instid1(VALU_DEP_2)
	v_cndmask_b32_e64 v56, v58, v54, s3
	v_cmp_lt_u32_e64 s3, 1, v57
	v_and_b32_e32 v58, 0xffff, v56
	s_delay_alu instid0(VALU_DEP_2) | instskip(NEXT) | instid1(VALU_DEP_2)
	v_cndmask_b32_e64 v54, v54, v56, s3
	v_cndmask_b32_e64 v55, v55, v58, s3
	s_delay_alu instid0(VALU_DEP_1) | instskip(SKIP_1) | instid1(VALU_DEP_2)
	v_mov_b32_dpp v58, v55 row_shr:4 row_mask:0xf bank_mask:0xf
	v_lshlrev_b32_e32 v60, 16, v55
	v_lshlrev_b32_e32 v61, 16, v58
	s_delay_alu instid0(VALU_DEP_1) | instskip(NEXT) | instid1(VALU_DEP_1)
	v_cmp_lt_f32_e64 s3, v61, v60
	v_cndmask_b32_e64 v56, v58, v54, s3
	v_cmp_lt_u32_e64 s3, 3, v57
	s_delay_alu instid0(VALU_DEP_2) | instskip(NEXT) | instid1(VALU_DEP_2)
	v_and_b32_e32 v58, 0xffff, v56
	v_cndmask_b32_e64 v54, v54, v56, s3
	s_delay_alu instid0(VALU_DEP_2) | instskip(NEXT) | instid1(VALU_DEP_1)
	v_cndmask_b32_e64 v55, v55, v58, s3
	v_mov_b32_dpp v58, v55 row_shr:8 row_mask:0xf bank_mask:0xf
	v_lshlrev_b32_e32 v60, 16, v55
	s_delay_alu instid0(VALU_DEP_2) | instskip(NEXT) | instid1(VALU_DEP_1)
	v_lshlrev_b32_e32 v61, 16, v58
	v_cmp_lt_f32_e64 s3, v61, v60
	v_add_nc_u32_e32 v61, -1, v59
	s_delay_alu instid0(VALU_DEP_2) | instskip(SKIP_1) | instid1(VALU_DEP_2)
	v_cndmask_b32_e64 v56, v58, v54, s3
	v_cmp_lt_u32_e64 s3, 7, v57
	v_and_b32_e32 v58, 0xffff, v56
	s_delay_alu instid0(VALU_DEP_2) | instskip(NEXT) | instid1(VALU_DEP_2)
	v_cndmask_b32_e64 v54, v54, v56, s3
	v_cndmask_b32_e64 v55, v55, v58, s3
	v_and_b32_e32 v58, 16, v59
	v_cmp_gt_i32_e64 s3, 0, v61
	ds_swizzle_b32 v57, v55 offset:swizzle(BROADCAST,32,15)
	v_lshlrev_b32_e32 v55, 16, v55
	v_cmp_eq_u32_e64 s4, 0, v58
	s_waitcnt lgkmcnt(0)
	v_lshlrev_b32_e32 v60, 16, v57
	s_delay_alu instid0(VALU_DEP_1) | instskip(SKIP_1) | instid1(VALU_DEP_2)
	v_cmp_lt_f32_e64 s5, v60, v55
	v_cndmask_b32_e64 v55, v61, v59, s3
	s_or_b32 s3, s4, s5
	s_delay_alu instid0(VALU_DEP_1) | instskip(SKIP_1) | instid1(VALU_DEP_1)
	v_lshlrev_b32_e32 v55, 2, v55
	v_cndmask_b32_e64 v54, v57, v54, s3
	v_and_b32_e32 v54, 0xffff, v54
	ds_bpermute_b32 v54, v55, v54
	s_waitcnt lgkmcnt(0)
	v_lshlrev_b32_e32 v55, 16, v54
	s_delay_alu instid0(VALU_DEP_1) | instskip(NEXT) | instid1(VALU_DEP_1)
	v_cmp_gt_f32_e64 s3, v52, v55
	v_cndmask_b32_e64 v5, v54, v5, s3
	s_delay_alu instid0(VALU_DEP_1) | instskip(NEXT) | instid1(VALU_DEP_1)
	v_cndmask_b32_e32 v5, v5, v3, vcc_lo
	v_lshlrev_b32_e32 v52, 16, v5
	s_delay_alu instid0(VALU_DEP_1) | instskip(NEXT) | instid1(VALU_DEP_1)
	v_cmp_gt_f32_e64 s3, v51, v52
	v_cndmask_b32_e64 v51, v5, v53, s3
	ds_store_b16 v4, v5
	ds_store_b16 v4, v51 offset:2
.LBB15_82:
	s_or_b32 exec_lo, exec_lo, s15
	s_waitcnt lgkmcnt(0)
	s_barrier
	buffer_gl0_inv
	s_and_saveexec_b32 s3, s2
	s_cbranch_execz .LBB15_84
; %bb.83:
	v_add_nc_u32_e32 v3, -1, v0
	s_delay_alu instid0(VALU_DEP_1) | instskip(NEXT) | instid1(VALU_DEP_1)
	v_lshrrev_b32_e32 v4, 5, v3
	v_add_lshl_u32 v3, v4, v3, 1
	ds_load_u16 v3, v3
.LBB15_84:
	s_or_b32 exec_lo, exec_lo, s3
	s_waitcnt lgkmcnt(0)
	v_lshlrev_b32_e32 v4, 16, v3
	s_delay_alu instid0(VALU_DEP_1) | instskip(NEXT) | instid1(VALU_DEP_1)
	v_cmp_gt_f32_e64 s2, v2, v4
	s_or_b32 s2, vcc_lo, s2
	s_delay_alu instid0(SALU_CYCLE_1) | instskip(NEXT) | instid1(VALU_DEP_1)
	v_cndmask_b32_e64 v2, v3, v1, s2
	v_lshlrev_b32_e32 v1, 16, v2
	s_delay_alu instid0(VALU_DEP_1) | instskip(NEXT) | instid1(VALU_DEP_1)
	v_cmp_gt_f32_e64 s2, v50, v1
	v_cndmask_b32_e64 v3, v2, v36, s2
	s_delay_alu instid0(VALU_DEP_1) | instskip(NEXT) | instid1(VALU_DEP_1)
	v_lshlrev_b32_e32 v1, 16, v3
	v_cmp_lt_f32_e64 s2, v1, v49
	s_delay_alu instid0(VALU_DEP_1) | instskip(NEXT) | instid1(VALU_DEP_1)
	v_cndmask_b32_e64 v4, v3, v35, s2
	v_lshlrev_b32_e32 v1, 16, v4
	s_delay_alu instid0(VALU_DEP_1) | instskip(NEXT) | instid1(VALU_DEP_1)
	v_cmp_lt_f32_e64 s2, v1, v48
	v_cndmask_b32_e64 v5, v4, v31, s2
	s_delay_alu instid0(VALU_DEP_1) | instskip(NEXT) | instid1(VALU_DEP_1)
	v_lshlrev_b32_e32 v1, 16, v5
	v_cmp_lt_f32_e64 s2, v1, v47
	s_delay_alu instid0(VALU_DEP_1) | instskip(NEXT) | instid1(VALU_DEP_1)
	v_cndmask_b32_e64 v52, v5, v32, s2
	v_lshlrev_b32_e32 v1, 16, v52
	s_delay_alu instid0(VALU_DEP_1) | instskip(NEXT) | instid1(VALU_DEP_1)
	v_cmp_lt_f32_e64 s2, v1, v46
	;; [unrolled: 9-line block ×9, first 2 shown]
	v_cndmask_b32_e64 v67, v66, v10, s2
	s_delay_alu instid0(VALU_DEP_1) | instskip(NEXT) | instid1(VALU_DEP_1)
	v_lshlrev_b32_e32 v1, 16, v67
	v_cmp_lt_f32_e64 s2, v1, v25
	s_delay_alu instid0(VALU_DEP_1) | instskip(NEXT) | instid1(VALU_DEP_1)
	v_cndmask_b32_e64 v68, v67, v11, s2
	v_lshlrev_b32_e32 v1, 16, v68
	s_delay_alu instid0(VALU_DEP_1)
	v_cmp_lt_f32_e64 s2, v1, v23
	s_and_saveexec_b32 s3, vcc_lo
	s_cbranch_execz .LBB15_86
; %bb.85:
	v_mov_b32_e32 v1, 0
	ds_load_u16 v10, v1 offset:128
	s_waitcnt lgkmcnt(0)
	v_or_b32_e32 v10, 0x20000, v10
	global_store_b32 v1, v10, s[8:9] offset:128
.LBB15_86:
	s_or_b32 exec_lo, exec_lo, s3
	s_delay_alu instid0(VALU_DEP_1)
	v_cndmask_b32_e64 v69, v68, v9, s2
.LBB15_87:
	v_perm_b32 v4, v5, v4, 0x5040100
	v_perm_b32 v5, v3, v2, 0x5040100
	;; [unrolled: 1-line block ×11, first 2 shown]
	s_add_u32 s2, s10, s12
	s_addc_u32 s3, s11, s13
	s_and_b32 vcc_lo, exec_lo, s17
	s_waitcnt lgkmcnt(0)
	s_mov_b32 s4, -1
	s_waitcnt_vscnt null, 0x0
	s_barrier
	buffer_gl0_inv
	s_cbranch_vccz .LBB15_89
; %bb.88:
	ds_store_2addr_b32 v8, v5, v4 offset1:1
	ds_store_2addr_b32 v8, v10, v9 offset0:2 offset1:3
	ds_store_2addr_b32 v8, v12, v11 offset0:4 offset1:5
	ds_store_2addr_b32 v8, v14, v13 offset0:6 offset1:7
	ds_store_2addr_b32 v8, v2, v1 offset0:8 offset1:9
	ds_store_b32 v8, v3 offset:40
	s_waitcnt lgkmcnt(0)
	s_barrier
	buffer_gl0_inv
	ds_load_u16 v15, v6
	ds_load_u16 v16, v6 offset:128
	ds_load_u16 v17, v6 offset:256
	;; [unrolled: 1-line block ×21, first 2 shown]
	s_mov_b32 s4, 0
	s_waitcnt lgkmcnt(21)
	global_store_b16 v6, v15, s[2:3]
	s_waitcnt lgkmcnt(20)
	global_store_b16 v6, v16, s[2:3] offset:128
	s_waitcnt lgkmcnt(19)
	global_store_b16 v6, v17, s[2:3] offset:256
	;; [unrolled: 2-line block ×21, first 2 shown]
.LBB15_89:
	s_and_not1_b32 vcc_lo, exec_lo, s4
	s_cbranch_vccnz .LBB15_216
; %bb.90:
	v_mad_i32_i24 v27, 0xffffffd6, v0, v8
	ds_store_2addr_b32 v8, v5, v4 offset1:1
	ds_store_2addr_b32 v8, v10, v9 offset0:2 offset1:3
	ds_store_2addr_b32 v8, v12, v11 offset0:4 offset1:5
	;; [unrolled: 1-line block ×4, first 2 shown]
	ds_store_b32 v8, v3 offset:40
	s_waitcnt lgkmcnt(0)
	s_waitcnt_vscnt null, 0x0
	s_barrier
	buffer_gl0_inv
	ds_load_u16 v5, v27
	ds_load_u16 v4, v27 offset:128
	ds_load_u16 v9, v27 offset:256
	;; [unrolled: 1-line block ×21, first 2 shown]
	v_add_co_u32 v2, s2, s2, v6
	v_mov_b32_e32 v1, 0
	v_add_co_ci_u32_e64 v3, null, s3, 0, s2
	s_mov_b32 s2, exec_lo
	v_cmpx_gt_u32_e64 s14, v0
	s_cbranch_execz .LBB15_92
; %bb.91:
	s_waitcnt lgkmcnt(21)
	global_store_b16 v[2:3], v5, off
.LBB15_92:
	s_or_b32 exec_lo, exec_lo, s2
	v_or_b32_e32 v6, 64, v0
	s_mov_b32 s2, exec_lo
	s_delay_alu instid0(VALU_DEP_1)
	v_cmpx_gt_u32_e64 s14, v6
	s_cbranch_execz .LBB15_94
; %bb.93:
	s_waitcnt lgkmcnt(20)
	global_store_b16 v[2:3], v4, off offset:128
.LBB15_94:
	s_or_b32 exec_lo, exec_lo, s2
	v_or_b32_e32 v6, 0x80, v0
	s_mov_b32 s2, exec_lo
	s_delay_alu instid0(VALU_DEP_1)
	v_cmpx_gt_u32_e64 s14, v6
	s_cbranch_execz .LBB15_96
; %bb.95:
	s_waitcnt lgkmcnt(19)
	global_store_b16 v[2:3], v9, off offset:256
.LBB15_96:
	;; [unrolled: 10-line block ×21, first 2 shown]
	s_or_b32 exec_lo, exec_lo, s2
	s_load_b32 s0, s[0:1], 0x40
	s_waitcnt lgkmcnt(0)
	s_bfe_u32 s0, s0, 0x10008
	s_delay_alu instid0(SALU_CYCLE_1)
	s_cmp_eq_u32 s0, 0
	s_cbranch_scc1 .LBB15_216
; %bb.135:
	s_add_u32 s0, s14, -1
	s_addc_u32 s1, s16, -1
	s_add_u32 s2, 0, 0x2e8b0a00
	s_addc_u32 s3, 0, 42
	s_mul_hi_u32 s5, s2, 0xffffffea
	s_add_i32 s3, s3, 0xba2e890
	s_sub_i32 s5, s5, s2
	s_mul_i32 s8, s3, 0xffffffea
	s_mul_i32 s4, s2, 0xffffffea
	s_add_i32 s5, s5, s8
	s_mul_hi_u32 s9, s3, s4
	s_mul_i32 s8, s3, s4
	s_mul_i32 s10, s2, s5
	s_mul_hi_u32 s4, s2, s4
	s_mul_hi_u32 s11, s2, s5
	s_add_u32 s4, s4, s10
	s_addc_u32 s10, 0, s11
	s_mul_hi_u32 s11, s3, s5
	s_add_u32 s4, s4, s8
	s_addc_u32 s4, s10, s9
	s_mul_i32 s5, s3, s5
	s_addc_u32 s8, s11, 0
	s_add_u32 s4, s4, s5
	s_delay_alu instid0(SALU_CYCLE_1) | instskip(SKIP_2) | instid1(VALU_DEP_1)
	v_add_co_u32 v2, s2, s2, s4
	s_addc_u32 s4, 0, s8
	s_cmp_lg_u32 s2, 0
	v_readfirstlane_b32 s2, v2
	s_addc_u32 s3, s3, s4
	s_delay_alu instid0(SALU_CYCLE_1) | instskip(SKIP_1) | instid1(VALU_DEP_1)
	s_mul_i32 s4, s0, s3
	s_mul_hi_u32 s8, s0, s3
	s_mul_hi_u32 s5, s0, s2
	s_mul_i32 s9, s1, s2
	s_add_u32 s4, s5, s4
	s_addc_u32 s5, 0, s8
	s_mul_hi_u32 s2, s1, s2
	s_mul_hi_u32 s8, s1, s3
	s_add_u32 s4, s4, s9
	s_addc_u32 s2, s5, s2
	s_mul_i32 s3, s1, s3
	s_addc_u32 s4, s8, 0
	s_add_u32 s2, s2, s3
	s_addc_u32 s3, 0, s4
	s_mul_i32 s5, s2, 22
	s_add_u32 s4, s2, 1
	v_sub_co_u32 v2, s5, s0, s5
	s_addc_u32 s8, s3, 0
	s_mul_i32 s10, s3, 22
	s_mul_hi_u32 s12, s2, 22
	s_delay_alu instid0(VALU_DEP_1)
	v_sub_co_u32 v3, s11, v2, 22
	s_add_u32 s9, s2, 2
	s_addc_u32 s13, s3, 0
	s_add_i32 s12, s12, s10
	s_cmp_lg_u32 s5, 0
	v_readfirstlane_b32 s5, v3
	s_subb_u32 s10, s1, s12
	s_cmp_lg_u32 s11, 0
	s_subb_u32 s11, s10, 0
	s_delay_alu instid0(VALU_DEP_1) | instskip(SKIP_4) | instid1(SALU_CYCLE_1)
	s_cmp_gt_u32 s5, 21
	s_cselect_b32 s5, -1, 0
	s_cmp_eq_u32 s11, 0
	v_readfirstlane_b32 s11, v2
	s_cselect_b32 s5, s5, -1
	s_cmp_lg_u32 s5, 0
	s_cselect_b32 s4, s9, s4
	s_cselect_b32 s5, s13, s8
	s_cmp_gt_u32 s11, 21
	s_cselect_b32 s8, -1, 0
	s_cmp_eq_u32 s10, 0
	s_cselect_b32 s8, s8, -1
	s_delay_alu instid0(SALU_CYCLE_1) | instskip(SKIP_2) | instid1(SALU_CYCLE_1)
	s_cmp_lg_u32 s8, 0
	s_cselect_b32 s3, s5, s3
	s_cselect_b32 s2, s4, s2
	v_cmp_eq_u64_e32 vcc_lo, s[2:3], v[0:1]
	s_and_saveexec_b32 s2, vcc_lo
	s_cbranch_execz .LBB15_216
; %bb.136:
	v_mul_hi_u32_u24_e32 v1, 22, v0
	v_sub_co_u32 v0, vcc_lo, s0, v7
	s_mov_b32 s0, 0
	s_mov_b32 s2, 0
	s_delay_alu instid0(VALU_DEP_2) | instskip(SKIP_1) | instid1(VALU_DEP_1)
	v_sub_co_ci_u32_e32 v1, vcc_lo, s1, v1, vcc_lo
	s_mov_b32 s1, exec_lo
	v_cmpx_lt_i64_e32 10, v[0:1]
	s_xor_b32 s1, exec_lo, s1
	s_cbranch_execnz .LBB15_140
; %bb.137:
	s_or_saveexec_b32 s1, s1
	s_mov_b32 s3, 0
	s_xor_b32 exec_lo, exec_lo, s1
	s_cbranch_execnz .LBB15_181
.LBB15_138:
	s_or_b32 exec_lo, exec_lo, s1
	s_and_saveexec_b32 s1, s2
	s_cbranch_execnz .LBB15_192
.LBB15_139:
	s_or_b32 exec_lo, exec_lo, s1
	s_and_saveexec_b32 s1, s0
	s_cbranch_execnz .LBB15_193
	s_branch .LBB15_197
.LBB15_140:
	s_mov_b32 s3, 0
	s_mov_b32 s2, exec_lo
	v_cmpx_lt_i64_e32 15, v[0:1]
	s_xor_b32 s2, exec_lo, s2
	s_cbranch_execz .LBB15_162
; %bb.141:
	s_mov_b32 s4, exec_lo
                                        ; implicit-def: $vgpr14
	v_cmpx_lt_i64_e32 18, v[0:1]
	s_xor_b32 s4, exec_lo, s4
	s_cbranch_execz .LBB15_151
; %bb.142:
	s_mov_b32 s5, 0
	s_mov_b32 s3, exec_lo
                                        ; implicit-def: $vgpr14
	v_cmpx_lt_i64_e32 19, v[0:1]
	s_xor_b32 s3, exec_lo, s3
	s_cbranch_execz .LBB15_148
; %bb.143:
	s_mov_b32 s5, exec_lo
	v_cmpx_lt_i64_e32 20, v[0:1]
	s_xor_b32 s5, exec_lo, s5
	s_cbranch_execz .LBB15_145
; %bb.144:
	v_mov_b32_e32 v2, 0
                                        ; implicit-def: $vgpr21
	global_store_b16 v2, v27, s[6:7]
.LBB15_145:
	s_or_saveexec_b32 s5, s5
	s_mov_b32 s8, 0
	s_xor_b32 exec_lo, exec_lo, s5
; %bb.146:
	s_delay_alu instid0(SALU_CYCLE_1)
	s_mov_b32 s8, exec_lo
; %bb.147:
	s_or_b32 exec_lo, exec_lo, s5
	v_mov_b32_e32 v14, v21
	s_and_b32 s5, s8, exec_lo
                                        ; implicit-def: $vgpr26
.LBB15_148:
	s_and_not1_saveexec_b32 s3, s3
	s_cbranch_execz .LBB15_150
; %bb.149:
	v_mov_b32_e32 v2, 0
                                        ; implicit-def: $vgpr14
	global_store_b16 v2, v26, s[6:7]
.LBB15_150:
	s_or_b32 exec_lo, exec_lo, s3
	s_delay_alu instid0(SALU_CYCLE_1)
	s_and_b32 s3, s5, exec_lo
                                        ; implicit-def: $vgpr23
                                        ; implicit-def: $vgpr20
                                        ; implicit-def: $vgpr25
.LBB15_151:
	s_and_not1_saveexec_b32 s4, s4
	s_cbranch_execz .LBB15_161
; %bb.152:
	s_mov_b32 s5, exec_lo
	v_cmpx_lt_i64_e32 16, v[0:1]
	s_xor_b32 s5, exec_lo, s5
	s_cbranch_execz .LBB15_158
; %bb.153:
	s_mov_b32 s8, exec_lo
	v_cmpx_lt_i64_e32 17, v[0:1]
	s_xor_b32 s8, exec_lo, s8
	s_cbranch_execz .LBB15_155
; %bb.154:
	v_mov_b32_e32 v2, 0
                                        ; implicit-def: $vgpr20
	global_store_b16 v2, v25, s[6:7]
.LBB15_155:
	s_and_not1_saveexec_b32 s8, s8
	s_cbranch_execz .LBB15_157
; %bb.156:
	v_mov_b32_e32 v2, 0
	global_store_b16 v2, v20, s[6:7]
.LBB15_157:
	s_or_b32 exec_lo, exec_lo, s8
                                        ; implicit-def: $vgpr23
.LBB15_158:
	s_and_not1_saveexec_b32 s5, s5
	s_cbranch_execz .LBB15_160
; %bb.159:
	v_mov_b32_e32 v2, 0
	global_store_b16 v2, v23, s[6:7]
.LBB15_160:
	s_or_b32 exec_lo, exec_lo, s5
                                        ; implicit-def: $vgpr14
.LBB15_161:
	s_delay_alu instid0(SALU_CYCLE_1) | instskip(NEXT) | instid1(SALU_CYCLE_1)
	s_or_b32 exec_lo, exec_lo, s4
	s_and_b32 s3, s3, exec_lo
                                        ; implicit-def: $vgpr22
                                        ; implicit-def: $vgpr19
                                        ; implicit-def: $vgpr18
                                        ; implicit-def: $vgpr24
.LBB15_162:
	s_and_not1_saveexec_b32 s2, s2
	s_cbranch_execz .LBB15_180
; %bb.163:
	s_mov_b32 s4, exec_lo
	v_cmpx_lt_i64_e32 12, v[0:1]
	s_xor_b32 s4, exec_lo, s4
	s_cbranch_execz .LBB15_173
; %bb.164:
	s_mov_b32 s5, exec_lo
	v_cmpx_lt_i64_e32 13, v[0:1]
	s_xor_b32 s5, exec_lo, s5
	;; [unrolled: 5-line block ×3, first 2 shown]
	s_cbranch_execz .LBB15_167
; %bb.166:
	v_mov_b32_e32 v2, 0
                                        ; implicit-def: $vgpr18
	global_store_b16 v2, v24, s[6:7]
.LBB15_167:
	s_and_not1_saveexec_b32 s8, s8
	s_cbranch_execz .LBB15_169
; %bb.168:
	v_mov_b32_e32 v2, 0
	global_store_b16 v2, v18, s[6:7]
.LBB15_169:
	s_or_b32 exec_lo, exec_lo, s8
                                        ; implicit-def: $vgpr22
.LBB15_170:
	s_and_not1_saveexec_b32 s5, s5
	s_cbranch_execz .LBB15_172
; %bb.171:
	v_mov_b32_e32 v2, 0
	global_store_b16 v2, v22, s[6:7]
.LBB15_172:
	s_or_b32 exec_lo, exec_lo, s5
                                        ; implicit-def: $vgpr14
                                        ; implicit-def: $vgpr19
.LBB15_173:
	s_or_saveexec_b32 s4, s4
	s_mov_b32 s5, s3
	s_xor_b32 exec_lo, exec_lo, s4
	s_cbranch_execz .LBB15_179
; %bb.174:
	s_mov_b32 s5, exec_lo
	v_cmpx_lt_i64_e32 11, v[0:1]
	s_xor_b32 s5, exec_lo, s5
	s_cbranch_execz .LBB15_176
; %bb.175:
	v_mov_b32_e32 v2, 0
                                        ; implicit-def: $vgpr14
	global_store_b16 v2, v19, s[6:7]
.LBB15_176:
	s_or_saveexec_b32 s5, s5
	s_mov_b32 s8, s3
	s_xor_b32 exec_lo, exec_lo, s5
; %bb.177:
	s_delay_alu instid0(SALU_CYCLE_1)
	s_or_b32 s8, s3, exec_lo
; %bb.178:
	s_or_b32 exec_lo, exec_lo, s5
	s_delay_alu instid0(SALU_CYCLE_1) | instskip(SKIP_1) | instid1(SALU_CYCLE_1)
	s_and_not1_b32 s5, s3, exec_lo
	s_and_b32 s8, s8, exec_lo
	s_or_b32 s5, s5, s8
.LBB15_179:
	s_or_b32 exec_lo, exec_lo, s4
	s_delay_alu instid0(SALU_CYCLE_1) | instskip(SKIP_1) | instid1(SALU_CYCLE_1)
	s_and_not1_b32 s3, s3, exec_lo
	s_and_b32 s4, s5, exec_lo
	s_or_b32 s3, s3, s4
.LBB15_180:
	s_or_b32 exec_lo, exec_lo, s2
	s_delay_alu instid0(SALU_CYCLE_1)
	s_and_b32 s2, s3, exec_lo
                                        ; implicit-def: $vgpr16
                                        ; implicit-def: $vgpr17
                                        ; implicit-def: $vgpr15
	s_or_saveexec_b32 s1, s1
	s_mov_b32 s3, 0
	s_xor_b32 exec_lo, exec_lo, s1
	s_cbranch_execz .LBB15_138
.LBB15_181:
	s_mov_b32 s4, 0
	s_mov_b32 s3, -1
	s_mov_b32 s5, s2
	s_mov_b32 s0, exec_lo
                                        ; implicit-def: $vgpr14
	v_cmpx_lt_i64_e32 5, v[0:1]
	s_cbranch_execz .LBB15_191
; %bb.182:
	s_mov_b32 s4, -1
	s_mov_b32 s5, s2
	s_mov_b32 s3, exec_lo
	v_cmpx_lt_i64_e32 7, v[0:1]
	s_cbranch_execz .LBB15_190
; %bb.183:
	s_mov_b32 s4, exec_lo
	v_cmpx_lt_i64_e32 8, v[0:1]
	s_cbranch_execz .LBB15_189
; %bb.184:
	s_mov_b32 s5, exec_lo
	v_cmpx_lt_i64_e32 9, v[0:1]
	s_xor_b32 s5, exec_lo, s5
; %bb.185:
                                        ; implicit-def: $vgpr17
; %bb.186:
	s_delay_alu instid0(SALU_CYCLE_1)
	s_and_not1_saveexec_b32 s5, s5
; %bb.187:
	v_mov_b32_e32 v15, v17
; %bb.188:
	s_or_b32 exec_lo, exec_lo, s5
	s_delay_alu instid0(VALU_DEP_1)
	v_mov_b32_e32 v16, v15
.LBB15_189:
	s_or_b32 exec_lo, exec_lo, s4
	s_delay_alu instid0(SALU_CYCLE_1)
	s_xor_b32 s4, exec_lo, -1
	s_or_b32 s5, s2, exec_lo
.LBB15_190:
	s_or_b32 exec_lo, exec_lo, s3
	v_mov_b32_e32 v14, v16
	s_and_not1_b32 s8, s2, exec_lo
	s_and_b32 s5, s5, exec_lo
	s_xor_b32 s3, exec_lo, -1
	s_and_b32 s4, s4, exec_lo
	s_or_b32 s5, s8, s5
.LBB15_191:
	s_or_b32 exec_lo, exec_lo, s0
	s_delay_alu instid0(SALU_CYCLE_1)
	s_and_not1_b32 s2, s2, exec_lo
	s_and_b32 s5, s5, exec_lo
	s_and_b32 s3, s3, exec_lo
	;; [unrolled: 1-line block ×3, first 2 shown]
	s_or_b32 s2, s2, s5
	s_or_b32 exec_lo, exec_lo, s1
	s_and_saveexec_b32 s1, s2
	s_cbranch_execz .LBB15_139
.LBB15_192:
	v_mov_b32_e32 v2, 0
	global_store_b16 v2, v14, s[6:7]
	s_or_b32 exec_lo, exec_lo, s1
	s_and_saveexec_b32 s1, s0
	s_cbranch_execz .LBB15_197
.LBB15_193:
	s_mov_b32 s0, exec_lo
	v_cmpx_lt_i64_e32 6, v[0:1]
	s_xor_b32 s0, exec_lo, s0
	s_cbranch_execz .LBB15_195
; %bb.194:
	v_mov_b32_e32 v2, 0
                                        ; implicit-def: $vgpr12
	global_store_b16 v2, v13, s[6:7]
.LBB15_195:
	s_and_not1_saveexec_b32 s0, s0
	s_cbranch_execz .LBB15_197
; %bb.196:
	v_mov_b32_e32 v2, 0
	global_store_b16 v2, v12, s[6:7]
.LBB15_197:
	s_or_b32 exec_lo, exec_lo, s1
	s_delay_alu instid0(SALU_CYCLE_1)
	s_and_b32 exec_lo, exec_lo, s3
	s_cbranch_execz .LBB15_216
; %bb.198:
	s_mov_b32 s0, exec_lo
	v_cmpx_lt_i64_e32 2, v[0:1]
	s_xor_b32 s0, exec_lo, s0
	s_cbranch_execz .LBB15_208
; %bb.199:
	s_mov_b32 s1, exec_lo
	v_cmpx_lt_i64_e32 3, v[0:1]
	s_xor_b32 s1, exec_lo, s1
	s_cbranch_execz .LBB15_205
; %bb.200:
	s_mov_b32 s2, exec_lo
	v_cmpx_lt_i64_e32 4, v[0:1]
	s_xor_b32 s2, exec_lo, s2
	s_cbranch_execz .LBB15_202
; %bb.201:
	v_mov_b32_e32 v0, 0
                                        ; implicit-def: $vgpr8
	global_store_b16 v0, v11, s[6:7]
.LBB15_202:
	s_and_not1_saveexec_b32 s2, s2
	s_cbranch_execz .LBB15_204
; %bb.203:
	v_mov_b32_e32 v0, 0
	global_store_b16 v0, v8, s[6:7]
.LBB15_204:
	s_or_b32 exec_lo, exec_lo, s2
                                        ; implicit-def: $vgpr10
.LBB15_205:
	s_and_not1_saveexec_b32 s1, s1
	s_cbranch_execz .LBB15_207
; %bb.206:
	v_mov_b32_e32 v0, 0
	global_store_b16 v0, v10, s[6:7]
.LBB15_207:
	s_or_b32 exec_lo, exec_lo, s1
                                        ; implicit-def: $vgpr0_vgpr1
                                        ; implicit-def: $vgpr9
                                        ; implicit-def: $vgpr4
                                        ; implicit-def: $vgpr5
.LBB15_208:
	s_and_not1_saveexec_b32 s0, s0
	s_cbranch_execz .LBB15_216
; %bb.209:
	s_mov_b32 s0, exec_lo
	v_cmpx_lt_i64_e32 1, v[0:1]
	s_xor_b32 s0, exec_lo, s0
	s_cbranch_execz .LBB15_211
; %bb.210:
	v_mov_b32_e32 v0, 0
                                        ; implicit-def: $vgpr4
                                        ; implicit-def: $vgpr5
	global_store_b16 v0, v9, s[6:7]
                                        ; implicit-def: $vgpr0_vgpr1
.LBB15_211:
	s_and_not1_saveexec_b32 s0, s0
	s_cbranch_execz .LBB15_216
; %bb.212:
	s_mov_b32 s0, exec_lo
	v_cmpx_ne_u64_e32 1, v[0:1]
	s_xor_b32 s0, exec_lo, s0
	s_cbranch_execz .LBB15_214
; %bb.213:
	v_mov_b32_e32 v0, 0
                                        ; implicit-def: $vgpr4
	global_store_b16 v0, v5, s[6:7]
.LBB15_214:
	s_and_not1_saveexec_b32 s0, s0
	s_cbranch_execz .LBB15_216
; %bb.215:
	v_mov_b32_e32 v0, 0
	global_store_b16 v0, v4, s[6:7]
.LBB15_216:
	s_nop 0
	s_sendmsg sendmsg(MSG_DEALLOC_VGPRS)
	s_endpgm
	.section	.rodata,"a",@progbits
	.p2align	6, 0x0
	.amdhsa_kernel _ZN7rocprim6detail20lookback_scan_kernelILNS0_25lookback_scan_determinismE0ELb0ENS0_19wrapped_scan_configINS_14default_configE12hip_bfloat16EEPS5_S7_N6hipcub3MaxES5_S5_NS0_19lookback_scan_stateIS5_Lb0ELb1EEEEEvT2_T3_mT5_T4_T7_jPT6_SI_bb
		.amdhsa_group_segment_fixed_size 2816
		.amdhsa_private_segment_fixed_size 0
		.amdhsa_kernarg_size 68
		.amdhsa_user_sgpr_count 15
		.amdhsa_user_sgpr_dispatch_ptr 0
		.amdhsa_user_sgpr_queue_ptr 0
		.amdhsa_user_sgpr_kernarg_segment_ptr 1
		.amdhsa_user_sgpr_dispatch_id 0
		.amdhsa_user_sgpr_private_segment_size 0
		.amdhsa_wavefront_size32 1
		.amdhsa_uses_dynamic_stack 0
		.amdhsa_enable_private_segment 0
		.amdhsa_system_sgpr_workgroup_id_x 1
		.amdhsa_system_sgpr_workgroup_id_y 0
		.amdhsa_system_sgpr_workgroup_id_z 0
		.amdhsa_system_sgpr_workgroup_info 0
		.amdhsa_system_vgpr_workitem_id 0
		.amdhsa_next_free_vgpr 76
		.amdhsa_next_free_sgpr 19
		.amdhsa_reserve_vcc 1
		.amdhsa_float_round_mode_32 0
		.amdhsa_float_round_mode_16_64 0
		.amdhsa_float_denorm_mode_32 3
		.amdhsa_float_denorm_mode_16_64 3
		.amdhsa_dx10_clamp 1
		.amdhsa_ieee_mode 1
		.amdhsa_fp16_overflow 0
		.amdhsa_workgroup_processor_mode 1
		.amdhsa_memory_ordered 1
		.amdhsa_forward_progress 0
		.amdhsa_shared_vgpr_count 0
		.amdhsa_exception_fp_ieee_invalid_op 0
		.amdhsa_exception_fp_denorm_src 0
		.amdhsa_exception_fp_ieee_div_zero 0
		.amdhsa_exception_fp_ieee_overflow 0
		.amdhsa_exception_fp_ieee_underflow 0
		.amdhsa_exception_fp_ieee_inexact 0
		.amdhsa_exception_int_div_zero 0
	.end_amdhsa_kernel
	.section	.text._ZN7rocprim6detail20lookback_scan_kernelILNS0_25lookback_scan_determinismE0ELb0ENS0_19wrapped_scan_configINS_14default_configE12hip_bfloat16EEPS5_S7_N6hipcub3MaxES5_S5_NS0_19lookback_scan_stateIS5_Lb0ELb1EEEEEvT2_T3_mT5_T4_T7_jPT6_SI_bb,"axG",@progbits,_ZN7rocprim6detail20lookback_scan_kernelILNS0_25lookback_scan_determinismE0ELb0ENS0_19wrapped_scan_configINS_14default_configE12hip_bfloat16EEPS5_S7_N6hipcub3MaxES5_S5_NS0_19lookback_scan_stateIS5_Lb0ELb1EEEEEvT2_T3_mT5_T4_T7_jPT6_SI_bb,comdat
.Lfunc_end15:
	.size	_ZN7rocprim6detail20lookback_scan_kernelILNS0_25lookback_scan_determinismE0ELb0ENS0_19wrapped_scan_configINS_14default_configE12hip_bfloat16EEPS5_S7_N6hipcub3MaxES5_S5_NS0_19lookback_scan_stateIS5_Lb0ELb1EEEEEvT2_T3_mT5_T4_T7_jPT6_SI_bb, .Lfunc_end15-_ZN7rocprim6detail20lookback_scan_kernelILNS0_25lookback_scan_determinismE0ELb0ENS0_19wrapped_scan_configINS_14default_configE12hip_bfloat16EEPS5_S7_N6hipcub3MaxES5_S5_NS0_19lookback_scan_stateIS5_Lb0ELb1EEEEEvT2_T3_mT5_T4_T7_jPT6_SI_bb
                                        ; -- End function
	.section	.AMDGPU.csdata,"",@progbits
; Kernel info:
; codeLenInByte = 10492
; NumSgprs: 21
; NumVgprs: 76
; ScratchSize: 0
; MemoryBound: 0
; FloatMode: 240
; IeeeMode: 1
; LDSByteSize: 2816 bytes/workgroup (compile time only)
; SGPRBlocks: 2
; VGPRBlocks: 9
; NumSGPRsForWavesPerEU: 21
; NumVGPRsForWavesPerEU: 76
; Occupancy: 16
; WaveLimiterHint : 1
; COMPUTE_PGM_RSRC2:SCRATCH_EN: 0
; COMPUTE_PGM_RSRC2:USER_SGPR: 15
; COMPUTE_PGM_RSRC2:TRAP_HANDLER: 0
; COMPUTE_PGM_RSRC2:TGID_X_EN: 1
; COMPUTE_PGM_RSRC2:TGID_Y_EN: 0
; COMPUTE_PGM_RSRC2:TGID_Z_EN: 0
; COMPUTE_PGM_RSRC2:TIDIG_COMP_CNT: 0
	.section	.text._ZN7rocprim6detail16transform_kernelINS0_24wrapped_transform_configINS_14default_configE12hip_bfloat16EES4_PS4_S6_NS_8identityIS4_EEEEvT1_mT2_T3_,"axG",@progbits,_ZN7rocprim6detail16transform_kernelINS0_24wrapped_transform_configINS_14default_configE12hip_bfloat16EES4_PS4_S6_NS_8identityIS4_EEEEvT1_mT2_T3_,comdat
	.protected	_ZN7rocprim6detail16transform_kernelINS0_24wrapped_transform_configINS_14default_configE12hip_bfloat16EES4_PS4_S6_NS_8identityIS4_EEEEvT1_mT2_T3_ ; -- Begin function _ZN7rocprim6detail16transform_kernelINS0_24wrapped_transform_configINS_14default_configE12hip_bfloat16EES4_PS4_S6_NS_8identityIS4_EEEEvT1_mT2_T3_
	.globl	_ZN7rocprim6detail16transform_kernelINS0_24wrapped_transform_configINS_14default_configE12hip_bfloat16EES4_PS4_S6_NS_8identityIS4_EEEEvT1_mT2_T3_
	.p2align	8
	.type	_ZN7rocprim6detail16transform_kernelINS0_24wrapped_transform_configINS_14default_configE12hip_bfloat16EES4_PS4_S6_NS_8identityIS4_EEEEvT1_mT2_T3_,@function
_ZN7rocprim6detail16transform_kernelINS0_24wrapped_transform_configINS_14default_configE12hip_bfloat16EES4_PS4_S6_NS_8identityIS4_EEEEvT1_mT2_T3_: ; @_ZN7rocprim6detail16transform_kernelINS0_24wrapped_transform_configINS_14default_configE12hip_bfloat16EES4_PS4_S6_NS_8identityIS4_EEEEvT1_mT2_T3_
; %bb.0:
	s_clause 0x2
	s_load_b32 s10, s[0:1], 0x20
	s_load_b128 s[4:7], s[0:1], 0x0
	s_load_b64 s[0:1], s[0:1], 0x10
	s_mov_b32 s9, 0
	s_lshl_b32 s8, s15, 11
	v_lshlrev_b32_e32 v3, 1, v0
	s_lshl_b64 s[2:3], s[8:9], 1
	s_waitcnt lgkmcnt(0)
	s_add_i32 s10, s10, -1
	s_add_u32 s4, s4, s2
	s_addc_u32 s5, s5, s3
	v_add_co_u32 v1, s4, s4, v3
	s_delay_alu instid0(VALU_DEP_1)
	v_add_co_ci_u32_e64 v2, null, s5, 0, s4
	s_cmp_lg_u32 s15, s10
	s_mov_b32 s4, -1
	s_cbranch_scc0 .LBB16_2
; %bb.1:
	s_clause 0x1
	global_load_u16 v5, v[1:2], off
	global_load_u16 v4, v[1:2], off offset:2048
	s_add_u32 s10, s0, s2
	s_addc_u32 s11, s1, s3
	s_mov_b32 s9, -1
	s_waitcnt vmcnt(1)
	global_store_b16 v3, v5, s[10:11]
	s_cbranch_execz .LBB16_3
	s_branch .LBB16_10
.LBB16_2:
                                        ; implicit-def: $vgpr4
	s_and_not1_b32 vcc_lo, exec_lo, s4
	s_cbranch_vccnz .LBB16_10
.LBB16_3:
	s_sub_i32 s4, s6, s8
                                        ; implicit-def: $vgpr5
	s_delay_alu instid0(SALU_CYCLE_1)
	v_cmp_gt_u32_e32 vcc_lo, s4, v0
	s_and_saveexec_b32 s5, vcc_lo
	s_cbranch_execz .LBB16_5
; %bb.4:
	global_load_u16 v5, v[1:2], off
.LBB16_5:
	s_or_b32 exec_lo, exec_lo, s5
	v_or_b32_e32 v0, 0x400, v0
                                        ; implicit-def: $vgpr4
	s_delay_alu instid0(VALU_DEP_1) | instskip(NEXT) | instid1(VALU_DEP_1)
	v_cmp_gt_u32_e64 s9, s4, v0
	s_and_saveexec_b32 s4, s9
	s_cbranch_execz .LBB16_7
; %bb.6:
	global_load_u16 v4, v[1:2], off offset:2048
.LBB16_7:
	s_or_b32 exec_lo, exec_lo, s4
	s_and_saveexec_b32 s4, vcc_lo
	s_delay_alu instid0(SALU_CYCLE_1)
	s_xor_b32 s4, exec_lo, s4
	s_cbranch_execz .LBB16_9
; %bb.8:
	s_add_u32 s6, s0, s2
	s_addc_u32 s7, s1, s3
	s_waitcnt vmcnt(0)
	global_store_b16 v3, v5, s[6:7]
.LBB16_9:
	s_or_b32 exec_lo, exec_lo, s4
.LBB16_10:
	s_and_saveexec_b32 s4, s9
	s_cbranch_execnz .LBB16_12
; %bb.11:
	s_nop 0
	s_sendmsg sendmsg(MSG_DEALLOC_VGPRS)
	s_endpgm
.LBB16_12:
	s_add_u32 s0, s0, s2
	s_addc_u32 s1, s1, s3
	s_waitcnt vmcnt(0)
	global_store_b16 v3, v4, s[0:1] offset:2048
	s_nop 0
	s_sendmsg sendmsg(MSG_DEALLOC_VGPRS)
	s_endpgm
	.section	.rodata,"a",@progbits
	.p2align	6, 0x0
	.amdhsa_kernel _ZN7rocprim6detail16transform_kernelINS0_24wrapped_transform_configINS_14default_configE12hip_bfloat16EES4_PS4_S6_NS_8identityIS4_EEEEvT1_mT2_T3_
		.amdhsa_group_segment_fixed_size 0
		.amdhsa_private_segment_fixed_size 0
		.amdhsa_kernarg_size 288
		.amdhsa_user_sgpr_count 15
		.amdhsa_user_sgpr_dispatch_ptr 0
		.amdhsa_user_sgpr_queue_ptr 0
		.amdhsa_user_sgpr_kernarg_segment_ptr 1
		.amdhsa_user_sgpr_dispatch_id 0
		.amdhsa_user_sgpr_private_segment_size 0
		.amdhsa_wavefront_size32 1
		.amdhsa_uses_dynamic_stack 0
		.amdhsa_enable_private_segment 0
		.amdhsa_system_sgpr_workgroup_id_x 1
		.amdhsa_system_sgpr_workgroup_id_y 0
		.amdhsa_system_sgpr_workgroup_id_z 0
		.amdhsa_system_sgpr_workgroup_info 0
		.amdhsa_system_vgpr_workitem_id 0
		.amdhsa_next_free_vgpr 6
		.amdhsa_next_free_sgpr 16
		.amdhsa_reserve_vcc 1
		.amdhsa_float_round_mode_32 0
		.amdhsa_float_round_mode_16_64 0
		.amdhsa_float_denorm_mode_32 3
		.amdhsa_float_denorm_mode_16_64 3
		.amdhsa_dx10_clamp 1
		.amdhsa_ieee_mode 1
		.amdhsa_fp16_overflow 0
		.amdhsa_workgroup_processor_mode 1
		.amdhsa_memory_ordered 1
		.amdhsa_forward_progress 0
		.amdhsa_shared_vgpr_count 0
		.amdhsa_exception_fp_ieee_invalid_op 0
		.amdhsa_exception_fp_denorm_src 0
		.amdhsa_exception_fp_ieee_div_zero 0
		.amdhsa_exception_fp_ieee_overflow 0
		.amdhsa_exception_fp_ieee_underflow 0
		.amdhsa_exception_fp_ieee_inexact 0
		.amdhsa_exception_int_div_zero 0
	.end_amdhsa_kernel
	.section	.text._ZN7rocprim6detail16transform_kernelINS0_24wrapped_transform_configINS_14default_configE12hip_bfloat16EES4_PS4_S6_NS_8identityIS4_EEEEvT1_mT2_T3_,"axG",@progbits,_ZN7rocprim6detail16transform_kernelINS0_24wrapped_transform_configINS_14default_configE12hip_bfloat16EES4_PS4_S6_NS_8identityIS4_EEEEvT1_mT2_T3_,comdat
.Lfunc_end16:
	.size	_ZN7rocprim6detail16transform_kernelINS0_24wrapped_transform_configINS_14default_configE12hip_bfloat16EES4_PS4_S6_NS_8identityIS4_EEEEvT1_mT2_T3_, .Lfunc_end16-_ZN7rocprim6detail16transform_kernelINS0_24wrapped_transform_configINS_14default_configE12hip_bfloat16EES4_PS4_S6_NS_8identityIS4_EEEEvT1_mT2_T3_
                                        ; -- End function
	.section	.AMDGPU.csdata,"",@progbits
; Kernel info:
; codeLenInByte = 316
; NumSgprs: 18
; NumVgprs: 6
; ScratchSize: 0
; MemoryBound: 0
; FloatMode: 240
; IeeeMode: 1
; LDSByteSize: 0 bytes/workgroup (compile time only)
; SGPRBlocks: 2
; VGPRBlocks: 0
; NumSGPRsForWavesPerEU: 18
; NumVGPRsForWavesPerEU: 6
; Occupancy: 16
; WaveLimiterHint : 1
; COMPUTE_PGM_RSRC2:SCRATCH_EN: 0
; COMPUTE_PGM_RSRC2:USER_SGPR: 15
; COMPUTE_PGM_RSRC2:TRAP_HANDLER: 0
; COMPUTE_PGM_RSRC2:TGID_X_EN: 1
; COMPUTE_PGM_RSRC2:TGID_Y_EN: 0
; COMPUTE_PGM_RSRC2:TGID_Z_EN: 0
; COMPUTE_PGM_RSRC2:TIDIG_COMP_CNT: 0
	.section	.text._ZN7rocprim6detail18single_scan_kernelILb0ENS0_19wrapped_scan_configINS_14default_configE12hip_bfloat16EEPS4_S6_N6hipcub3MaxES4_S4_EEvT1_mT4_T2_T3_,"axG",@progbits,_ZN7rocprim6detail18single_scan_kernelILb0ENS0_19wrapped_scan_configINS_14default_configE12hip_bfloat16EEPS4_S6_N6hipcub3MaxES4_S4_EEvT1_mT4_T2_T3_,comdat
	.protected	_ZN7rocprim6detail18single_scan_kernelILb0ENS0_19wrapped_scan_configINS_14default_configE12hip_bfloat16EEPS4_S6_N6hipcub3MaxES4_S4_EEvT1_mT4_T2_T3_ ; -- Begin function _ZN7rocprim6detail18single_scan_kernelILb0ENS0_19wrapped_scan_configINS_14default_configE12hip_bfloat16EEPS4_S6_N6hipcub3MaxES4_S4_EEvT1_mT4_T2_T3_
	.globl	_ZN7rocprim6detail18single_scan_kernelILb0ENS0_19wrapped_scan_configINS_14default_configE12hip_bfloat16EEPS4_S6_N6hipcub3MaxES4_S4_EEvT1_mT4_T2_T3_
	.p2align	8
	.type	_ZN7rocprim6detail18single_scan_kernelILb0ENS0_19wrapped_scan_configINS_14default_configE12hip_bfloat16EEPS4_S6_N6hipcub3MaxES4_S4_EEvT1_mT4_T2_T3_,@function
_ZN7rocprim6detail18single_scan_kernelILb0ENS0_19wrapped_scan_configINS_14default_configE12hip_bfloat16EEPS4_S6_N6hipcub3MaxES4_S4_EEvT1_mT4_T2_T3_: ; @_ZN7rocprim6detail18single_scan_kernelILb0ENS0_19wrapped_scan_configINS_14default_configE12hip_bfloat16EEPS4_S6_N6hipcub3MaxES4_S4_EEvT1_mT4_T2_T3_
; %bb.0:
	s_load_b128 s[20:23], s[0:1], 0x0
	v_mov_b32_e32 v1, 0
	v_lshlrev_b32_e32 v11, 1, v0
	s_waitcnt lgkmcnt(0)
	global_load_u16 v3, v1, s[20:21]
	v_add_co_u32 v1, s2, s20, v11
	s_delay_alu instid0(VALU_DEP_1)
	v_add_co_ci_u32_e64 v2, null, s21, 0, s2
	v_cmp_gt_u32_e32 vcc_lo, s22, v0
	s_waitcnt vmcnt(0)
	v_mov_b32_e32 v4, v3
	s_and_saveexec_b32 s2, vcc_lo
	s_cbranch_execz .LBB17_2
; %bb.1:
	global_load_u16 v4, v[1:2], off
.LBB17_2:
	s_or_b32 exec_lo, exec_lo, s2
	v_or_b32_e32 v5, 64, v0
	s_delay_alu instid0(VALU_DEP_1) | instskip(SKIP_1) | instid1(VALU_DEP_2)
	v_cmp_gt_u32_e64 s2, s22, v5
	v_mov_b32_e32 v5, v3
	s_and_saveexec_b32 s3, s2
	s_cbranch_execz .LBB17_4
; %bb.3:
	global_load_u16 v5, v[1:2], off offset:128
.LBB17_4:
	s_or_b32 exec_lo, exec_lo, s3
	v_or_b32_e32 v6, 0x80, v0
	s_delay_alu instid0(VALU_DEP_1) | instskip(SKIP_1) | instid1(VALU_DEP_2)
	v_cmp_gt_u32_e64 s3, s22, v6
	v_mov_b32_e32 v6, v3
	s_and_saveexec_b32 s4, s3
	s_cbranch_execz .LBB17_6
; %bb.5:
	global_load_u16 v6, v[1:2], off offset:256
.LBB17_6:
	;; [unrolled: 10-line block ×20, first 2 shown]
	s_or_b32 exec_lo, exec_lo, s23
	v_or_b32_e32 v26, 0x540, v0
	s_delay_alu instid0(VALU_DEP_1) | instskip(NEXT) | instid1(VALU_DEP_1)
	v_cmp_gt_u32_e64 s22, s22, v26
	s_and_saveexec_b32 s23, s22
	s_cbranch_execz .LBB17_44
; %bb.43:
	global_load_u16 v3, v[1:2], off offset:2688
.LBB17_44:
	s_or_b32 exec_lo, exec_lo, s23
	s_waitcnt vmcnt(0)
	ds_store_b16 v11, v4
	ds_store_b16 v11, v5 offset:128
	ds_store_b16 v11, v6 offset:256
	;; [unrolled: 1-line block ×15, first 2 shown]
	v_mad_u32_u24 v12, v0, 42, v11
	ds_store_b16 v11, v21 offset:2048
	ds_store_b16 v11, v22 offset:2176
	;; [unrolled: 1-line block ×6, first 2 shown]
	s_waitcnt lgkmcnt(0)
	s_barrier
	buffer_gl0_inv
	ds_load_2addr_b32 v[7:8], v12 offset1:1
	ds_load_2addr_b32 v[5:6], v12 offset0:2 offset1:3
	ds_load_2addr_b32 v[3:4], v12 offset0:4 offset1:5
	;; [unrolled: 1-line block ×3, first 2 shown]
	v_lshrrev_b32_e32 v47, 4, v0
	s_mov_b32 s26, exec_lo
	s_delay_alu instid0(VALU_DEP_1) | instskip(NEXT) | instid1(VALU_DEP_1)
	v_and_b32_e32 v47, 2, v47
	v_add_nc_u32_e32 v50, v11, v47
	s_waitcnt lgkmcnt(3)
	v_and_b32_e32 v13, 0xffff0000, v7
	v_lshlrev_b32_e32 v16, 16, v7
	v_lshrrev_b32_e32 v14, 16, v7
	v_lshlrev_b32_e32 v15, 16, v8
	v_and_b32_e32 v17, 0xffff0000, v8
	v_lshrrev_b32_e32 v18, 16, v8
	v_cmp_lt_f32_e64 s23, v16, v13
	s_waitcnt lgkmcnt(2)
	v_lshlrev_b32_e32 v19, 16, v5
	v_and_b32_e32 v20, 0xffff0000, v5
	v_lshrrev_b32_e32 v21, 16, v5
	v_lshlrev_b32_e32 v22, 16, v6
	v_cndmask_b32_e64 v9, v7, v14, s23
	v_and_b32_e32 v23, 0xffff0000, v6
	v_lshrrev_b32_e32 v24, 16, v6
	s_waitcnt lgkmcnt(1)
	v_lshlrev_b32_e32 v26, 16, v3
	v_and_b32_e32 v27, 0xffff0000, v3
	v_lshlrev_b32_e32 v10, 16, v9
	v_lshrrev_b32_e32 v28, 16, v3
	v_lshlrev_b32_e32 v29, 16, v4
	v_and_b32_e32 v32, 0xffff0000, v4
	v_lshrrev_b32_e32 v33, 16, v4
	v_cmp_lt_f32_e64 s23, v10, v15
	s_waitcnt lgkmcnt(0)
	v_lshlrev_b32_e32 v34, 16, v1
	v_and_b32_e32 v35, 0xffff0000, v1
	v_lshrrev_b32_e32 v36, 16, v1
	v_lshlrev_b32_e32 v37, 16, v2
	v_cndmask_b32_e64 v9, v9, v8, s23
	v_and_b32_e32 v38, 0xffff0000, v2
	v_lshrrev_b32_e32 v39, 16, v2
	s_delay_alu instid0(VALU_DEP_3) | instskip(NEXT) | instid1(VALU_DEP_1)
	v_lshlrev_b32_e32 v10, 16, v9
	v_cmp_lt_f32_e64 s23, v10, v17
	s_delay_alu instid0(VALU_DEP_1) | instskip(NEXT) | instid1(VALU_DEP_1)
	v_cndmask_b32_e64 v9, v9, v18, s23
	v_lshlrev_b32_e32 v10, 16, v9
	s_delay_alu instid0(VALU_DEP_1) | instskip(NEXT) | instid1(VALU_DEP_1)
	v_cmp_lt_f32_e64 s23, v10, v19
	v_cndmask_b32_e64 v9, v9, v5, s23
	s_delay_alu instid0(VALU_DEP_1) | instskip(NEXT) | instid1(VALU_DEP_1)
	v_lshlrev_b32_e32 v10, 16, v9
	v_cmp_lt_f32_e64 s23, v10, v20
	s_delay_alu instid0(VALU_DEP_1) | instskip(NEXT) | instid1(VALU_DEP_1)
	v_cndmask_b32_e64 v9, v9, v21, s23
	v_lshlrev_b32_e32 v10, 16, v9
	s_delay_alu instid0(VALU_DEP_1) | instskip(NEXT) | instid1(VALU_DEP_1)
	v_cmp_lt_f32_e64 s23, v10, v22
	v_cndmask_b32_e64 v9, v9, v6, s23
	s_delay_alu instid0(VALU_DEP_1) | instskip(NEXT) | instid1(VALU_DEP_1)
	;; [unrolled: 9-line block ×5, first 2 shown]
	v_lshlrev_b32_e32 v10, 16, v9
	v_cmp_lt_f32_e64 s23, v10, v35
	s_delay_alu instid0(VALU_DEP_1) | instskip(SKIP_2) | instid1(VALU_DEP_1)
	v_cndmask_b32_e64 v25, v9, v36, s23
	ds_load_2addr_b32 v[9:10], v12 offset0:8 offset1:9
	v_lshlrev_b32_e32 v30, 16, v25
	v_cmp_lt_f32_e64 s23, v30, v37
	s_delay_alu instid0(VALU_DEP_1) | instskip(NEXT) | instid1(VALU_DEP_1)
	v_cndmask_b32_e64 v25, v25, v2, s23
	v_lshlrev_b32_e32 v30, 16, v25
	s_delay_alu instid0(VALU_DEP_1) | instskip(NEXT) | instid1(VALU_DEP_1)
	v_cmp_lt_f32_e64 s23, v30, v38
	v_cndmask_b32_e64 v30, v25, v39, s23
	ds_load_b32 v25, v12 offset:40
	s_waitcnt lgkmcnt(1)
	v_lshlrev_b32_e32 v40, 16, v9
	v_and_b32_e32 v41, 0xffff0000, v9
	v_lshrrev_b32_e32 v43, 16, v9
	v_lshlrev_b32_e32 v31, 16, v30
	v_lshlrev_b32_e32 v44, 16, v10
	v_and_b32_e32 v45, 0xffff0000, v10
	v_lshrrev_b32_e32 v46, 16, v10
	s_waitcnt lgkmcnt(0)
	v_cmp_lt_f32_e64 s23, v31, v40
	s_barrier
	buffer_gl0_inv
	v_cndmask_b32_e64 v30, v30, v9, s23
	s_delay_alu instid0(VALU_DEP_1) | instskip(SKIP_1) | instid1(VALU_DEP_2)
	v_lshlrev_b32_e32 v31, 16, v30
	v_lshlrev_b32_e32 v42, 16, v25
	v_cmp_lt_f32_e64 s23, v31, v41
	s_delay_alu instid0(VALU_DEP_1) | instskip(NEXT) | instid1(VALU_DEP_1)
	v_cndmask_b32_e64 v30, v30, v43, s23
	v_lshlrev_b32_e32 v31, 16, v30
	s_delay_alu instid0(VALU_DEP_1) | instskip(NEXT) | instid1(VALU_DEP_1)
	v_cmp_lt_f32_e64 s23, v31, v44
	v_cndmask_b32_e64 v30, v30, v10, s23
	s_delay_alu instid0(VALU_DEP_1) | instskip(NEXT) | instid1(VALU_DEP_1)
	v_lshlrev_b32_e32 v31, 16, v30
	v_cmp_lt_f32_e64 s23, v31, v45
	s_delay_alu instid0(VALU_DEP_1) | instskip(NEXT) | instid1(VALU_DEP_1)
	v_cndmask_b32_e64 v30, v30, v46, s23
	v_lshlrev_b32_e32 v31, 16, v30
	s_delay_alu instid0(VALU_DEP_1) | instskip(SKIP_1) | instid1(VALU_DEP_2)
	v_cmp_lt_f32_e64 s23, v31, v42
	v_lshrrev_b32_e32 v31, 16, v25
	v_cndmask_b32_e64 v48, v30, v25, s23
	v_and_b32_e32 v30, 0xffff0000, v25
	s_delay_alu instid0(VALU_DEP_2) | instskip(NEXT) | instid1(VALU_DEP_1)
	v_lshlrev_b32_e32 v49, 16, v48
	v_cmp_lt_f32_e64 s23, v49, v30
	s_delay_alu instid0(VALU_DEP_1)
	v_cndmask_b32_e64 v47, v48, v31, s23
	ds_store_b16 v50, v47
	s_waitcnt lgkmcnt(0)
	s_barrier
	buffer_gl0_inv
	v_cmpx_gt_u32_e32 32, v0
	s_cbranch_execz .LBB17_46
; %bb.45:
	v_lshrrev_b32_e32 v48, 3, v0
	v_mbcnt_lo_u32_b32 v58, -1, 0
	s_delay_alu instid0(VALU_DEP_2) | instskip(NEXT) | instid1(VALU_DEP_1)
	v_and_b32_e32 v48, 6, v48
	v_lshl_or_b32 v48, v0, 2, v48
	ds_load_b32 v49, v48
	s_waitcnt lgkmcnt(0)
	v_and_b32_e32 v50, 0xffff0000, v49
	v_lshlrev_b32_e32 v51, 16, v49
	v_lshrrev_b32_e32 v52, 16, v49
	s_delay_alu instid0(VALU_DEP_2) | instskip(NEXT) | instid1(VALU_DEP_1)
	v_cmp_lt_f32_e64 s23, v51, v50
	v_cndmask_b32_e64 v53, v49, v52, s23
	s_delay_alu instid0(VALU_DEP_1) | instskip(SKIP_1) | instid1(VALU_DEP_2)
	v_and_b32_e32 v54, 0xffff, v53
	v_lshlrev_b32_e32 v56, 16, v53
	v_mov_b32_dpp v55, v54 row_shr:1 row_mask:0xf bank_mask:0xf
	s_delay_alu instid0(VALU_DEP_1) | instskip(NEXT) | instid1(VALU_DEP_1)
	v_lshlrev_b32_e32 v57, 16, v55
	v_cmp_lt_f32_e64 s23, v57, v56
	v_and_b32_e32 v56, 15, v58
	s_delay_alu instid0(VALU_DEP_2) | instskip(NEXT) | instid1(VALU_DEP_2)
	v_cndmask_b32_e64 v55, v55, v53, s23
	v_cmp_eq_u32_e64 s23, 0, v56
	s_delay_alu instid0(VALU_DEP_2) | instskip(NEXT) | instid1(VALU_DEP_2)
	v_and_b32_e32 v57, 0xffff, v55
	v_cndmask_b32_e64 v53, v55, v53, s23
	s_delay_alu instid0(VALU_DEP_2) | instskip(NEXT) | instid1(VALU_DEP_1)
	v_cndmask_b32_e64 v54, v57, v54, s23
	v_mov_b32_dpp v57, v54 row_shr:2 row_mask:0xf bank_mask:0xf
	v_lshlrev_b32_e32 v59, 16, v54
	s_delay_alu instid0(VALU_DEP_2) | instskip(NEXT) | instid1(VALU_DEP_1)
	v_lshlrev_b32_e32 v60, 16, v57
	v_cmp_lt_f32_e64 s23, v60, v59
	s_delay_alu instid0(VALU_DEP_1) | instskip(SKIP_1) | instid1(VALU_DEP_2)
	v_cndmask_b32_e64 v55, v57, v53, s23
	v_cmp_lt_u32_e64 s23, 1, v56
	v_and_b32_e32 v57, 0xffff, v55
	s_delay_alu instid0(VALU_DEP_2) | instskip(NEXT) | instid1(VALU_DEP_2)
	v_cndmask_b32_e64 v53, v53, v55, s23
	v_cndmask_b32_e64 v54, v54, v57, s23
	s_delay_alu instid0(VALU_DEP_1) | instskip(SKIP_1) | instid1(VALU_DEP_2)
	v_mov_b32_dpp v57, v54 row_shr:4 row_mask:0xf bank_mask:0xf
	v_lshlrev_b32_e32 v59, 16, v54
	v_lshlrev_b32_e32 v60, 16, v57
	s_delay_alu instid0(VALU_DEP_1) | instskip(NEXT) | instid1(VALU_DEP_1)
	v_cmp_lt_f32_e64 s23, v60, v59
	v_cndmask_b32_e64 v55, v57, v53, s23
	v_cmp_lt_u32_e64 s23, 3, v56
	s_delay_alu instid0(VALU_DEP_2) | instskip(NEXT) | instid1(VALU_DEP_2)
	v_and_b32_e32 v57, 0xffff, v55
	v_cndmask_b32_e64 v53, v53, v55, s23
	s_delay_alu instid0(VALU_DEP_2) | instskip(NEXT) | instid1(VALU_DEP_1)
	v_cndmask_b32_e64 v54, v54, v57, s23
	v_mov_b32_dpp v57, v54 row_shr:8 row_mask:0xf bank_mask:0xf
	v_lshlrev_b32_e32 v59, 16, v54
	s_delay_alu instid0(VALU_DEP_2) | instskip(NEXT) | instid1(VALU_DEP_1)
	v_lshlrev_b32_e32 v60, 16, v57
	v_cmp_lt_f32_e64 s23, v60, v59
	v_add_nc_u32_e32 v60, -1, v58
	s_delay_alu instid0(VALU_DEP_2) | instskip(SKIP_1) | instid1(VALU_DEP_2)
	v_cndmask_b32_e64 v55, v57, v53, s23
	v_cmp_lt_u32_e64 s23, 7, v56
	v_and_b32_e32 v57, 0xffff, v55
	s_delay_alu instid0(VALU_DEP_2) | instskip(NEXT) | instid1(VALU_DEP_2)
	v_cndmask_b32_e64 v53, v53, v55, s23
	v_cndmask_b32_e64 v54, v54, v57, s23
	v_and_b32_e32 v57, 16, v58
	v_cmp_gt_i32_e64 s23, 0, v60
	ds_swizzle_b32 v56, v54 offset:swizzle(BROADCAST,32,15)
	v_lshlrev_b32_e32 v54, 16, v54
	v_cmp_eq_u32_e64 s24, 0, v57
	s_waitcnt lgkmcnt(0)
	v_lshlrev_b32_e32 v59, 16, v56
	s_delay_alu instid0(VALU_DEP_1) | instskip(SKIP_1) | instid1(VALU_DEP_2)
	v_cmp_lt_f32_e64 s25, v59, v54
	v_cndmask_b32_e64 v54, v60, v58, s23
	s_or_b32 s23, s24, s25
	s_delay_alu instid0(VALU_DEP_1) | instskip(SKIP_1) | instid1(VALU_DEP_1)
	v_lshlrev_b32_e32 v54, 2, v54
	v_cndmask_b32_e64 v53, v56, v53, s23
	v_and_b32_e32 v53, 0xffff, v53
	ds_bpermute_b32 v53, v54, v53
	s_waitcnt lgkmcnt(0)
	v_lshlrev_b32_e32 v54, 16, v53
	s_delay_alu instid0(VALU_DEP_1) | instskip(NEXT) | instid1(VALU_DEP_1)
	v_cmp_gt_f32_e64 s23, v51, v54
	v_cndmask_b32_e64 v49, v53, v49, s23
	v_cmp_eq_u32_e64 s23, 0, v0
	s_delay_alu instid0(VALU_DEP_1) | instskip(NEXT) | instid1(VALU_DEP_1)
	v_cndmask_b32_e64 v49, v49, v47, s23
	v_lshlrev_b32_e32 v51, 16, v49
	s_delay_alu instid0(VALU_DEP_1) | instskip(NEXT) | instid1(VALU_DEP_1)
	v_cmp_gt_f32_e64 s23, v50, v51
	v_cndmask_b32_e64 v50, v49, v52, s23
	ds_store_b16 v48, v49
	ds_store_b16 v48, v50 offset:2
.LBB17_46:
	s_or_b32 exec_lo, exec_lo, s26
	v_cmp_eq_u32_e64 s23, 0, v0
	s_mov_b32 s25, exec_lo
	s_waitcnt lgkmcnt(0)
	s_barrier
	buffer_gl0_inv
	v_cmpx_ne_u32_e32 0, v0
	s_cbranch_execz .LBB17_48
; %bb.47:
	v_add_nc_u32_e32 v47, -1, v0
	s_delay_alu instid0(VALU_DEP_1) | instskip(NEXT) | instid1(VALU_DEP_1)
	v_lshrrev_b32_e32 v48, 5, v47
	v_add_lshl_u32 v47, v48, v47, 1
	ds_load_u16 v47, v47
.LBB17_48:
	s_or_b32 exec_lo, exec_lo, s25
	s_waitcnt lgkmcnt(0)
	v_lshlrev_b32_e32 v48, 16, v47
	v_mad_i32_i24 v0, 0xffffffd6, v0, v12
	s_barrier
	buffer_gl0_inv
	v_cmp_gt_f32_e64 s24, v16, v48
	s_delay_alu instid0(VALU_DEP_1) | instskip(SKIP_2) | instid1(VALU_DEP_1)
	s_or_b32 s23, s23, s24
	s_load_b64 s[24:25], s[0:1], 0x18
	v_cndmask_b32_e64 v7, v47, v7, s23
	v_lshlrev_b32_e32 v16, 16, v7
	s_delay_alu instid0(VALU_DEP_1) | instskip(NEXT) | instid1(VALU_DEP_1)
	v_cmp_gt_f32_e64 s23, v13, v16
	v_cndmask_b32_e64 v13, v7, v14, s23
	s_delay_alu instid0(VALU_DEP_1) | instskip(SKIP_1) | instid1(VALU_DEP_2)
	v_lshlrev_b32_e32 v14, 16, v13
	v_perm_b32 v7, v13, v7, 0x5040100
	v_cmp_gt_f32_e64 s23, v15, v14
	s_delay_alu instid0(VALU_DEP_1) | instskip(NEXT) | instid1(VALU_DEP_1)
	v_cndmask_b32_e64 v8, v13, v8, s23
	v_lshlrev_b32_e32 v14, 16, v8
	s_delay_alu instid0(VALU_DEP_1) | instskip(NEXT) | instid1(VALU_DEP_1)
	v_cmp_gt_f32_e64 s23, v17, v14
	v_cndmask_b32_e64 v14, v8, v18, s23
	s_delay_alu instid0(VALU_DEP_1) | instskip(SKIP_1) | instid1(VALU_DEP_2)
	v_lshlrev_b32_e32 v15, 16, v14
	v_perm_b32 v8, v14, v8, 0x5040100
	v_cmp_gt_f32_e64 s23, v19, v15
	s_delay_alu instid0(VALU_DEP_1) | instskip(NEXT) | instid1(VALU_DEP_1)
	;; [unrolled: 10-line block ×10, first 2 shown]
	v_cndmask_b32_e64 v23, v22, v25, s0
	v_lshlrev_b32_e32 v13, 16, v23
	s_delay_alu instid0(VALU_DEP_1) | instskip(NEXT) | instid1(VALU_DEP_1)
	v_cmp_gt_f32_e64 s0, v30, v13
	v_cndmask_b32_e64 v13, v23, v31, s0
	s_delay_alu instid0(VALU_DEP_1)
	v_perm_b32 v13, v13, v23, 0x5040100
	ds_store_2addr_b32 v12, v7, v8 offset1:1
	ds_store_2addr_b32 v12, v5, v6 offset0:2 offset1:3
	ds_store_2addr_b32 v12, v3, v4 offset0:4 offset1:5
	;; [unrolled: 1-line block ×4, first 2 shown]
	ds_store_b32 v12, v13 offset:40
	s_waitcnt lgkmcnt(0)
	s_barrier
	buffer_gl0_inv
	ds_load_u16 v22, v0 offset:256
	ds_load_u16 v21, v0 offset:384
	;; [unrolled: 1-line block ×21, first 2 shown]
	v_add_co_u32 v0, s0, s24, v11
	s_delay_alu instid0(VALU_DEP_1)
	v_add_co_ci_u32_e64 v1, null, s25, 0, s0
	s_and_saveexec_b32 s0, vcc_lo
	s_cbranch_execnz .LBB17_71
; %bb.49:
	s_or_b32 exec_lo, exec_lo, s0
	s_and_saveexec_b32 s0, s2
	s_cbranch_execnz .LBB17_72
.LBB17_50:
	s_or_b32 exec_lo, exec_lo, s0
	s_and_saveexec_b32 s0, s3
	s_cbranch_execnz .LBB17_73
.LBB17_51:
	s_or_b32 exec_lo, exec_lo, s0
	s_and_saveexec_b32 s0, s4
	s_cbranch_execnz .LBB17_74
.LBB17_52:
	s_or_b32 exec_lo, exec_lo, s0
	s_and_saveexec_b32 s0, s5
	s_cbranch_execnz .LBB17_75
.LBB17_53:
	s_or_b32 exec_lo, exec_lo, s0
	s_and_saveexec_b32 s0, s6
	s_cbranch_execnz .LBB17_76
.LBB17_54:
	s_or_b32 exec_lo, exec_lo, s0
	s_and_saveexec_b32 s0, s7
	s_cbranch_execnz .LBB17_77
.LBB17_55:
	s_or_b32 exec_lo, exec_lo, s0
	s_and_saveexec_b32 s0, s8
	s_cbranch_execnz .LBB17_78
.LBB17_56:
	s_or_b32 exec_lo, exec_lo, s0
	s_and_saveexec_b32 s0, s9
	s_cbranch_execnz .LBB17_79
.LBB17_57:
	s_or_b32 exec_lo, exec_lo, s0
	s_and_saveexec_b32 s0, s10
	s_cbranch_execnz .LBB17_80
.LBB17_58:
	s_or_b32 exec_lo, exec_lo, s0
	s_and_saveexec_b32 s0, s11
	s_cbranch_execnz .LBB17_81
.LBB17_59:
	s_or_b32 exec_lo, exec_lo, s0
	s_and_saveexec_b32 s0, s12
	s_cbranch_execnz .LBB17_82
.LBB17_60:
	s_or_b32 exec_lo, exec_lo, s0
	s_and_saveexec_b32 s0, s13
	s_cbranch_execnz .LBB17_83
.LBB17_61:
	s_or_b32 exec_lo, exec_lo, s0
	s_and_saveexec_b32 s0, s14
	s_cbranch_execnz .LBB17_84
.LBB17_62:
	s_or_b32 exec_lo, exec_lo, s0
	s_and_saveexec_b32 s0, s15
	s_cbranch_execnz .LBB17_85
.LBB17_63:
	s_or_b32 exec_lo, exec_lo, s0
	s_and_saveexec_b32 s0, s16
	s_cbranch_execnz .LBB17_86
.LBB17_64:
	s_or_b32 exec_lo, exec_lo, s0
	s_and_saveexec_b32 s0, s17
	s_cbranch_execnz .LBB17_87
.LBB17_65:
	s_or_b32 exec_lo, exec_lo, s0
	s_and_saveexec_b32 s0, s18
	s_cbranch_execnz .LBB17_88
.LBB17_66:
	s_or_b32 exec_lo, exec_lo, s0
	s_and_saveexec_b32 s0, s19
	s_cbranch_execnz .LBB17_89
.LBB17_67:
	s_or_b32 exec_lo, exec_lo, s0
	s_and_saveexec_b32 s0, s20
	s_cbranch_execnz .LBB17_90
.LBB17_68:
	s_or_b32 exec_lo, exec_lo, s0
	s_and_saveexec_b32 s0, s21
	s_cbranch_execnz .LBB17_91
.LBB17_69:
	s_or_b32 exec_lo, exec_lo, s0
	s_and_saveexec_b32 s0, s22
	s_cbranch_execnz .LBB17_92
.LBB17_70:
	s_nop 0
	s_sendmsg sendmsg(MSG_DEALLOC_VGPRS)
	s_endpgm
.LBB17_71:
	ds_load_u16 v11, v11
	s_waitcnt lgkmcnt(0)
	global_store_b16 v[0:1], v11, off
	s_or_b32 exec_lo, exec_lo, s0
	s_and_saveexec_b32 s0, s2
	s_cbranch_execz .LBB17_50
.LBB17_72:
	s_waitcnt lgkmcnt(6)
	global_store_b16 v[0:1], v23, off offset:128
	s_or_b32 exec_lo, exec_lo, s0
	s_and_saveexec_b32 s0, s3
	s_cbranch_execz .LBB17_51
.LBB17_73:
	s_waitcnt lgkmcnt(20)
	global_store_b16 v[0:1], v22, off offset:256
	s_or_b32 exec_lo, exec_lo, s0
	s_and_saveexec_b32 s0, s4
	s_cbranch_execz .LBB17_52
.LBB17_74:
	s_waitcnt lgkmcnt(19)
	global_store_b16 v[0:1], v21, off offset:384
	s_or_b32 exec_lo, exec_lo, s0
	s_and_saveexec_b32 s0, s5
	s_cbranch_execz .LBB17_53
.LBB17_75:
	s_waitcnt lgkmcnt(18)
	global_store_b16 v[0:1], v20, off offset:512
	s_or_b32 exec_lo, exec_lo, s0
	s_and_saveexec_b32 s0, s6
	s_cbranch_execz .LBB17_54
.LBB17_76:
	s_waitcnt lgkmcnt(17)
	global_store_b16 v[0:1], v19, off offset:640
	s_or_b32 exec_lo, exec_lo, s0
	s_and_saveexec_b32 s0, s7
	s_cbranch_execz .LBB17_55
.LBB17_77:
	s_waitcnt lgkmcnt(16)
	global_store_b16 v[0:1], v18, off offset:768
	s_or_b32 exec_lo, exec_lo, s0
	s_and_saveexec_b32 s0, s8
	s_cbranch_execz .LBB17_56
.LBB17_78:
	s_waitcnt lgkmcnt(15)
	global_store_b16 v[0:1], v17, off offset:896
	s_or_b32 exec_lo, exec_lo, s0
	s_and_saveexec_b32 s0, s9
	s_cbranch_execz .LBB17_57
.LBB17_79:
	s_waitcnt lgkmcnt(14)
	global_store_b16 v[0:1], v16, off offset:1024
	s_or_b32 exec_lo, exec_lo, s0
	s_and_saveexec_b32 s0, s10
	s_cbranch_execz .LBB17_58
.LBB17_80:
	s_waitcnt lgkmcnt(13)
	global_store_b16 v[0:1], v15, off offset:1152
	s_or_b32 exec_lo, exec_lo, s0
	s_and_saveexec_b32 s0, s11
	s_cbranch_execz .LBB17_59
.LBB17_81:
	s_waitcnt lgkmcnt(12)
	global_store_b16 v[0:1], v14, off offset:1280
	s_or_b32 exec_lo, exec_lo, s0
	s_and_saveexec_b32 s0, s12
	s_cbranch_execz .LBB17_60
.LBB17_82:
	s_waitcnt lgkmcnt(11)
	global_store_b16 v[0:1], v13, off offset:1408
	s_or_b32 exec_lo, exec_lo, s0
	s_and_saveexec_b32 s0, s13
	s_cbranch_execz .LBB17_61
.LBB17_83:
	s_waitcnt lgkmcnt(10)
	global_store_b16 v[0:1], v12, off offset:1536
	s_or_b32 exec_lo, exec_lo, s0
	s_and_saveexec_b32 s0, s14
	s_cbranch_execz .LBB17_62
.LBB17_84:
	s_waitcnt lgkmcnt(9)
	global_store_b16 v[0:1], v10, off offset:1664
	s_or_b32 exec_lo, exec_lo, s0
	s_and_saveexec_b32 s0, s15
	s_cbranch_execz .LBB17_63
.LBB17_85:
	s_waitcnt lgkmcnt(8)
	global_store_b16 v[0:1], v9, off offset:1792
	s_or_b32 exec_lo, exec_lo, s0
	s_and_saveexec_b32 s0, s16
	s_cbranch_execz .LBB17_64
.LBB17_86:
	s_waitcnt lgkmcnt(7)
	global_store_b16 v[0:1], v8, off offset:1920
	s_or_b32 exec_lo, exec_lo, s0
	s_and_saveexec_b32 s0, s17
	s_cbranch_execz .LBB17_65
.LBB17_87:
	s_waitcnt lgkmcnt(5)
	global_store_b16 v[0:1], v7, off offset:2048
	s_or_b32 exec_lo, exec_lo, s0
	s_and_saveexec_b32 s0, s18
	s_cbranch_execz .LBB17_66
.LBB17_88:
	s_waitcnt lgkmcnt(4)
	global_store_b16 v[0:1], v6, off offset:2176
	s_or_b32 exec_lo, exec_lo, s0
	s_and_saveexec_b32 s0, s19
	s_cbranch_execz .LBB17_67
.LBB17_89:
	s_waitcnt lgkmcnt(3)
	global_store_b16 v[0:1], v5, off offset:2304
	s_or_b32 exec_lo, exec_lo, s0
	s_and_saveexec_b32 s0, s20
	s_cbranch_execz .LBB17_68
.LBB17_90:
	s_waitcnt lgkmcnt(2)
	global_store_b16 v[0:1], v4, off offset:2432
	s_or_b32 exec_lo, exec_lo, s0
	s_and_saveexec_b32 s0, s21
	s_cbranch_execz .LBB17_69
.LBB17_91:
	s_waitcnt lgkmcnt(1)
	global_store_b16 v[0:1], v3, off offset:2560
	s_or_b32 exec_lo, exec_lo, s0
	s_and_saveexec_b32 s0, s22
	s_cbranch_execz .LBB17_70
.LBB17_92:
	s_waitcnt lgkmcnt(0)
	global_store_b16 v[0:1], v2, off offset:2688
	s_nop 0
	s_sendmsg sendmsg(MSG_DEALLOC_VGPRS)
	s_endpgm
	.section	.rodata,"a",@progbits
	.p2align	6, 0x0
	.amdhsa_kernel _ZN7rocprim6detail18single_scan_kernelILb0ENS0_19wrapped_scan_configINS_14default_configE12hip_bfloat16EEPS4_S6_N6hipcub3MaxES4_S4_EEvT1_mT4_T2_T3_
		.amdhsa_group_segment_fixed_size 2816
		.amdhsa_private_segment_fixed_size 0
		.amdhsa_kernarg_size 36
		.amdhsa_user_sgpr_count 15
		.amdhsa_user_sgpr_dispatch_ptr 0
		.amdhsa_user_sgpr_queue_ptr 0
		.amdhsa_user_sgpr_kernarg_segment_ptr 1
		.amdhsa_user_sgpr_dispatch_id 0
		.amdhsa_user_sgpr_private_segment_size 0
		.amdhsa_wavefront_size32 1
		.amdhsa_uses_dynamic_stack 0
		.amdhsa_enable_private_segment 0
		.amdhsa_system_sgpr_workgroup_id_x 1
		.amdhsa_system_sgpr_workgroup_id_y 0
		.amdhsa_system_sgpr_workgroup_id_z 0
		.amdhsa_system_sgpr_workgroup_info 0
		.amdhsa_system_vgpr_workitem_id 0
		.amdhsa_next_free_vgpr 61
		.amdhsa_next_free_sgpr 27
		.amdhsa_reserve_vcc 1
		.amdhsa_float_round_mode_32 0
		.amdhsa_float_round_mode_16_64 0
		.amdhsa_float_denorm_mode_32 3
		.amdhsa_float_denorm_mode_16_64 3
		.amdhsa_dx10_clamp 1
		.amdhsa_ieee_mode 1
		.amdhsa_fp16_overflow 0
		.amdhsa_workgroup_processor_mode 1
		.amdhsa_memory_ordered 1
		.amdhsa_forward_progress 0
		.amdhsa_shared_vgpr_count 0
		.amdhsa_exception_fp_ieee_invalid_op 0
		.amdhsa_exception_fp_denorm_src 0
		.amdhsa_exception_fp_ieee_div_zero 0
		.amdhsa_exception_fp_ieee_overflow 0
		.amdhsa_exception_fp_ieee_underflow 0
		.amdhsa_exception_fp_ieee_inexact 0
		.amdhsa_exception_int_div_zero 0
	.end_amdhsa_kernel
	.section	.text._ZN7rocprim6detail18single_scan_kernelILb0ENS0_19wrapped_scan_configINS_14default_configE12hip_bfloat16EEPS4_S6_N6hipcub3MaxES4_S4_EEvT1_mT4_T2_T3_,"axG",@progbits,_ZN7rocprim6detail18single_scan_kernelILb0ENS0_19wrapped_scan_configINS_14default_configE12hip_bfloat16EEPS4_S6_N6hipcub3MaxES4_S4_EEvT1_mT4_T2_T3_,comdat
.Lfunc_end17:
	.size	_ZN7rocprim6detail18single_scan_kernelILb0ENS0_19wrapped_scan_configINS_14default_configE12hip_bfloat16EEPS4_S6_N6hipcub3MaxES4_S4_EEvT1_mT4_T2_T3_, .Lfunc_end17-_ZN7rocprim6detail18single_scan_kernelILb0ENS0_19wrapped_scan_configINS_14default_configE12hip_bfloat16EEPS4_S6_N6hipcub3MaxES4_S4_EEvT1_mT4_T2_T3_
                                        ; -- End function
	.section	.AMDGPU.csdata,"",@progbits
; Kernel info:
; codeLenInByte = 4504
; NumSgprs: 29
; NumVgprs: 61
; ScratchSize: 0
; MemoryBound: 0
; FloatMode: 240
; IeeeMode: 1
; LDSByteSize: 2816 bytes/workgroup (compile time only)
; SGPRBlocks: 3
; VGPRBlocks: 7
; NumSGPRsForWavesPerEU: 29
; NumVGPRsForWavesPerEU: 61
; Occupancy: 16
; WaveLimiterHint : 0
; COMPUTE_PGM_RSRC2:SCRATCH_EN: 0
; COMPUTE_PGM_RSRC2:USER_SGPR: 15
; COMPUTE_PGM_RSRC2:TRAP_HANDLER: 0
; COMPUTE_PGM_RSRC2:TGID_X_EN: 1
; COMPUTE_PGM_RSRC2:TGID_Y_EN: 0
; COMPUTE_PGM_RSRC2:TGID_Z_EN: 0
; COMPUTE_PGM_RSRC2:TIDIG_COMP_CNT: 0
	.section	.text._ZN7rocprim6detail20lookback_scan_kernelILNS0_25lookback_scan_determinismE0ELb0ENS0_19wrapped_scan_configINS_14default_configEiEEN6hipcub22TransformInputIteratorIiNS6_6CastOpIiEEPilEEPdNS6_3SumEiiNS0_19lookback_scan_stateIiLb1ELb1EEEEEvT2_T3_mT5_T4_T7_jPT6_SM_bb,"axG",@progbits,_ZN7rocprim6detail20lookback_scan_kernelILNS0_25lookback_scan_determinismE0ELb0ENS0_19wrapped_scan_configINS_14default_configEiEEN6hipcub22TransformInputIteratorIiNS6_6CastOpIiEEPilEEPdNS6_3SumEiiNS0_19lookback_scan_stateIiLb1ELb1EEEEEvT2_T3_mT5_T4_T7_jPT6_SM_bb,comdat
	.protected	_ZN7rocprim6detail20lookback_scan_kernelILNS0_25lookback_scan_determinismE0ELb0ENS0_19wrapped_scan_configINS_14default_configEiEEN6hipcub22TransformInputIteratorIiNS6_6CastOpIiEEPilEEPdNS6_3SumEiiNS0_19lookback_scan_stateIiLb1ELb1EEEEEvT2_T3_mT5_T4_T7_jPT6_SM_bb ; -- Begin function _ZN7rocprim6detail20lookback_scan_kernelILNS0_25lookback_scan_determinismE0ELb0ENS0_19wrapped_scan_configINS_14default_configEiEEN6hipcub22TransformInputIteratorIiNS6_6CastOpIiEEPilEEPdNS6_3SumEiiNS0_19lookback_scan_stateIiLb1ELb1EEEEEvT2_T3_mT5_T4_T7_jPT6_SM_bb
	.globl	_ZN7rocprim6detail20lookback_scan_kernelILNS0_25lookback_scan_determinismE0ELb0ENS0_19wrapped_scan_configINS_14default_configEiEEN6hipcub22TransformInputIteratorIiNS6_6CastOpIiEEPilEEPdNS6_3SumEiiNS0_19lookback_scan_stateIiLb1ELb1EEEEEvT2_T3_mT5_T4_T7_jPT6_SM_bb
	.p2align	8
	.type	_ZN7rocprim6detail20lookback_scan_kernelILNS0_25lookback_scan_determinismE0ELb0ENS0_19wrapped_scan_configINS_14default_configEiEEN6hipcub22TransformInputIteratorIiNS6_6CastOpIiEEPilEEPdNS6_3SumEiiNS0_19lookback_scan_stateIiLb1ELb1EEEEEvT2_T3_mT5_T4_T7_jPT6_SM_bb,@function
_ZN7rocprim6detail20lookback_scan_kernelILNS0_25lookback_scan_determinismE0ELb0ENS0_19wrapped_scan_configINS_14default_configEiEEN6hipcub22TransformInputIteratorIiNS6_6CastOpIiEEPilEEPdNS6_3SumEiiNS0_19lookback_scan_stateIiLb1ELb1EEEEEvT2_T3_mT5_T4_T7_jPT6_SM_bb: ; @_ZN7rocprim6detail20lookback_scan_kernelILNS0_25lookback_scan_determinismE0ELb0ENS0_19wrapped_scan_configINS_14default_configEiEEN6hipcub22TransformInputIteratorIiNS6_6CastOpIiEEPilEEPdNS6_3SumEiiNS0_19lookback_scan_stateIiLb1ELb1EEEEEvT2_T3_mT5_T4_T7_jPT6_SM_bb
; %bb.0:
	s_endpgm
	.section	.rodata,"a",@progbits
	.p2align	6, 0x0
	.amdhsa_kernel _ZN7rocprim6detail20lookback_scan_kernelILNS0_25lookback_scan_determinismE0ELb0ENS0_19wrapped_scan_configINS_14default_configEiEEN6hipcub22TransformInputIteratorIiNS6_6CastOpIiEEPilEEPdNS6_3SumEiiNS0_19lookback_scan_stateIiLb1ELb1EEEEEvT2_T3_mT5_T4_T7_jPT6_SM_bb
		.amdhsa_group_segment_fixed_size 0
		.amdhsa_private_segment_fixed_size 0
		.amdhsa_kernarg_size 76
		.amdhsa_user_sgpr_count 15
		.amdhsa_user_sgpr_dispatch_ptr 0
		.amdhsa_user_sgpr_queue_ptr 0
		.amdhsa_user_sgpr_kernarg_segment_ptr 1
		.amdhsa_user_sgpr_dispatch_id 0
		.amdhsa_user_sgpr_private_segment_size 0
		.amdhsa_wavefront_size32 1
		.amdhsa_uses_dynamic_stack 0
		.amdhsa_enable_private_segment 0
		.amdhsa_system_sgpr_workgroup_id_x 1
		.amdhsa_system_sgpr_workgroup_id_y 0
		.amdhsa_system_sgpr_workgroup_id_z 0
		.amdhsa_system_sgpr_workgroup_info 0
		.amdhsa_system_vgpr_workitem_id 0
		.amdhsa_next_free_vgpr 1
		.amdhsa_next_free_sgpr 1
		.amdhsa_reserve_vcc 0
		.amdhsa_float_round_mode_32 0
		.amdhsa_float_round_mode_16_64 0
		.amdhsa_float_denorm_mode_32 3
		.amdhsa_float_denorm_mode_16_64 3
		.amdhsa_dx10_clamp 1
		.amdhsa_ieee_mode 1
		.amdhsa_fp16_overflow 0
		.amdhsa_workgroup_processor_mode 1
		.amdhsa_memory_ordered 1
		.amdhsa_forward_progress 0
		.amdhsa_shared_vgpr_count 0
		.amdhsa_exception_fp_ieee_invalid_op 0
		.amdhsa_exception_fp_denorm_src 0
		.amdhsa_exception_fp_ieee_div_zero 0
		.amdhsa_exception_fp_ieee_overflow 0
		.amdhsa_exception_fp_ieee_underflow 0
		.amdhsa_exception_fp_ieee_inexact 0
		.amdhsa_exception_int_div_zero 0
	.end_amdhsa_kernel
	.section	.text._ZN7rocprim6detail20lookback_scan_kernelILNS0_25lookback_scan_determinismE0ELb0ENS0_19wrapped_scan_configINS_14default_configEiEEN6hipcub22TransformInputIteratorIiNS6_6CastOpIiEEPilEEPdNS6_3SumEiiNS0_19lookback_scan_stateIiLb1ELb1EEEEEvT2_T3_mT5_T4_T7_jPT6_SM_bb,"axG",@progbits,_ZN7rocprim6detail20lookback_scan_kernelILNS0_25lookback_scan_determinismE0ELb0ENS0_19wrapped_scan_configINS_14default_configEiEEN6hipcub22TransformInputIteratorIiNS6_6CastOpIiEEPilEEPdNS6_3SumEiiNS0_19lookback_scan_stateIiLb1ELb1EEEEEvT2_T3_mT5_T4_T7_jPT6_SM_bb,comdat
.Lfunc_end18:
	.size	_ZN7rocprim6detail20lookback_scan_kernelILNS0_25lookback_scan_determinismE0ELb0ENS0_19wrapped_scan_configINS_14default_configEiEEN6hipcub22TransformInputIteratorIiNS6_6CastOpIiEEPilEEPdNS6_3SumEiiNS0_19lookback_scan_stateIiLb1ELb1EEEEEvT2_T3_mT5_T4_T7_jPT6_SM_bb, .Lfunc_end18-_ZN7rocprim6detail20lookback_scan_kernelILNS0_25lookback_scan_determinismE0ELb0ENS0_19wrapped_scan_configINS_14default_configEiEEN6hipcub22TransformInputIteratorIiNS6_6CastOpIiEEPilEEPdNS6_3SumEiiNS0_19lookback_scan_stateIiLb1ELb1EEEEEvT2_T3_mT5_T4_T7_jPT6_SM_bb
                                        ; -- End function
	.section	.AMDGPU.csdata,"",@progbits
; Kernel info:
; codeLenInByte = 4
; NumSgprs: 0
; NumVgprs: 0
; ScratchSize: 0
; MemoryBound: 0
; FloatMode: 240
; IeeeMode: 1
; LDSByteSize: 0 bytes/workgroup (compile time only)
; SGPRBlocks: 0
; VGPRBlocks: 0
; NumSGPRsForWavesPerEU: 1
; NumVGPRsForWavesPerEU: 1
; Occupancy: 16
; WaveLimiterHint : 0
; COMPUTE_PGM_RSRC2:SCRATCH_EN: 0
; COMPUTE_PGM_RSRC2:USER_SGPR: 15
; COMPUTE_PGM_RSRC2:TRAP_HANDLER: 0
; COMPUTE_PGM_RSRC2:TGID_X_EN: 1
; COMPUTE_PGM_RSRC2:TGID_Y_EN: 0
; COMPUTE_PGM_RSRC2:TGID_Z_EN: 0
; COMPUTE_PGM_RSRC2:TIDIG_COMP_CNT: 0
	.section	.text._ZN7rocprim6detail20lookback_scan_kernelILNS0_25lookback_scan_determinismE0ELb0ENS0_19wrapped_scan_configINS_14default_configEiEEN6hipcub22TransformInputIteratorIiNS6_6CastOpIiEEPilEEPdNS6_3SumEiiNS0_19lookback_scan_stateIiLb0ELb1EEEEEvT2_T3_mT5_T4_T7_jPT6_SM_bb,"axG",@progbits,_ZN7rocprim6detail20lookback_scan_kernelILNS0_25lookback_scan_determinismE0ELb0ENS0_19wrapped_scan_configINS_14default_configEiEEN6hipcub22TransformInputIteratorIiNS6_6CastOpIiEEPilEEPdNS6_3SumEiiNS0_19lookback_scan_stateIiLb0ELb1EEEEEvT2_T3_mT5_T4_T7_jPT6_SM_bb,comdat
	.protected	_ZN7rocprim6detail20lookback_scan_kernelILNS0_25lookback_scan_determinismE0ELb0ENS0_19wrapped_scan_configINS_14default_configEiEEN6hipcub22TransformInputIteratorIiNS6_6CastOpIiEEPilEEPdNS6_3SumEiiNS0_19lookback_scan_stateIiLb0ELb1EEEEEvT2_T3_mT5_T4_T7_jPT6_SM_bb ; -- Begin function _ZN7rocprim6detail20lookback_scan_kernelILNS0_25lookback_scan_determinismE0ELb0ENS0_19wrapped_scan_configINS_14default_configEiEEN6hipcub22TransformInputIteratorIiNS6_6CastOpIiEEPilEEPdNS6_3SumEiiNS0_19lookback_scan_stateIiLb0ELb1EEEEEvT2_T3_mT5_T4_T7_jPT6_SM_bb
	.globl	_ZN7rocprim6detail20lookback_scan_kernelILNS0_25lookback_scan_determinismE0ELb0ENS0_19wrapped_scan_configINS_14default_configEiEEN6hipcub22TransformInputIteratorIiNS6_6CastOpIiEEPilEEPdNS6_3SumEiiNS0_19lookback_scan_stateIiLb0ELb1EEEEEvT2_T3_mT5_T4_T7_jPT6_SM_bb
	.p2align	8
	.type	_ZN7rocprim6detail20lookback_scan_kernelILNS0_25lookback_scan_determinismE0ELb0ENS0_19wrapped_scan_configINS_14default_configEiEEN6hipcub22TransformInputIteratorIiNS6_6CastOpIiEEPilEEPdNS6_3SumEiiNS0_19lookback_scan_stateIiLb0ELb1EEEEEvT2_T3_mT5_T4_T7_jPT6_SM_bb,@function
_ZN7rocprim6detail20lookback_scan_kernelILNS0_25lookback_scan_determinismE0ELb0ENS0_19wrapped_scan_configINS_14default_configEiEEN6hipcub22TransformInputIteratorIiNS6_6CastOpIiEEPilEEPdNS6_3SumEiiNS0_19lookback_scan_stateIiLb0ELb1EEEEEvT2_T3_mT5_T4_T7_jPT6_SM_bb: ; @_ZN7rocprim6detail20lookback_scan_kernelILNS0_25lookback_scan_determinismE0ELb0ENS0_19wrapped_scan_configINS_14default_configEiEEN6hipcub22TransformInputIteratorIiNS6_6CastOpIiEEPilEEPdNS6_3SumEiiNS0_19lookback_scan_stateIiLb0ELb1EEEEEvT2_T3_mT5_T4_T7_jPT6_SM_bb
; %bb.0:
	s_clause 0x2
	s_load_b32 s8, s[0:1], 0x30
	s_load_b128 s[4:7], s[0:1], 0x10
	s_load_b64 s[2:3], s[0:1], 0x0
	s_lshl_b32 s12, s15, 10
	s_mov_b32 s13, 0
	v_lshlrev_b32_e32 v19, 2, v0
	v_lshrrev_b32_e32 v20, 3, v0
	v_or_b32_e32 v47, 64, v0
	v_or_b32_e32 v46, 0x80, v0
	;; [unrolled: 1-line block ×13, first 2 shown]
	s_waitcnt lgkmcnt(0)
	s_add_i32 s8, s8, -1
	v_or_b32_e32 v34, 0x380, v0
	s_lshl_b32 s9, s8, 10
	v_or_b32_e32 v33, 0x3c0, v0
	s_sub_u32 s14, s6, s9
	s_subb_u32 s33, s7, 0
	s_cmp_lg_u32 s15, s8
	s_cselect_b32 s34, -1, 0
	s_lshl_b64 s[6:7], s[12:13], 2
	s_delay_alu instid0(SALU_CYCLE_1)
	s_add_u32 s6, s2, s6
	s_addc_u32 s7, s3, s7
	s_and_b32 vcc_lo, exec_lo, s34
	s_mov_b32 s3, -1
	s_cbranch_vccz .LBB19_2
; %bb.1:
	s_clause 0xf
	global_load_b32 v1, v19, s[6:7]
	global_load_b32 v2, v19, s[6:7] offset:256
	global_load_b32 v3, v19, s[6:7] offset:512
	;; [unrolled: 1-line block ×15, first 2 shown]
	v_lshrrev_b32_e32 v18, 3, v47
	v_lshrrev_b32_e32 v21, 3, v46
	;; [unrolled: 1-line block ×4, first 2 shown]
	v_and_b32_e32 v17, 4, v20
	v_lshrrev_b32_e32 v24, 3, v43
	v_lshrrev_b32_e32 v25, 3, v42
	;; [unrolled: 1-line block ×11, first 2 shown]
	v_and_b32_e32 v18, 12, v18
	v_and_b32_e32 v21, 20, v21
	;; [unrolled: 1-line block ×4, first 2 shown]
	v_add_nc_u32_e32 v17, v17, v19
	v_and_b32_e32 v24, 44, v24
	v_and_b32_e32 v25, 52, v25
	;; [unrolled: 1-line block ×11, first 2 shown]
	v_add_nc_u32_e32 v18, v18, v19
	v_add_nc_u32_e32 v21, v21, v19
	;; [unrolled: 1-line block ×4, first 2 shown]
	s_mov_b32 s3, s13
	v_add_nc_u32_e32 v24, v24, v19
	v_add_nc_u32_e32 v25, v25, v19
	;; [unrolled: 1-line block ×11, first 2 shown]
	s_waitcnt vmcnt(15)
	ds_store_b32 v17, v1
	s_waitcnt vmcnt(14)
	ds_store_b32 v18, v2 offset:256
	s_waitcnt vmcnt(13)
	ds_store_b32 v21, v3 offset:512
	;; [unrolled: 2-line block ×15, first 2 shown]
	s_waitcnt lgkmcnt(0)
	s_barrier
.LBB19_2:
	v_cmp_gt_u32_e64 s2, s14, v0
	s_and_not1_b32 vcc_lo, exec_lo, s3
	s_cbranch_vccnz .LBB19_21
; %bb.3:
	s_load_b32 s16, s[6:7], 0x0
	v_add_co_u32 v17, s3, s6, v19
	s_delay_alu instid0(VALU_DEP_1)
	v_add_co_ci_u32_e64 v18, null, s7, 0, s3
	s_waitcnt lgkmcnt(0)
	s_mov_b32 s17, s16
	s_mov_b32 s18, s16
	;; [unrolled: 1-line block ×15, first 2 shown]
	v_dual_mov_b32 v1, s16 :: v_dual_mov_b32 v2, s17
	v_dual_mov_b32 v3, s18 :: v_dual_mov_b32 v4, s19
	;; [unrolled: 1-line block ×8, first 2 shown]
	v_mov_b32_e32 v21, s16
	s_and_saveexec_b32 s3, s2
	s_cbranch_execnz .LBB19_132
; %bb.4:
	s_or_b32 exec_lo, exec_lo, s3
	s_delay_alu instid0(SALU_CYCLE_1)
	s_mov_b32 s2, exec_lo
	v_cmpx_gt_u32_e64 s14, v47
	s_cbranch_execnz .LBB19_133
.LBB19_5:
	s_or_b32 exec_lo, exec_lo, s2
	s_delay_alu instid0(SALU_CYCLE_1)
	s_mov_b32 s2, exec_lo
	v_cmpx_gt_u32_e64 s14, v46
	s_cbranch_execnz .LBB19_134
.LBB19_6:
	s_or_b32 exec_lo, exec_lo, s2
	s_delay_alu instid0(SALU_CYCLE_1)
	s_mov_b32 s2, exec_lo
	v_cmpx_gt_u32_e64 s14, v45
	s_cbranch_execnz .LBB19_135
.LBB19_7:
	s_or_b32 exec_lo, exec_lo, s2
	s_delay_alu instid0(SALU_CYCLE_1)
	s_mov_b32 s2, exec_lo
	v_cmpx_gt_u32_e64 s14, v44
	s_cbranch_execnz .LBB19_136
.LBB19_8:
	s_or_b32 exec_lo, exec_lo, s2
	s_delay_alu instid0(SALU_CYCLE_1)
	s_mov_b32 s2, exec_lo
	v_cmpx_gt_u32_e64 s14, v43
	s_cbranch_execnz .LBB19_137
.LBB19_9:
	s_or_b32 exec_lo, exec_lo, s2
	s_delay_alu instid0(SALU_CYCLE_1)
	s_mov_b32 s2, exec_lo
	v_cmpx_gt_u32_e64 s14, v42
	s_cbranch_execnz .LBB19_138
.LBB19_10:
	s_or_b32 exec_lo, exec_lo, s2
	s_delay_alu instid0(SALU_CYCLE_1)
	s_mov_b32 s2, exec_lo
	v_cmpx_gt_u32_e64 s14, v41
	s_cbranch_execnz .LBB19_139
.LBB19_11:
	s_or_b32 exec_lo, exec_lo, s2
	s_delay_alu instid0(SALU_CYCLE_1)
	s_mov_b32 s2, exec_lo
	v_cmpx_gt_u32_e64 s14, v40
	s_cbranch_execnz .LBB19_140
.LBB19_12:
	s_or_b32 exec_lo, exec_lo, s2
	s_delay_alu instid0(SALU_CYCLE_1)
	s_mov_b32 s2, exec_lo
	v_cmpx_gt_u32_e64 s14, v39
	s_cbranch_execnz .LBB19_141
.LBB19_13:
	s_or_b32 exec_lo, exec_lo, s2
	s_delay_alu instid0(SALU_CYCLE_1)
	s_mov_b32 s2, exec_lo
	v_cmpx_gt_u32_e64 s14, v38
	s_cbranch_execnz .LBB19_142
.LBB19_14:
	s_or_b32 exec_lo, exec_lo, s2
	s_delay_alu instid0(SALU_CYCLE_1)
	s_mov_b32 s2, exec_lo
	v_cmpx_gt_u32_e64 s14, v37
	s_cbranch_execnz .LBB19_143
.LBB19_15:
	s_or_b32 exec_lo, exec_lo, s2
	s_delay_alu instid0(SALU_CYCLE_1)
	s_mov_b32 s2, exec_lo
	v_cmpx_gt_u32_e64 s14, v36
	s_cbranch_execnz .LBB19_144
.LBB19_16:
	s_or_b32 exec_lo, exec_lo, s2
	s_delay_alu instid0(SALU_CYCLE_1)
	s_mov_b32 s2, exec_lo
	v_cmpx_gt_u32_e64 s14, v35
	s_cbranch_execnz .LBB19_145
.LBB19_17:
	s_or_b32 exec_lo, exec_lo, s2
	s_delay_alu instid0(SALU_CYCLE_1)
	s_mov_b32 s2, exec_lo
	v_cmpx_gt_u32_e64 s14, v34
	s_cbranch_execnz .LBB19_146
.LBB19_18:
	s_or_b32 exec_lo, exec_lo, s2
	s_delay_alu instid0(SALU_CYCLE_1)
	s_mov_b32 s2, exec_lo
	v_cmpx_gt_u32_e64 s14, v33
	s_cbranch_execz .LBB19_20
.LBB19_19:
	global_load_b32 v16, v[17:18], off offset:3840
.LBB19_20:
	s_or_b32 exec_lo, exec_lo, s2
	v_lshrrev_b32_e32 v1, 3, v47
	v_lshrrev_b32_e32 v17, 3, v46
	v_and_b32_e32 v18, 4, v20
	v_lshrrev_b32_e32 v20, 3, v45
	v_lshrrev_b32_e32 v22, 3, v44
	;; [unrolled: 1-line block ×5, first 2 shown]
	v_and_b32_e32 v1, 12, v1
	v_and_b32_e32 v17, 28, v17
	;; [unrolled: 1-line block ×4, first 2 shown]
	v_add_nc_u32_e32 v18, v18, v19
	v_and_b32_e32 v23, 60, v23
	v_and_b32_e32 v24, 60, v24
	;; [unrolled: 1-line block ×3, first 2 shown]
	v_add_nc_u32_e32 v1, v1, v19
	v_add_nc_u32_e32 v17, v17, v19
	v_lshrrev_b32_e32 v26, 3, v40
	v_add_nc_u32_e32 v20, v20, v19
	v_lshrrev_b32_e32 v27, 3, v39
	;; [unrolled: 2-line block ×3, first 2 shown]
	v_add_nc_u32_e32 v23, v23, v19
	v_add_nc_u32_e32 v24, v24, v19
	;; [unrolled: 1-line block ×3, first 2 shown]
	s_waitcnt vmcnt(0)
	ds_store_b32 v18, v21
	ds_store_b32 v1, v2 offset:256
	ds_store_b32 v17, v3 offset:512
	;; [unrolled: 1-line block ×7, first 2 shown]
	v_lshrrev_b32_e32 v4, 3, v37
	v_lshrrev_b32_e32 v5, 3, v36
	v_and_b32_e32 v26, 0x7c, v26
	v_lshrrev_b32_e32 v6, 3, v35
	v_lshrrev_b32_e32 v7, 3, v34
	;; [unrolled: 1-line block ×3, first 2 shown]
	v_and_b32_e32 v27, 0x7c, v27
	v_and_b32_e32 v28, 0x7c, v28
	;; [unrolled: 1-line block ×4, first 2 shown]
	v_add_nc_u32_e32 v1, v26, v19
	v_and_b32_e32 v6, 0x7c, v6
	v_and_b32_e32 v7, 0x7c, v7
	v_and_b32_e32 v8, 0x7c, v8
	v_add_nc_u32_e32 v2, v27, v19
	v_add_nc_u32_e32 v3, v28, v19
	;; [unrolled: 1-line block ×7, first 2 shown]
	ds_store_b32 v1, v9 offset:2048
	ds_store_b32 v2, v10 offset:2304
	;; [unrolled: 1-line block ×8, first 2 shown]
	s_waitcnt lgkmcnt(0)
	s_barrier
.LBB19_21:
	v_lshlrev_b32_e32 v1, 4, v0
	v_lshrrev_b32_e32 v49, 1, v0
	buffer_gl0_inv
	s_load_b64 s[6:7], s[0:1], 0x28
	v_lshrrev_b32_e32 v48, 5, v0
	v_cmp_gt_u32_e32 vcc_lo, 32, v0
	v_add_lshl_u32 v1, v49, v1, 2
	s_cmp_lg_u32 s15, 0
	ds_load_2addr_b32 v[29:30], v1 offset1:1
	ds_load_2addr_b32 v[31:32], v1 offset0:2 offset1:3
	ds_load_2addr_b32 v[27:28], v1 offset0:4 offset1:5
	;; [unrolled: 1-line block ×7, first 2 shown]
	s_waitcnt lgkmcnt(0)
	s_barrier
	buffer_gl0_inv
	s_cbranch_scc0 .LBB19_46
; %bb.22:
	v_add_nc_u32_e32 v1, v30, v29
	v_add_lshl_u32 v2, v48, v0, 2
	s_delay_alu instid0(VALU_DEP_2) | instskip(NEXT) | instid1(VALU_DEP_1)
	v_add3_u32 v1, v1, v31, v32
	v_add3_u32 v1, v1, v27, v28
	s_delay_alu instid0(VALU_DEP_1) | instskip(NEXT) | instid1(VALU_DEP_1)
	v_add3_u32 v1, v1, v25, v26
	v_add3_u32 v1, v1, v23, v24
	s_delay_alu instid0(VALU_DEP_1) | instskip(NEXT) | instid1(VALU_DEP_1)
	v_add3_u32 v1, v1, v21, v22
	v_add3_u32 v1, v1, v19, v20
	s_delay_alu instid0(VALU_DEP_1)
	v_add3_u32 v1, v1, v17, v18
	ds_store_b32 v2, v1
	s_waitcnt lgkmcnt(0)
	s_barrier
	buffer_gl0_inv
	s_and_saveexec_b32 s3, vcc_lo
	s_cbranch_execz .LBB19_24
; %bb.23:
	v_lshrrev_b32_e32 v2, 2, v0
	v_mbcnt_lo_u32_b32 v5, -1, 0
	s_delay_alu instid0(VALU_DEP_2) | instskip(NEXT) | instid1(VALU_DEP_2)
	v_and_b32_e32 v2, 12, v2
	v_and_b32_e32 v7, 15, v5
	v_add_nc_u32_e32 v9, -1, v5
	s_delay_alu instid0(VALU_DEP_3) | instskip(NEXT) | instid1(VALU_DEP_3)
	v_lshl_or_b32 v4, v0, 3, v2
	v_cmp_ne_u32_e64 s2, 0, v7
	ds_load_2addr_b32 v[2:3], v4 offset1:1
	s_waitcnt lgkmcnt(0)
	v_add_nc_u32_e32 v6, v3, v2
	s_delay_alu instid0(VALU_DEP_1) | instskip(NEXT) | instid1(VALU_DEP_1)
	v_mov_b32_dpp v8, v6 row_shr:1 row_mask:0xf bank_mask:0xf
	v_cndmask_b32_e64 v8, 0, v8, s2
	v_cmp_lt_u32_e64 s2, 1, v7
	s_delay_alu instid0(VALU_DEP_2) | instskip(NEXT) | instid1(VALU_DEP_1)
	v_add_nc_u32_e32 v6, v8, v6
	v_mov_b32_dpp v8, v6 row_shr:2 row_mask:0xf bank_mask:0xf
	s_delay_alu instid0(VALU_DEP_1) | instskip(SKIP_1) | instid1(VALU_DEP_2)
	v_cndmask_b32_e64 v8, 0, v8, s2
	v_cmp_lt_u32_e64 s2, 3, v7
	v_add_nc_u32_e32 v6, v6, v8
	s_delay_alu instid0(VALU_DEP_1) | instskip(NEXT) | instid1(VALU_DEP_1)
	v_mov_b32_dpp v8, v6 row_shr:4 row_mask:0xf bank_mask:0xf
	v_cndmask_b32_e64 v8, 0, v8, s2
	v_cmp_lt_u32_e64 s2, 7, v7
	s_delay_alu instid0(VALU_DEP_2) | instskip(NEXT) | instid1(VALU_DEP_1)
	v_add_nc_u32_e32 v6, v6, v8
	v_mov_b32_dpp v8, v6 row_shr:8 row_mask:0xf bank_mask:0xf
	s_delay_alu instid0(VALU_DEP_1) | instskip(SKIP_2) | instid1(VALU_DEP_3)
	v_cndmask_b32_e64 v7, 0, v8, s2
	v_bfe_i32 v8, v5, 4, 1
	v_cmp_gt_i32_e64 s2, 0, v9
	v_add_nc_u32_e32 v6, v6, v7
	s_delay_alu instid0(VALU_DEP_2)
	v_cndmask_b32_e64 v5, v9, v5, s2
	v_cmp_eq_u32_e64 s2, 0, v0
	ds_swizzle_b32 v7, v6 offset:swizzle(BROADCAST,32,15)
	v_lshlrev_b32_e32 v5, 2, v5
	s_waitcnt lgkmcnt(0)
	v_and_b32_e32 v7, v8, v7
	s_delay_alu instid0(VALU_DEP_1) | instskip(SKIP_3) | instid1(VALU_DEP_1)
	v_add_nc_u32_e32 v6, v6, v7
	ds_bpermute_b32 v5, v5, v6
	s_waitcnt lgkmcnt(0)
	v_add_nc_u32_e32 v2, v5, v2
	v_cndmask_b32_e64 v1, v2, v1, s2
	s_delay_alu instid0(VALU_DEP_1)
	v_add_nc_u32_e32 v2, v1, v3
	ds_store_2addr_b32 v4, v1, v2 offset1:1
.LBB19_24:
	s_or_b32 exec_lo, exec_lo, s3
	v_cmp_eq_u32_e64 s2, 0, v0
	v_mov_b32_e32 v8, 0
	s_mov_b32 s8, exec_lo
	s_waitcnt lgkmcnt(0)
	s_barrier
	buffer_gl0_inv
	v_cmpx_ne_u32_e32 0, v0
	s_cbranch_execz .LBB19_26
; %bb.25:
	v_add_nc_u32_e32 v1, -1, v0
	s_delay_alu instid0(VALU_DEP_1) | instskip(NEXT) | instid1(VALU_DEP_1)
	v_lshrrev_b32_e32 v2, 5, v1
	v_add_lshl_u32 v1, v2, v1, 2
	ds_load_b32 v8, v1
.LBB19_26:
	s_or_b32 exec_lo, exec_lo, s8
	s_and_saveexec_b32 s10, vcc_lo
	s_cbranch_execz .LBB19_45
; %bb.27:
	v_mov_b32_e32 v4, 0
	v_mbcnt_lo_u32_b32 v16, -1, 0
	s_mov_b32 s9, 0
	ds_load_b32 v1, v4 offset:256
	v_cmp_eq_u32_e64 s3, 0, v16
	s_delay_alu instid0(VALU_DEP_1)
	s_and_saveexec_b32 s11, s3
	s_cbranch_execz .LBB19_29
; %bb.28:
	s_add_i32 s8, s15, 32
	v_mov_b32_e32 v2, 1
	s_lshl_b64 s[8:9], s[8:9], 3
	s_delay_alu instid0(SALU_CYCLE_1)
	s_add_u32 s8, s6, s8
	s_addc_u32 s9, s7, s9
	s_waitcnt lgkmcnt(0)
	global_store_b64 v4, v[1:2], s[8:9]
.LBB19_29:
	s_or_b32 exec_lo, exec_lo, s11
	v_xad_u32 v2, v16, -1, s15
	s_mov_b32 s8, exec_lo
	s_delay_alu instid0(VALU_DEP_1) | instskip(NEXT) | instid1(VALU_DEP_1)
	v_add_nc_u32_e32 v3, 32, v2
	v_lshlrev_b64 v[3:4], 3, v[3:4]
	s_delay_alu instid0(VALU_DEP_1) | instskip(NEXT) | instid1(VALU_DEP_2)
	v_add_co_u32 v6, vcc_lo, s6, v3
	v_add_co_ci_u32_e32 v7, vcc_lo, s7, v4, vcc_lo
	global_load_b64 v[4:5], v[6:7], off glc
	s_waitcnt vmcnt(0)
	v_and_b32_e32 v3, 0xff, v5
	s_delay_alu instid0(VALU_DEP_1)
	v_cmpx_eq_u16_e32 0, v3
	s_cbranch_execz .LBB19_33
; %bb.30:
	s_mov_b32 s9, 0
.LBB19_31:                              ; =>This Inner Loop Header: Depth=1
	global_load_b64 v[4:5], v[6:7], off glc
	s_waitcnt vmcnt(0)
	v_and_b32_e32 v3, 0xff, v5
	s_delay_alu instid0(VALU_DEP_1) | instskip(SKIP_1) | instid1(SALU_CYCLE_1)
	v_cmp_ne_u16_e32 vcc_lo, 0, v3
	s_or_b32 s9, vcc_lo, s9
	s_and_not1_b32 exec_lo, exec_lo, s9
	s_cbranch_execnz .LBB19_31
; %bb.32:
	s_or_b32 exec_lo, exec_lo, s9
.LBB19_33:
	s_delay_alu instid0(SALU_CYCLE_1)
	s_or_b32 exec_lo, exec_lo, s8
	v_cmp_ne_u32_e32 vcc_lo, 31, v16
	v_lshlrev_b32_e64 v10, v16, -1
	v_add_nc_u32_e32 v11, 1, v16
	v_add_nc_u32_e32 v13, 2, v16
	;; [unrolled: 1-line block ×3, first 2 shown]
	v_add_co_ci_u32_e32 v3, vcc_lo, 0, v16, vcc_lo
	v_add_nc_u32_e32 v51, 8, v16
	v_add_nc_u32_e32 v53, 16, v16
	s_delay_alu instid0(VALU_DEP_3)
	v_lshlrev_b32_e32 v9, 2, v3
	v_and_b32_e32 v3, 0xff, v5
	ds_bpermute_b32 v6, v9, v4
	v_cmp_eq_u16_e32 vcc_lo, 2, v3
	v_and_or_b32 v3, vcc_lo, v10, 0x80000000
	v_cmp_gt_u32_e32 vcc_lo, 30, v16
	s_delay_alu instid0(VALU_DEP_2) | instskip(SKIP_1) | instid1(VALU_DEP_2)
	v_ctz_i32_b32_e32 v3, v3
	v_cndmask_b32_e64 v7, 0, 1, vcc_lo
	v_cmp_le_u32_e32 vcc_lo, v11, v3
	s_waitcnt lgkmcnt(0)
	s_delay_alu instid0(VALU_DEP_2) | instskip(NEXT) | instid1(VALU_DEP_1)
	v_dual_cndmask_b32 v6, 0, v6 :: v_dual_lshlrev_b32 v7, 1, v7
	v_add_lshl_u32 v12, v7, v16, 2
	v_cmp_gt_u32_e32 vcc_lo, 28, v16
	s_delay_alu instid0(VALU_DEP_3) | instskip(SKIP_4) | instid1(VALU_DEP_1)
	v_add_nc_u32_e32 v4, v6, v4
	v_cndmask_b32_e64 v7, 0, 1, vcc_lo
	v_cmp_le_u32_e32 vcc_lo, v13, v3
	ds_bpermute_b32 v6, v12, v4
	v_lshlrev_b32_e32 v7, 2, v7
	v_add_lshl_u32 v14, v7, v16, 2
	s_waitcnt lgkmcnt(0)
	v_cndmask_b32_e32 v6, 0, v6, vcc_lo
	v_cmp_gt_u32_e32 vcc_lo, 24, v16
	s_delay_alu instid0(VALU_DEP_2) | instskip(SKIP_4) | instid1(VALU_DEP_1)
	v_add_nc_u32_e32 v4, v4, v6
	v_cndmask_b32_e64 v7, 0, 1, vcc_lo
	v_cmp_le_u32_e32 vcc_lo, v15, v3
	ds_bpermute_b32 v6, v14, v4
	v_lshlrev_b32_e32 v7, 3, v7
	v_add_lshl_u32 v50, v7, v16, 2
	s_waitcnt lgkmcnt(0)
	v_cndmask_b32_e32 v6, 0, v6, vcc_lo
	v_cmp_gt_u32_e32 vcc_lo, 16, v16
	s_delay_alu instid0(VALU_DEP_2) | instskip(SKIP_4) | instid1(VALU_DEP_1)
	v_add_nc_u32_e32 v4, v4, v6
	v_cndmask_b32_e64 v7, 0, 1, vcc_lo
	v_cmp_le_u32_e32 vcc_lo, v51, v3
	ds_bpermute_b32 v6, v50, v4
	v_lshlrev_b32_e32 v7, 4, v7
	v_add_lshl_u32 v52, v7, v16, 2
	s_waitcnt lgkmcnt(0)
	v_cndmask_b32_e32 v6, 0, v6, vcc_lo
	v_cmp_le_u32_e32 vcc_lo, v53, v3
	s_delay_alu instid0(VALU_DEP_2) | instskip(SKIP_3) | instid1(VALU_DEP_1)
	v_add_nc_u32_e32 v4, v4, v6
	ds_bpermute_b32 v6, v52, v4
	s_waitcnt lgkmcnt(0)
	v_cndmask_b32_e32 v3, 0, v6, vcc_lo
	v_dual_mov_b32 v3, 0 :: v_dual_add_nc_u32 v4, v4, v3
	s_branch .LBB19_35
.LBB19_34:                              ;   in Loop: Header=BB19_35 Depth=1
	s_or_b32 exec_lo, exec_lo, s8
	ds_bpermute_b32 v7, v9, v4
	v_and_b32_e32 v6, 0xff, v5
	v_subrev_nc_u32_e32 v2, 32, v2
	s_delay_alu instid0(VALU_DEP_2) | instskip(SKIP_1) | instid1(VALU_DEP_1)
	v_cmp_eq_u16_e32 vcc_lo, 2, v6
	v_and_or_b32 v6, vcc_lo, v10, 0x80000000
	v_ctz_i32_b32_e32 v6, v6
	s_delay_alu instid0(VALU_DEP_1) | instskip(SKIP_3) | instid1(VALU_DEP_2)
	v_cmp_le_u32_e32 vcc_lo, v11, v6
	s_waitcnt lgkmcnt(0)
	v_cndmask_b32_e32 v7, 0, v7, vcc_lo
	v_cmp_le_u32_e32 vcc_lo, v13, v6
	v_add_nc_u32_e32 v4, v7, v4
	ds_bpermute_b32 v7, v12, v4
	s_waitcnt lgkmcnt(0)
	v_cndmask_b32_e32 v7, 0, v7, vcc_lo
	v_cmp_le_u32_e32 vcc_lo, v15, v6
	s_delay_alu instid0(VALU_DEP_2) | instskip(SKIP_4) | instid1(VALU_DEP_2)
	v_add_nc_u32_e32 v4, v4, v7
	ds_bpermute_b32 v7, v14, v4
	s_waitcnt lgkmcnt(0)
	v_cndmask_b32_e32 v7, 0, v7, vcc_lo
	v_cmp_le_u32_e32 vcc_lo, v51, v6
	v_add_nc_u32_e32 v4, v4, v7
	ds_bpermute_b32 v7, v50, v4
	s_waitcnt lgkmcnt(0)
	v_cndmask_b32_e32 v7, 0, v7, vcc_lo
	v_cmp_le_u32_e32 vcc_lo, v53, v6
	s_delay_alu instid0(VALU_DEP_2) | instskip(SKIP_3) | instid1(VALU_DEP_1)
	v_add_nc_u32_e32 v4, v4, v7
	ds_bpermute_b32 v7, v52, v4
	s_waitcnt lgkmcnt(0)
	v_cndmask_b32_e32 v6, 0, v7, vcc_lo
	v_add3_u32 v4, v6, v16, v4
.LBB19_35:                              ; =>This Loop Header: Depth=1
                                        ;     Child Loop BB19_38 Depth 2
	s_delay_alu instid0(VALU_DEP_1) | instskip(NEXT) | instid1(VALU_DEP_1)
	v_dual_mov_b32 v16, v4 :: v_dual_and_b32 v5, 0xff, v5
	v_cmp_ne_u16_e32 vcc_lo, 2, v5
	v_cndmask_b32_e64 v5, 0, 1, vcc_lo
	;;#ASMSTART
	;;#ASMEND
	s_delay_alu instid0(VALU_DEP_1)
	v_cmp_ne_u32_e32 vcc_lo, 0, v5
	s_cmp_lg_u32 vcc_lo, exec_lo
	s_cbranch_scc1 .LBB19_40
; %bb.36:                               ;   in Loop: Header=BB19_35 Depth=1
	v_lshlrev_b64 v[4:5], 3, v[2:3]
	s_mov_b32 s8, exec_lo
	s_delay_alu instid0(VALU_DEP_1) | instskip(NEXT) | instid1(VALU_DEP_2)
	v_add_co_u32 v6, vcc_lo, s6, v4
	v_add_co_ci_u32_e32 v7, vcc_lo, s7, v5, vcc_lo
	global_load_b64 v[4:5], v[6:7], off glc
	s_waitcnt vmcnt(0)
	v_and_b32_e32 v54, 0xff, v5
	s_delay_alu instid0(VALU_DEP_1)
	v_cmpx_eq_u16_e32 0, v54
	s_cbranch_execz .LBB19_34
; %bb.37:                               ;   in Loop: Header=BB19_35 Depth=1
	s_mov_b32 s9, 0
.LBB19_38:                              ;   Parent Loop BB19_35 Depth=1
                                        ; =>  This Inner Loop Header: Depth=2
	global_load_b64 v[4:5], v[6:7], off glc
	s_waitcnt vmcnt(0)
	v_and_b32_e32 v54, 0xff, v5
	s_delay_alu instid0(VALU_DEP_1) | instskip(SKIP_1) | instid1(SALU_CYCLE_1)
	v_cmp_ne_u16_e32 vcc_lo, 0, v54
	s_or_b32 s9, vcc_lo, s9
	s_and_not1_b32 exec_lo, exec_lo, s9
	s_cbranch_execnz .LBB19_38
; %bb.39:                               ;   in Loop: Header=BB19_35 Depth=1
	s_or_b32 exec_lo, exec_lo, s9
	s_branch .LBB19_34
.LBB19_40:                              ;   in Loop: Header=BB19_35 Depth=1
                                        ; implicit-def: $vgpr4
                                        ; implicit-def: $vgpr5
	s_cbranch_execz .LBB19_35
; %bb.41:
	s_and_saveexec_b32 s8, s3
	s_cbranch_execz .LBB19_43
; %bb.42:
	s_add_i32 s16, s15, 32
	s_mov_b32 s17, 0
	v_dual_mov_b32 v3, 0 :: v_dual_mov_b32 v2, 2
	s_lshl_b64 s[16:17], s[16:17], 3
	v_add_nc_u32_e32 v1, v16, v1
	s_add_u32 s16, s6, s16
	s_addc_u32 s17, s7, s17
	global_store_b64 v3, v[1:2], s[16:17]
.LBB19_43:
	s_or_b32 exec_lo, exec_lo, s8
	s_delay_alu instid0(SALU_CYCLE_1)
	s_and_b32 exec_lo, exec_lo, s2
	s_cbranch_execz .LBB19_45
; %bb.44:
	v_mov_b32_e32 v1, 0
	ds_store_b32 v1, v16
.LBB19_45:
	s_or_b32 exec_lo, exec_lo, s10
	v_mov_b32_e32 v1, 0
	s_waitcnt lgkmcnt(0)
	s_waitcnt_vscnt null, 0x0
	s_barrier
	buffer_gl0_inv
	ds_load_b32 v1, v1
	s_waitcnt lgkmcnt(0)
	v_add3_u32 v1, v8, v29, v1
	s_delay_alu instid0(VALU_DEP_1) | instskip(NEXT) | instid1(VALU_DEP_1)
	v_add_nc_u32_e32 v2, v1, v30
	v_add_nc_u32_e32 v3, v2, v31
	s_delay_alu instid0(VALU_DEP_1) | instskip(NEXT) | instid1(VALU_DEP_1)
	v_add_nc_u32_e32 v4, v3, v32
	v_add_nc_u32_e32 v5, v4, v27
	;; [unrolled: 3-line block ×7, first 2 shown]
	s_delay_alu instid0(VALU_DEP_1)
	v_add_nc_u32_e32 v16, v15, v18
	s_load_b128 s[8:11], s[0:1], 0x38
	s_branch .LBB19_56
.LBB19_46:
                                        ; implicit-def: $vgpr1_vgpr2_vgpr3_vgpr4_vgpr5_vgpr6_vgpr7_vgpr8_vgpr9_vgpr10_vgpr11_vgpr12_vgpr13_vgpr14_vgpr15_vgpr16
	s_load_b128 s[8:11], s[0:1], 0x38
	s_cbranch_execz .LBB19_56
; %bb.47:
	s_load_b32 s2, s[0:1], 0x48
	v_cmp_eq_u32_e32 vcc_lo, 0, v0
	s_waitcnt lgkmcnt(0)
	s_bitcmp1_b32 s2, 0
	v_cmp_ne_u32_e64 s2, 0, v0
	s_cselect_b32 s3, -1, 0
	s_delay_alu instid0(SALU_CYCLE_1) | instskip(NEXT) | instid1(SALU_CYCLE_1)
	s_and_b32 s15, vcc_lo, s3
	s_and_saveexec_b32 s3, s15
	s_cbranch_execz .LBB19_49
; %bb.48:
	s_load_b32 s8, s[8:9], 0x0
	s_waitcnt lgkmcnt(0)
	v_add_nc_u32_e32 v29, s8, v29
.LBB19_49:
	s_or_b32 exec_lo, exec_lo, s3
	s_delay_alu instid0(VALU_DEP_1) | instskip(SKIP_2) | instid1(VALU_DEP_2)
	v_add_nc_u32_e32 v1, v30, v29
	v_add_lshl_u32 v2, v48, v0, 2
	s_mov_b32 s8, exec_lo
	v_add3_u32 v1, v1, v31, v32
	s_delay_alu instid0(VALU_DEP_1) | instskip(NEXT) | instid1(VALU_DEP_1)
	v_add3_u32 v1, v1, v27, v28
	v_add3_u32 v1, v1, v25, v26
	s_delay_alu instid0(VALU_DEP_1) | instskip(NEXT) | instid1(VALU_DEP_1)
	v_add3_u32 v1, v1, v23, v24
	v_add3_u32 v1, v1, v21, v22
	s_delay_alu instid0(VALU_DEP_1) | instskip(NEXT) | instid1(VALU_DEP_1)
	v_add3_u32 v1, v1, v19, v20
	v_add3_u32 v1, v1, v17, v18
	ds_store_b32 v2, v1
	s_waitcnt lgkmcnt(0)
	s_barrier
	buffer_gl0_inv
	v_cmpx_gt_u32_e32 32, v0
	s_cbranch_execz .LBB19_51
; %bb.50:
	v_lshrrev_b32_e32 v2, 2, v0
	v_mbcnt_lo_u32_b32 v5, -1, 0
	s_delay_alu instid0(VALU_DEP_2) | instskip(NEXT) | instid1(VALU_DEP_2)
	v_and_b32_e32 v2, 12, v2
	v_and_b32_e32 v7, 15, v5
	v_add_nc_u32_e32 v9, -1, v5
	s_delay_alu instid0(VALU_DEP_3) | instskip(NEXT) | instid1(VALU_DEP_3)
	v_lshl_or_b32 v4, v0, 3, v2
	v_cmp_ne_u32_e64 s3, 0, v7
	ds_load_2addr_b32 v[2:3], v4 offset1:1
	s_waitcnt lgkmcnt(0)
	v_add_nc_u32_e32 v6, v3, v2
	s_delay_alu instid0(VALU_DEP_1) | instskip(NEXT) | instid1(VALU_DEP_1)
	v_mov_b32_dpp v8, v6 row_shr:1 row_mask:0xf bank_mask:0xf
	v_cndmask_b32_e64 v8, 0, v8, s3
	v_cmp_lt_u32_e64 s3, 1, v7
	s_delay_alu instid0(VALU_DEP_2) | instskip(NEXT) | instid1(VALU_DEP_1)
	v_add_nc_u32_e32 v6, v8, v6
	v_mov_b32_dpp v8, v6 row_shr:2 row_mask:0xf bank_mask:0xf
	s_delay_alu instid0(VALU_DEP_1) | instskip(SKIP_1) | instid1(VALU_DEP_2)
	v_cndmask_b32_e64 v8, 0, v8, s3
	v_cmp_lt_u32_e64 s3, 3, v7
	v_add_nc_u32_e32 v6, v6, v8
	s_delay_alu instid0(VALU_DEP_1) | instskip(NEXT) | instid1(VALU_DEP_1)
	v_mov_b32_dpp v8, v6 row_shr:4 row_mask:0xf bank_mask:0xf
	v_cndmask_b32_e64 v8, 0, v8, s3
	v_cmp_lt_u32_e64 s3, 7, v7
	s_delay_alu instid0(VALU_DEP_2) | instskip(NEXT) | instid1(VALU_DEP_1)
	v_add_nc_u32_e32 v6, v6, v8
	v_mov_b32_dpp v8, v6 row_shr:8 row_mask:0xf bank_mask:0xf
	s_delay_alu instid0(VALU_DEP_1) | instskip(SKIP_2) | instid1(VALU_DEP_3)
	v_cndmask_b32_e64 v7, 0, v8, s3
	v_bfe_i32 v8, v5, 4, 1
	v_cmp_gt_i32_e64 s3, 0, v9
	v_add_nc_u32_e32 v6, v6, v7
	s_delay_alu instid0(VALU_DEP_2) | instskip(SKIP_4) | instid1(VALU_DEP_1)
	v_cndmask_b32_e64 v5, v9, v5, s3
	ds_swizzle_b32 v7, v6 offset:swizzle(BROADCAST,32,15)
	v_lshlrev_b32_e32 v5, 2, v5
	s_waitcnt lgkmcnt(0)
	v_and_b32_e32 v7, v8, v7
	v_add_nc_u32_e32 v6, v6, v7
	ds_bpermute_b32 v5, v5, v6
	s_waitcnt lgkmcnt(0)
	v_add_nc_u32_e32 v2, v5, v2
	s_delay_alu instid0(VALU_DEP_1) | instskip(NEXT) | instid1(VALU_DEP_1)
	v_cndmask_b32_e32 v1, v2, v1, vcc_lo
	v_add_nc_u32_e32 v2, v1, v3
	ds_store_2addr_b32 v4, v1, v2 offset1:1
.LBB19_51:
	s_or_b32 exec_lo, exec_lo, s8
	v_mov_b32_e32 v1, 0
	s_waitcnt lgkmcnt(0)
	s_barrier
	buffer_gl0_inv
	s_and_saveexec_b32 s3, s2
	s_cbranch_execz .LBB19_53
; %bb.52:
	v_add_nc_u32_e32 v1, -1, v0
	s_delay_alu instid0(VALU_DEP_1) | instskip(NEXT) | instid1(VALU_DEP_1)
	v_lshrrev_b32_e32 v2, 5, v1
	v_add_lshl_u32 v1, v2, v1, 2
	ds_load_b32 v1, v1
.LBB19_53:
	s_or_b32 exec_lo, exec_lo, s3
	s_waitcnt lgkmcnt(0)
	v_add_nc_u32_e32 v1, v1, v29
	s_delay_alu instid0(VALU_DEP_1) | instskip(NEXT) | instid1(VALU_DEP_1)
	v_add_nc_u32_e32 v2, v1, v30
	v_add_nc_u32_e32 v3, v2, v31
	s_delay_alu instid0(VALU_DEP_1) | instskip(NEXT) | instid1(VALU_DEP_1)
	v_add_nc_u32_e32 v4, v3, v32
	v_add_nc_u32_e32 v5, v4, v27
	s_delay_alu instid0(VALU_DEP_1) | instskip(NEXT) | instid1(VALU_DEP_1)
	v_add_nc_u32_e32 v6, v5, v28
	v_add_nc_u32_e32 v7, v6, v25
	s_delay_alu instid0(VALU_DEP_1) | instskip(NEXT) | instid1(VALU_DEP_1)
	v_add_nc_u32_e32 v8, v7, v26
	v_add_nc_u32_e32 v9, v8, v23
	s_delay_alu instid0(VALU_DEP_1) | instskip(NEXT) | instid1(VALU_DEP_1)
	v_add_nc_u32_e32 v10, v9, v24
	v_add_nc_u32_e32 v11, v10, v21
	s_delay_alu instid0(VALU_DEP_1) | instskip(NEXT) | instid1(VALU_DEP_1)
	v_add_nc_u32_e32 v12, v11, v22
	v_add_nc_u32_e32 v13, v12, v19
	s_delay_alu instid0(VALU_DEP_1) | instskip(NEXT) | instid1(VALU_DEP_1)
	v_add_nc_u32_e32 v14, v13, v20
	v_add_nc_u32_e32 v15, v14, v17
	s_delay_alu instid0(VALU_DEP_1)
	v_add_nc_u32_e32 v16, v15, v18
	s_and_saveexec_b32 s2, vcc_lo
	s_cbranch_execz .LBB19_55
; %bb.54:
	v_dual_mov_b32 v19, 0 :: v_dual_mov_b32 v18, 2
	ds_load_b32 v17, v19 offset:256
	s_waitcnt lgkmcnt(0)
	global_store_b64 v19, v[17:18], s[6:7] offset:256
.LBB19_55:
	s_or_b32 exec_lo, exec_lo, s2
.LBB19_56:
	s_lshl_b64 s[2:3], s[12:13], 3
	v_lshlrev_b32_e32 v17, 6, v0
	v_lshlrev_b32_e32 v20, 3, v0
	s_add_u32 s2, s4, s2
	s_addc_u32 s3, s5, s3
	s_and_b32 vcc_lo, exec_lo, s34
	s_mov_b32 s4, -1
	s_waitcnt lgkmcnt(0)
	s_waitcnt_vscnt null, 0x0
	s_barrier
	buffer_gl0_inv
	s_cbranch_vccz .LBB19_58
; %bb.57:
	v_lshl_add_u32 v18, v49, 2, v17
	v_lshrrev_b32_e32 v19, 5, v46
	v_lshrrev_b32_e32 v22, 5, v45
	;; [unrolled: 1-line block ×3, first 2 shown]
	v_add_lshl_u32 v21, v48, v0, 2
	ds_store_2addr_b32 v18, v1, v2 offset1:1
	ds_store_2addr_b32 v18, v3, v4 offset0:2 offset1:3
	ds_store_2addr_b32 v18, v5, v6 offset0:4 offset1:5
	;; [unrolled: 1-line block ×7, first 2 shown]
	v_lshrrev_b32_e32 v18, 5, v47
	v_lshrrev_b32_e32 v24, 5, v43
	;; [unrolled: 1-line block ×4, first 2 shown]
	v_add_lshl_u32 v19, v19, v0, 2
	v_add_lshl_u32 v18, v18, v0, 2
	;; [unrolled: 1-line block ×3, first 2 shown]
	v_lshrrev_b32_e32 v27, 5, v40
	v_add_lshl_u32 v23, v23, v0, 2
	v_lshrrev_b32_e32 v28, 5, v39
	s_waitcnt lgkmcnt(0)
	s_barrier
	buffer_gl0_inv
	v_add_lshl_u32 v24, v24, v0, 2
	v_add_lshl_u32 v25, v25, v0, 2
	;; [unrolled: 1-line block ×3, first 2 shown]
	v_lshrrev_b32_e32 v29, 5, v38
	ds_load_b32 v21, v21
	ds_load_b32 v30, v18 offset:256
	ds_load_b32 v31, v19 offset:512
	;; [unrolled: 1-line block ×7, first 2 shown]
	v_lshrrev_b32_e32 v23, 5, v37
	v_lshrrev_b32_e32 v24, 5, v36
	v_add_lshl_u32 v18, v27, v0, 2
	v_lshrrev_b32_e32 v25, 5, v35
	v_lshrrev_b32_e32 v26, 5, v34
	;; [unrolled: 1-line block ×3, first 2 shown]
	v_add_lshl_u32 v19, v28, v0, 2
	v_add_lshl_u32 v22, v29, v0, 2
	v_add_lshl_u32 v23, v23, v0, 2
	v_add_lshl_u32 v24, v24, v0, 2
	v_add_lshl_u32 v25, v25, v0, 2
	v_add_lshl_u32 v26, v26, v0, 2
	v_add_lshl_u32 v27, v27, v0, 2
	ds_load_b32 v54, v18 offset:2048
	ds_load_b32 v55, v19 offset:2304
	;; [unrolled: 1-line block ×8, first 2 shown]
	s_waitcnt lgkmcnt(15)
	v_cvt_f64_i32_e32 v[18:19], v21
	s_waitcnt lgkmcnt(14)
	v_cvt_f64_i32_e32 v[21:22], v30
	;; [unrolled: 2-line block ×8, first 2 shown]
	v_add_co_u32 v68, s5, s2, v20
	s_delay_alu instid0(VALU_DEP_1)
	v_add_co_ci_u32_e64 v69, null, s3, 0, s5
	s_waitcnt lgkmcnt(7)
	v_cvt_f64_i32_e32 v[52:53], v54
	s_waitcnt lgkmcnt(6)
	v_cvt_f64_i32_e32 v[54:55], v55
	;; [unrolled: 2-line block ×8, first 2 shown]
	s_mov_b32 s4, 0
	s_clause 0x3
	global_store_b64 v20, v[18:19], s[2:3]
	global_store_b64 v20, v[21:22], s[2:3] offset:512
	global_store_b64 v20, v[23:24], s[2:3] offset:1024
	;; [unrolled: 1-line block ×3, first 2 shown]
	v_add_co_u32 v18, vcc_lo, 0x1000, v68
	v_add_co_ci_u32_e32 v19, vcc_lo, 0, v69, vcc_lo
	s_clause 0xb
	global_store_b64 v20, v[27:28], s[2:3] offset:2048
	global_store_b64 v20, v[29:30], s[2:3] offset:2560
	global_store_b64 v20, v[31:32], s[2:3] offset:3072
	global_store_b64 v20, v[50:51], s[2:3] offset:3584
	global_store_b64 v[18:19], v[52:53], off
	global_store_b64 v[18:19], v[54:55], off offset:512
	global_store_b64 v[18:19], v[56:57], off offset:1024
	;; [unrolled: 1-line block ×7, first 2 shown]
.LBB19_58:
	s_and_not1_b32 vcc_lo, exec_lo, s4
	s_cbranch_vccnz .LBB19_131
; %bb.59:
	v_lshl_add_u32 v17, v49, 2, v17
	ds_store_2addr_b32 v17, v1, v2 offset1:1
	ds_store_2addr_b32 v17, v3, v4 offset0:2 offset1:3
	ds_store_2addr_b32 v17, v5, v6 offset0:4 offset1:5
	ds_store_2addr_b32 v17, v7, v8 offset0:6 offset1:7
	ds_store_2addr_b32 v17, v9, v10 offset0:8 offset1:9
	ds_store_2addr_b32 v17, v11, v12 offset0:10 offset1:11
	ds_store_2addr_b32 v17, v13, v14 offset0:12 offset1:13
	ds_store_2addr_b32 v17, v15, v16 offset0:14 offset1:15
	v_lshrrev_b32_e32 v1, 5, v47
	v_lshrrev_b32_e32 v2, 5, v46
	;; [unrolled: 1-line block ×6, first 2 shown]
	v_add_lshl_u32 v3, v48, v0, 2
	v_lshrrev_b32_e32 v8, 5, v41
	v_add_lshl_u32 v1, v1, v0, 2
	v_lshrrev_b32_e32 v14, 5, v40
	;; [unrolled: 2-line block ×3, first 2 shown]
	v_lshrrev_b32_e32 v16, 5, v38
	v_add_lshl_u32 v9, v4, v0, 2
	v_add_lshl_u32 v10, v5, v0, 2
	;; [unrolled: 1-line block ×4, first 2 shown]
	s_waitcnt lgkmcnt(0)
	s_waitcnt_vscnt null, 0x0
	s_barrier
	buffer_gl0_inv
	v_add_lshl_u32 v13, v8, v0, 2
	ds_load_b32 v5, v3
	ds_load_b32 v4, v1 offset:256
	ds_load_b32 v6, v2 offset:512
	;; [unrolled: 1-line block ×7, first 2 shown]
	v_lshrrev_b32_e32 v12, 5, v37
	v_add_lshl_u32 v1, v14, v0, 2
	v_lshrrev_b32_e32 v13, 5, v36
	v_lshrrev_b32_e32 v14, 5, v35
	v_add_lshl_u32 v2, v15, v0, 2
	v_add_lshl_u32 v3, v16, v0, 2
	v_lshrrev_b32_e32 v15, 5, v34
	v_lshrrev_b32_e32 v16, 5, v33
	v_add_lshl_u32 v17, v12, v0, 2
	v_add_lshl_u32 v18, v13, v0, 2
	;; [unrolled: 1-line block ×5, first 2 shown]
	ds_load_b32 v12, v1 offset:2048
	ds_load_b32 v13, v2 offset:2304
	;; [unrolled: 1-line block ×8, first 2 shown]
	v_add_co_u32 v2, s2, s2, v20
	v_mov_b32_e32 v1, 0
	v_add_co_ci_u32_e64 v3, null, s3, 0, s2
	s_mov_b32 s2, exec_lo
	v_cmpx_gt_u32_e64 s14, v0
	s_cbranch_execnz .LBB19_147
; %bb.60:
	s_or_b32 exec_lo, exec_lo, s2
	s_delay_alu instid0(SALU_CYCLE_1)
	s_mov_b32 s2, exec_lo
	v_cmpx_gt_u32_e64 s14, v47
	s_cbranch_execnz .LBB19_148
.LBB19_61:
	s_or_b32 exec_lo, exec_lo, s2
	s_delay_alu instid0(SALU_CYCLE_1)
	s_mov_b32 s2, exec_lo
	v_cmpx_gt_u32_e64 s14, v46
	s_cbranch_execnz .LBB19_149
.LBB19_62:
	s_or_b32 exec_lo, exec_lo, s2
	s_delay_alu instid0(SALU_CYCLE_1)
	s_mov_b32 s2, exec_lo
	v_cmpx_gt_u32_e64 s14, v45
	s_cbranch_execnz .LBB19_150
.LBB19_63:
	s_or_b32 exec_lo, exec_lo, s2
	s_delay_alu instid0(SALU_CYCLE_1)
	s_mov_b32 s2, exec_lo
	v_cmpx_gt_u32_e64 s14, v44
	s_cbranch_execnz .LBB19_151
.LBB19_64:
	s_or_b32 exec_lo, exec_lo, s2
	s_delay_alu instid0(SALU_CYCLE_1)
	s_mov_b32 s2, exec_lo
	v_cmpx_gt_u32_e64 s14, v43
	s_cbranch_execnz .LBB19_152
.LBB19_65:
	s_or_b32 exec_lo, exec_lo, s2
	s_delay_alu instid0(SALU_CYCLE_1)
	s_mov_b32 s2, exec_lo
	v_cmpx_gt_u32_e64 s14, v42
	s_cbranch_execnz .LBB19_153
.LBB19_66:
	s_or_b32 exec_lo, exec_lo, s2
	s_delay_alu instid0(SALU_CYCLE_1)
	s_mov_b32 s2, exec_lo
	v_cmpx_gt_u32_e64 s14, v41
	s_cbranch_execnz .LBB19_154
.LBB19_67:
	s_or_b32 exec_lo, exec_lo, s2
	s_delay_alu instid0(SALU_CYCLE_1)
	s_mov_b32 s2, exec_lo
	v_cmpx_gt_u32_e64 s14, v40
	s_cbranch_execnz .LBB19_155
.LBB19_68:
	s_or_b32 exec_lo, exec_lo, s2
	s_delay_alu instid0(SALU_CYCLE_1)
	s_mov_b32 s2, exec_lo
	v_cmpx_gt_u32_e64 s14, v39
	s_cbranch_execnz .LBB19_156
.LBB19_69:
	s_or_b32 exec_lo, exec_lo, s2
	s_delay_alu instid0(SALU_CYCLE_1)
	s_mov_b32 s2, exec_lo
	v_cmpx_gt_u32_e64 s14, v38
	s_cbranch_execnz .LBB19_157
.LBB19_70:
	s_or_b32 exec_lo, exec_lo, s2
	s_delay_alu instid0(SALU_CYCLE_1)
	s_mov_b32 s2, exec_lo
	v_cmpx_gt_u32_e64 s14, v37
	s_cbranch_execnz .LBB19_158
.LBB19_71:
	s_or_b32 exec_lo, exec_lo, s2
	s_delay_alu instid0(SALU_CYCLE_1)
	s_mov_b32 s2, exec_lo
	v_cmpx_gt_u32_e64 s14, v36
	s_cbranch_execnz .LBB19_159
.LBB19_72:
	s_or_b32 exec_lo, exec_lo, s2
	s_delay_alu instid0(SALU_CYCLE_1)
	s_mov_b32 s2, exec_lo
	v_cmpx_gt_u32_e64 s14, v35
	s_cbranch_execnz .LBB19_160
.LBB19_73:
	s_or_b32 exec_lo, exec_lo, s2
	s_delay_alu instid0(SALU_CYCLE_1)
	s_mov_b32 s2, exec_lo
	v_cmpx_gt_u32_e64 s14, v34
	s_cbranch_execnz .LBB19_161
.LBB19_74:
	s_or_b32 exec_lo, exec_lo, s2
	s_delay_alu instid0(SALU_CYCLE_1)
	s_mov_b32 s2, exec_lo
	v_cmpx_gt_u32_e64 s14, v33
	s_cbranch_execz .LBB19_76
.LBB19_75:
	s_waitcnt lgkmcnt(0)
	v_cvt_f64_i32_e32 v[20:21], v19
	v_add_co_u32 v2, vcc_lo, 0x1000, v2
	v_add_co_ci_u32_e32 v3, vcc_lo, 0, v3, vcc_lo
	global_store_b64 v[2:3], v[20:21], off offset:3584
.LBB19_76:
	s_or_b32 exec_lo, exec_lo, s2
	s_load_b32 s0, s[0:1], 0x48
	s_waitcnt lgkmcnt(0)
	s_bfe_u32 s0, s0, 0x10008
	s_delay_alu instid0(SALU_CYCLE_1)
	s_cmp_eq_u32 s0, 0
	s_cbranch_scc1 .LBB19_131
; %bb.77:
	s_add_u32 s0, s14, -1
	s_addc_u32 s1, s33, -1
	s_delay_alu instid0(SALU_CYCLE_1)
	s_lshr_b64 s[2:3], s[0:1], 4
	s_mov_b32 s1, exec_lo
	v_cmpx_eq_u64_e64 s[2:3], v[0:1]
	s_cbranch_execz .LBB19_131
; %bb.78:
	s_and_b32 s0, s0, 15
	s_mov_b32 s1, 0
	s_delay_alu instid0(SALU_CYCLE_1) | instskip(NEXT) | instid1(VALU_DEP_1)
	v_cmp_lt_i64_e64 s2, s[0:1], 8
	s_and_b32 vcc_lo, exec_lo, s2
	s_mov_b32 s2, -1
	s_cbranch_vccnz .LBB19_105
; %bb.79:
	v_cmp_lt_i64_e64 s2, s[0:1], 12
	s_delay_alu instid0(VALU_DEP_1)
	s_and_b32 vcc_lo, exec_lo, s2
	s_mov_b32 s2, -1
	s_cbranch_vccnz .LBB19_92
; %bb.80:
	v_cmp_lt_i64_e64 s2, s[0:1], 14
	s_delay_alu instid0(VALU_DEP_1)
	s_and_b32 vcc_lo, exec_lo, s2
	s_mov_b32 s2, -1
	s_cbranch_vccnz .LBB19_86
; %bb.81:
	v_cmp_gt_i64_e64 s2, s[0:1], 14
	s_delay_alu instid0(VALU_DEP_1)
	s_and_b32 vcc_lo, exec_lo, s2
	s_mov_b32 s2, -1
	s_cbranch_vccz .LBB19_83
; %bb.82:
	v_mov_b32_e32 v0, 0
	s_mov_b32 s2, 0
	global_store_b32 v0, v19, s[10:11]
.LBB19_83:
	s_and_not1_b32 vcc_lo, exec_lo, s2
	s_cbranch_vccnz .LBB19_85
; %bb.84:
	v_mov_b32_e32 v0, 0
	global_store_b32 v0, v18, s[10:11]
.LBB19_85:
	s_mov_b32 s2, 0
.LBB19_86:
	s_delay_alu instid0(SALU_CYCLE_1)
	s_and_not1_b32 vcc_lo, exec_lo, s2
	s_cbranch_vccnz .LBB19_91
; %bb.87:
	v_cmp_gt_i64_e64 s2, s[0:1], 12
	s_delay_alu instid0(VALU_DEP_1)
	s_and_b32 vcc_lo, exec_lo, s2
	s_mov_b32 s2, -1
	s_cbranch_vccz .LBB19_89
; %bb.88:
	v_mov_b32_e32 v0, 0
	s_mov_b32 s2, 0
	global_store_b32 v0, v17, s[10:11]
.LBB19_89:
	s_and_not1_b32 vcc_lo, exec_lo, s2
	s_cbranch_vccnz .LBB19_91
; %bb.90:
	v_mov_b32_e32 v0, 0
	global_store_b32 v0, v16, s[10:11]
.LBB19_91:
	s_mov_b32 s2, 0
.LBB19_92:
	s_delay_alu instid0(SALU_CYCLE_1)
	s_and_not1_b32 vcc_lo, exec_lo, s2
	s_cbranch_vccnz .LBB19_104
; %bb.93:
	v_cmp_lt_i64_e64 s2, s[0:1], 10
	s_delay_alu instid0(VALU_DEP_1)
	s_and_b32 vcc_lo, exec_lo, s2
	s_mov_b32 s2, -1
	s_cbranch_vccnz .LBB19_99
; %bb.94:
	v_cmp_gt_i64_e64 s2, s[0:1], 10
	s_delay_alu instid0(VALU_DEP_1)
	s_and_b32 vcc_lo, exec_lo, s2
	s_mov_b32 s2, -1
	s_cbranch_vccz .LBB19_96
; %bb.95:
	v_mov_b32_e32 v0, 0
	s_mov_b32 s2, 0
	global_store_b32 v0, v15, s[10:11]
.LBB19_96:
	s_and_not1_b32 vcc_lo, exec_lo, s2
	s_cbranch_vccnz .LBB19_98
; %bb.97:
	v_mov_b32_e32 v0, 0
	global_store_b32 v0, v14, s[10:11]
.LBB19_98:
	s_mov_b32 s2, 0
.LBB19_99:
	s_delay_alu instid0(SALU_CYCLE_1)
	s_and_not1_b32 vcc_lo, exec_lo, s2
	s_cbranch_vccnz .LBB19_104
; %bb.100:
	v_cmp_gt_i64_e64 s2, s[0:1], 8
	s_delay_alu instid0(VALU_DEP_1)
	s_and_b32 vcc_lo, exec_lo, s2
	s_mov_b32 s2, -1
	s_cbranch_vccz .LBB19_102
; %bb.101:
	v_mov_b32_e32 v0, 0
	s_mov_b32 s2, 0
	global_store_b32 v0, v13, s[10:11]
.LBB19_102:
	s_and_not1_b32 vcc_lo, exec_lo, s2
	s_cbranch_vccnz .LBB19_104
; %bb.103:
	v_mov_b32_e32 v0, 0
	global_store_b32 v0, v12, s[10:11]
.LBB19_104:
	s_mov_b32 s2, 0
.LBB19_105:
	s_delay_alu instid0(SALU_CYCLE_1)
	s_and_not1_b32 vcc_lo, exec_lo, s2
	s_cbranch_vccnz .LBB19_131
; %bb.106:
	v_cmp_lt_i64_e64 s2, s[0:1], 4
	s_delay_alu instid0(VALU_DEP_1)
	s_and_b32 vcc_lo, exec_lo, s2
	s_mov_b32 s2, -1
	s_cbranch_vccnz .LBB19_119
; %bb.107:
	v_cmp_lt_i64_e64 s2, s[0:1], 6
	s_delay_alu instid0(VALU_DEP_1)
	s_and_b32 vcc_lo, exec_lo, s2
	s_mov_b32 s2, -1
	s_cbranch_vccnz .LBB19_113
; %bb.108:
	v_cmp_gt_i64_e64 s2, s[0:1], 6
	s_delay_alu instid0(VALU_DEP_1)
	s_and_b32 vcc_lo, exec_lo, s2
	s_mov_b32 s2, -1
	s_cbranch_vccz .LBB19_110
; %bb.109:
	v_mov_b32_e32 v0, 0
	s_mov_b32 s2, 0
	global_store_b32 v0, v11, s[10:11]
.LBB19_110:
	s_and_not1_b32 vcc_lo, exec_lo, s2
	s_cbranch_vccnz .LBB19_112
; %bb.111:
	v_mov_b32_e32 v0, 0
	global_store_b32 v0, v10, s[10:11]
.LBB19_112:
	s_mov_b32 s2, 0
.LBB19_113:
	s_delay_alu instid0(SALU_CYCLE_1)
	s_and_not1_b32 vcc_lo, exec_lo, s2
	s_cbranch_vccnz .LBB19_118
; %bb.114:
	v_cmp_gt_i64_e64 s2, s[0:1], 4
	s_delay_alu instid0(VALU_DEP_1)
	s_and_b32 vcc_lo, exec_lo, s2
	s_mov_b32 s2, -1
	s_cbranch_vccz .LBB19_116
; %bb.115:
	v_mov_b32_e32 v0, 0
	s_mov_b32 s2, 0
	global_store_b32 v0, v9, s[10:11]
.LBB19_116:
	s_and_not1_b32 vcc_lo, exec_lo, s2
	s_cbranch_vccnz .LBB19_118
; %bb.117:
	v_mov_b32_e32 v0, 0
	global_store_b32 v0, v8, s[10:11]
.LBB19_118:
	s_mov_b32 s2, 0
.LBB19_119:
	s_delay_alu instid0(SALU_CYCLE_1)
	s_and_not1_b32 vcc_lo, exec_lo, s2
	s_cbranch_vccnz .LBB19_131
; %bb.120:
	v_cmp_lt_i64_e64 s2, s[0:1], 2
	s_delay_alu instid0(VALU_DEP_1)
	s_and_b32 vcc_lo, exec_lo, s2
	s_mov_b32 s2, -1
	s_cbranch_vccnz .LBB19_126
; %bb.121:
	v_cmp_gt_i64_e64 s2, s[0:1], 2
	s_delay_alu instid0(VALU_DEP_1)
	s_and_b32 vcc_lo, exec_lo, s2
	s_mov_b32 s2, -1
	s_cbranch_vccz .LBB19_123
; %bb.122:
	v_mov_b32_e32 v0, 0
	s_mov_b32 s2, 0
	global_store_b32 v0, v7, s[10:11]
.LBB19_123:
	s_and_not1_b32 vcc_lo, exec_lo, s2
	s_cbranch_vccnz .LBB19_125
; %bb.124:
	v_mov_b32_e32 v0, 0
	global_store_b32 v0, v6, s[10:11]
.LBB19_125:
	s_mov_b32 s2, 0
.LBB19_126:
	s_delay_alu instid0(SALU_CYCLE_1)
	s_and_not1_b32 vcc_lo, exec_lo, s2
	s_cbranch_vccnz .LBB19_131
; %bb.127:
	s_cmp_eq_u64 s[0:1], 1
	s_mov_b32 s0, -1
	s_cbranch_scc1 .LBB19_129
; %bb.128:
	v_mov_b32_e32 v0, 0
	s_mov_b32 s0, 0
	global_store_b32 v0, v5, s[10:11]
.LBB19_129:
	s_and_not1_b32 vcc_lo, exec_lo, s0
	s_cbranch_vccnz .LBB19_131
; %bb.130:
	v_mov_b32_e32 v0, 0
	global_store_b32 v0, v4, s[10:11]
.LBB19_131:
	s_nop 0
	s_sendmsg sendmsg(MSG_DEALLOC_VGPRS)
	s_endpgm
.LBB19_132:
	global_load_b32 v21, v[17:18], off
	v_dual_mov_b32 v1, s16 :: v_dual_mov_b32 v2, s17
	v_dual_mov_b32 v3, s18 :: v_dual_mov_b32 v4, s19
	v_dual_mov_b32 v5, s20 :: v_dual_mov_b32 v6, s21
	v_dual_mov_b32 v7, s22 :: v_dual_mov_b32 v8, s23
	v_dual_mov_b32 v9, s24 :: v_dual_mov_b32 v10, s25
	v_dual_mov_b32 v11, s26 :: v_dual_mov_b32 v12, s27
	v_dual_mov_b32 v13, s28 :: v_dual_mov_b32 v14, s29
	v_dual_mov_b32 v15, s30 :: v_dual_mov_b32 v16, s31
                                        ; kill: def $vgpr1 killed $vgpr21 killed $exec
	s_or_b32 exec_lo, exec_lo, s3
	s_delay_alu instid0(SALU_CYCLE_1)
	s_mov_b32 s2, exec_lo
	v_cmpx_gt_u32_e64 s14, v47
	s_cbranch_execz .LBB19_5
.LBB19_133:
	global_load_b32 v2, v[17:18], off offset:256
	s_or_b32 exec_lo, exec_lo, s2
	s_delay_alu instid0(SALU_CYCLE_1)
	s_mov_b32 s2, exec_lo
	v_cmpx_gt_u32_e64 s14, v46
	s_cbranch_execz .LBB19_6
.LBB19_134:
	global_load_b32 v3, v[17:18], off offset:512
	s_or_b32 exec_lo, exec_lo, s2
	s_delay_alu instid0(SALU_CYCLE_1)
	s_mov_b32 s2, exec_lo
	v_cmpx_gt_u32_e64 s14, v45
	s_cbranch_execz .LBB19_7
.LBB19_135:
	global_load_b32 v4, v[17:18], off offset:768
	s_or_b32 exec_lo, exec_lo, s2
	s_delay_alu instid0(SALU_CYCLE_1)
	s_mov_b32 s2, exec_lo
	v_cmpx_gt_u32_e64 s14, v44
	s_cbranch_execz .LBB19_8
.LBB19_136:
	global_load_b32 v5, v[17:18], off offset:1024
	s_or_b32 exec_lo, exec_lo, s2
	s_delay_alu instid0(SALU_CYCLE_1)
	s_mov_b32 s2, exec_lo
	v_cmpx_gt_u32_e64 s14, v43
	s_cbranch_execz .LBB19_9
.LBB19_137:
	global_load_b32 v6, v[17:18], off offset:1280
	s_or_b32 exec_lo, exec_lo, s2
	s_delay_alu instid0(SALU_CYCLE_1)
	s_mov_b32 s2, exec_lo
	v_cmpx_gt_u32_e64 s14, v42
	s_cbranch_execz .LBB19_10
.LBB19_138:
	global_load_b32 v7, v[17:18], off offset:1536
	s_or_b32 exec_lo, exec_lo, s2
	s_delay_alu instid0(SALU_CYCLE_1)
	s_mov_b32 s2, exec_lo
	v_cmpx_gt_u32_e64 s14, v41
	s_cbranch_execz .LBB19_11
.LBB19_139:
	global_load_b32 v8, v[17:18], off offset:1792
	s_or_b32 exec_lo, exec_lo, s2
	s_delay_alu instid0(SALU_CYCLE_1)
	s_mov_b32 s2, exec_lo
	v_cmpx_gt_u32_e64 s14, v40
	s_cbranch_execz .LBB19_12
.LBB19_140:
	global_load_b32 v9, v[17:18], off offset:2048
	s_or_b32 exec_lo, exec_lo, s2
	s_delay_alu instid0(SALU_CYCLE_1)
	s_mov_b32 s2, exec_lo
	v_cmpx_gt_u32_e64 s14, v39
	s_cbranch_execz .LBB19_13
.LBB19_141:
	global_load_b32 v10, v[17:18], off offset:2304
	s_or_b32 exec_lo, exec_lo, s2
	s_delay_alu instid0(SALU_CYCLE_1)
	s_mov_b32 s2, exec_lo
	v_cmpx_gt_u32_e64 s14, v38
	s_cbranch_execz .LBB19_14
.LBB19_142:
	global_load_b32 v11, v[17:18], off offset:2560
	s_or_b32 exec_lo, exec_lo, s2
	s_delay_alu instid0(SALU_CYCLE_1)
	s_mov_b32 s2, exec_lo
	v_cmpx_gt_u32_e64 s14, v37
	s_cbranch_execz .LBB19_15
.LBB19_143:
	global_load_b32 v12, v[17:18], off offset:2816
	s_or_b32 exec_lo, exec_lo, s2
	s_delay_alu instid0(SALU_CYCLE_1)
	s_mov_b32 s2, exec_lo
	v_cmpx_gt_u32_e64 s14, v36
	s_cbranch_execz .LBB19_16
.LBB19_144:
	global_load_b32 v13, v[17:18], off offset:3072
	s_or_b32 exec_lo, exec_lo, s2
	s_delay_alu instid0(SALU_CYCLE_1)
	s_mov_b32 s2, exec_lo
	v_cmpx_gt_u32_e64 s14, v35
	s_cbranch_execz .LBB19_17
.LBB19_145:
	global_load_b32 v14, v[17:18], off offset:3328
	s_or_b32 exec_lo, exec_lo, s2
	s_delay_alu instid0(SALU_CYCLE_1)
	s_mov_b32 s2, exec_lo
	v_cmpx_gt_u32_e64 s14, v34
	s_cbranch_execz .LBB19_18
.LBB19_146:
	global_load_b32 v15, v[17:18], off offset:3584
	s_or_b32 exec_lo, exec_lo, s2
	s_delay_alu instid0(SALU_CYCLE_1)
	s_mov_b32 s2, exec_lo
	v_cmpx_gt_u32_e64 s14, v33
	s_cbranch_execnz .LBB19_19
	s_branch .LBB19_20
.LBB19_147:
	s_waitcnt lgkmcnt(15)
	v_cvt_f64_i32_e32 v[20:21], v5
	global_store_b64 v[2:3], v[20:21], off
	s_or_b32 exec_lo, exec_lo, s2
	s_delay_alu instid0(SALU_CYCLE_1)
	s_mov_b32 s2, exec_lo
	v_cmpx_gt_u32_e64 s14, v47
	s_cbranch_execz .LBB19_61
.LBB19_148:
	s_waitcnt lgkmcnt(14)
	v_cvt_f64_i32_e32 v[20:21], v4
	global_store_b64 v[2:3], v[20:21], off offset:512
	s_or_b32 exec_lo, exec_lo, s2
	s_delay_alu instid0(SALU_CYCLE_1)
	s_mov_b32 s2, exec_lo
	v_cmpx_gt_u32_e64 s14, v46
	s_cbranch_execz .LBB19_62
.LBB19_149:
	s_waitcnt lgkmcnt(13)
	v_cvt_f64_i32_e32 v[20:21], v6
	global_store_b64 v[2:3], v[20:21], off offset:1024
	s_or_b32 exec_lo, exec_lo, s2
	s_delay_alu instid0(SALU_CYCLE_1)
	s_mov_b32 s2, exec_lo
	v_cmpx_gt_u32_e64 s14, v45
	s_cbranch_execz .LBB19_63
.LBB19_150:
	s_waitcnt lgkmcnt(12)
	v_cvt_f64_i32_e32 v[20:21], v7
	global_store_b64 v[2:3], v[20:21], off offset:1536
	s_or_b32 exec_lo, exec_lo, s2
	s_delay_alu instid0(SALU_CYCLE_1)
	s_mov_b32 s2, exec_lo
	v_cmpx_gt_u32_e64 s14, v44
	s_cbranch_execz .LBB19_64
.LBB19_151:
	s_waitcnt lgkmcnt(11)
	v_cvt_f64_i32_e32 v[20:21], v8
	global_store_b64 v[2:3], v[20:21], off offset:2048
	s_or_b32 exec_lo, exec_lo, s2
	s_delay_alu instid0(SALU_CYCLE_1)
	s_mov_b32 s2, exec_lo
	v_cmpx_gt_u32_e64 s14, v43
	s_cbranch_execz .LBB19_65
.LBB19_152:
	s_waitcnt lgkmcnt(10)
	v_cvt_f64_i32_e32 v[20:21], v9
	global_store_b64 v[2:3], v[20:21], off offset:2560
	s_or_b32 exec_lo, exec_lo, s2
	s_delay_alu instid0(SALU_CYCLE_1)
	s_mov_b32 s2, exec_lo
	v_cmpx_gt_u32_e64 s14, v42
	s_cbranch_execz .LBB19_66
.LBB19_153:
	s_waitcnt lgkmcnt(9)
	v_cvt_f64_i32_e32 v[20:21], v10
	global_store_b64 v[2:3], v[20:21], off offset:3072
	s_or_b32 exec_lo, exec_lo, s2
	s_delay_alu instid0(SALU_CYCLE_1)
	s_mov_b32 s2, exec_lo
	v_cmpx_gt_u32_e64 s14, v41
	s_cbranch_execz .LBB19_67
.LBB19_154:
	s_waitcnt lgkmcnt(8)
	v_cvt_f64_i32_e32 v[20:21], v11
	global_store_b64 v[2:3], v[20:21], off offset:3584
	s_or_b32 exec_lo, exec_lo, s2
	s_delay_alu instid0(SALU_CYCLE_1)
	s_mov_b32 s2, exec_lo
	v_cmpx_gt_u32_e64 s14, v40
	s_cbranch_execz .LBB19_68
.LBB19_155:
	s_waitcnt lgkmcnt(7)
	v_cvt_f64_i32_e32 v[20:21], v12
	v_add_co_u32 v22, vcc_lo, 0x1000, v2
	v_add_co_ci_u32_e32 v23, vcc_lo, 0, v3, vcc_lo
	global_store_b64 v[22:23], v[20:21], off
	s_or_b32 exec_lo, exec_lo, s2
	s_delay_alu instid0(SALU_CYCLE_1)
	s_mov_b32 s2, exec_lo
	v_cmpx_gt_u32_e64 s14, v39
	s_cbranch_execz .LBB19_69
.LBB19_156:
	s_waitcnt lgkmcnt(6)
	v_cvt_f64_i32_e32 v[20:21], v13
	v_add_co_u32 v22, vcc_lo, 0x1000, v2
	v_add_co_ci_u32_e32 v23, vcc_lo, 0, v3, vcc_lo
	global_store_b64 v[22:23], v[20:21], off offset:512
	s_or_b32 exec_lo, exec_lo, s2
	s_delay_alu instid0(SALU_CYCLE_1)
	s_mov_b32 s2, exec_lo
	v_cmpx_gt_u32_e64 s14, v38
	s_cbranch_execz .LBB19_70
.LBB19_157:
	s_waitcnt lgkmcnt(5)
	v_cvt_f64_i32_e32 v[20:21], v14
	v_add_co_u32 v22, vcc_lo, 0x1000, v2
	v_add_co_ci_u32_e32 v23, vcc_lo, 0, v3, vcc_lo
	global_store_b64 v[22:23], v[20:21], off offset:1024
	s_or_b32 exec_lo, exec_lo, s2
	s_delay_alu instid0(SALU_CYCLE_1)
	s_mov_b32 s2, exec_lo
	v_cmpx_gt_u32_e64 s14, v37
	s_cbranch_execz .LBB19_71
.LBB19_158:
	s_waitcnt lgkmcnt(4)
	v_cvt_f64_i32_e32 v[20:21], v15
	v_add_co_u32 v22, vcc_lo, 0x1000, v2
	v_add_co_ci_u32_e32 v23, vcc_lo, 0, v3, vcc_lo
	global_store_b64 v[22:23], v[20:21], off offset:1536
	s_or_b32 exec_lo, exec_lo, s2
	s_delay_alu instid0(SALU_CYCLE_1)
	s_mov_b32 s2, exec_lo
	v_cmpx_gt_u32_e64 s14, v36
	s_cbranch_execz .LBB19_72
.LBB19_159:
	s_waitcnt lgkmcnt(3)
	v_cvt_f64_i32_e32 v[20:21], v16
	v_add_co_u32 v22, vcc_lo, 0x1000, v2
	v_add_co_ci_u32_e32 v23, vcc_lo, 0, v3, vcc_lo
	global_store_b64 v[22:23], v[20:21], off offset:2048
	s_or_b32 exec_lo, exec_lo, s2
	s_delay_alu instid0(SALU_CYCLE_1)
	s_mov_b32 s2, exec_lo
	v_cmpx_gt_u32_e64 s14, v35
	s_cbranch_execz .LBB19_73
.LBB19_160:
	s_waitcnt lgkmcnt(2)
	v_cvt_f64_i32_e32 v[20:21], v17
	v_add_co_u32 v22, vcc_lo, 0x1000, v2
	v_add_co_ci_u32_e32 v23, vcc_lo, 0, v3, vcc_lo
	global_store_b64 v[22:23], v[20:21], off offset:2560
	s_or_b32 exec_lo, exec_lo, s2
	s_delay_alu instid0(SALU_CYCLE_1)
	s_mov_b32 s2, exec_lo
	v_cmpx_gt_u32_e64 s14, v34
	s_cbranch_execz .LBB19_74
.LBB19_161:
	s_waitcnt lgkmcnt(1)
	v_cvt_f64_i32_e32 v[20:21], v18
	v_add_co_u32 v22, vcc_lo, 0x1000, v2
	v_add_co_ci_u32_e32 v23, vcc_lo, 0, v3, vcc_lo
	global_store_b64 v[22:23], v[20:21], off offset:3072
	s_or_b32 exec_lo, exec_lo, s2
	s_delay_alu instid0(SALU_CYCLE_1)
	s_mov_b32 s2, exec_lo
	v_cmpx_gt_u32_e64 s14, v33
	s_cbranch_execnz .LBB19_75
	s_branch .LBB19_76
	.section	.rodata,"a",@progbits
	.p2align	6, 0x0
	.amdhsa_kernel _ZN7rocprim6detail20lookback_scan_kernelILNS0_25lookback_scan_determinismE0ELb0ENS0_19wrapped_scan_configINS_14default_configEiEEN6hipcub22TransformInputIteratorIiNS6_6CastOpIiEEPilEEPdNS6_3SumEiiNS0_19lookback_scan_stateIiLb0ELb1EEEEEvT2_T3_mT5_T4_T7_jPT6_SM_bb
		.amdhsa_group_segment_fixed_size 4224
		.amdhsa_private_segment_fixed_size 0
		.amdhsa_kernarg_size 76
		.amdhsa_user_sgpr_count 15
		.amdhsa_user_sgpr_dispatch_ptr 0
		.amdhsa_user_sgpr_queue_ptr 0
		.amdhsa_user_sgpr_kernarg_segment_ptr 1
		.amdhsa_user_sgpr_dispatch_id 0
		.amdhsa_user_sgpr_private_segment_size 0
		.amdhsa_wavefront_size32 1
		.amdhsa_uses_dynamic_stack 0
		.amdhsa_enable_private_segment 0
		.amdhsa_system_sgpr_workgroup_id_x 1
		.amdhsa_system_sgpr_workgroup_id_y 0
		.amdhsa_system_sgpr_workgroup_id_z 0
		.amdhsa_system_sgpr_workgroup_info 0
		.amdhsa_system_vgpr_workitem_id 0
		.amdhsa_next_free_vgpr 70
		.amdhsa_next_free_sgpr 35
		.amdhsa_reserve_vcc 1
		.amdhsa_float_round_mode_32 0
		.amdhsa_float_round_mode_16_64 0
		.amdhsa_float_denorm_mode_32 3
		.amdhsa_float_denorm_mode_16_64 3
		.amdhsa_dx10_clamp 1
		.amdhsa_ieee_mode 1
		.amdhsa_fp16_overflow 0
		.amdhsa_workgroup_processor_mode 1
		.amdhsa_memory_ordered 1
		.amdhsa_forward_progress 0
		.amdhsa_shared_vgpr_count 0
		.amdhsa_exception_fp_ieee_invalid_op 0
		.amdhsa_exception_fp_denorm_src 0
		.amdhsa_exception_fp_ieee_div_zero 0
		.amdhsa_exception_fp_ieee_overflow 0
		.amdhsa_exception_fp_ieee_underflow 0
		.amdhsa_exception_fp_ieee_inexact 0
		.amdhsa_exception_int_div_zero 0
	.end_amdhsa_kernel
	.section	.text._ZN7rocprim6detail20lookback_scan_kernelILNS0_25lookback_scan_determinismE0ELb0ENS0_19wrapped_scan_configINS_14default_configEiEEN6hipcub22TransformInputIteratorIiNS6_6CastOpIiEEPilEEPdNS6_3SumEiiNS0_19lookback_scan_stateIiLb0ELb1EEEEEvT2_T3_mT5_T4_T7_jPT6_SM_bb,"axG",@progbits,_ZN7rocprim6detail20lookback_scan_kernelILNS0_25lookback_scan_determinismE0ELb0ENS0_19wrapped_scan_configINS_14default_configEiEEN6hipcub22TransformInputIteratorIiNS6_6CastOpIiEEPilEEPdNS6_3SumEiiNS0_19lookback_scan_stateIiLb0ELb1EEEEEvT2_T3_mT5_T4_T7_jPT6_SM_bb,comdat
.Lfunc_end19:
	.size	_ZN7rocprim6detail20lookback_scan_kernelILNS0_25lookback_scan_determinismE0ELb0ENS0_19wrapped_scan_configINS_14default_configEiEEN6hipcub22TransformInputIteratorIiNS6_6CastOpIiEEPilEEPdNS6_3SumEiiNS0_19lookback_scan_stateIiLb0ELb1EEEEEvT2_T3_mT5_T4_T7_jPT6_SM_bb, .Lfunc_end19-_ZN7rocprim6detail20lookback_scan_kernelILNS0_25lookback_scan_determinismE0ELb0ENS0_19wrapped_scan_configINS_14default_configEiEEN6hipcub22TransformInputIteratorIiNS6_6CastOpIiEEPilEEPdNS6_3SumEiiNS0_19lookback_scan_stateIiLb0ELb1EEEEEvT2_T3_mT5_T4_T7_jPT6_SM_bb
                                        ; -- End function
	.section	.AMDGPU.csdata,"",@progbits
; Kernel info:
; codeLenInByte = 7800
; NumSgprs: 37
; NumVgprs: 70
; ScratchSize: 0
; MemoryBound: 0
; FloatMode: 240
; IeeeMode: 1
; LDSByteSize: 4224 bytes/workgroup (compile time only)
; SGPRBlocks: 4
; VGPRBlocks: 8
; NumSGPRsForWavesPerEU: 37
; NumVGPRsForWavesPerEU: 70
; Occupancy: 16
; WaveLimiterHint : 1
; COMPUTE_PGM_RSRC2:SCRATCH_EN: 0
; COMPUTE_PGM_RSRC2:USER_SGPR: 15
; COMPUTE_PGM_RSRC2:TRAP_HANDLER: 0
; COMPUTE_PGM_RSRC2:TGID_X_EN: 1
; COMPUTE_PGM_RSRC2:TGID_Y_EN: 0
; COMPUTE_PGM_RSRC2:TGID_Z_EN: 0
; COMPUTE_PGM_RSRC2:TIDIG_COMP_CNT: 0
	.section	.text._ZN7rocprim6detail18single_scan_kernelILb0ENS0_19wrapped_scan_configINS_14default_configEiEEN6hipcub22TransformInputIteratorIiNS5_6CastOpIiEEPilEEPdNS5_3SumEiiEEvT1_mT4_T2_T3_,"axG",@progbits,_ZN7rocprim6detail18single_scan_kernelILb0ENS0_19wrapped_scan_configINS_14default_configEiEEN6hipcub22TransformInputIteratorIiNS5_6CastOpIiEEPilEEPdNS5_3SumEiiEEvT1_mT4_T2_T3_,comdat
	.protected	_ZN7rocprim6detail18single_scan_kernelILb0ENS0_19wrapped_scan_configINS_14default_configEiEEN6hipcub22TransformInputIteratorIiNS5_6CastOpIiEEPilEEPdNS5_3SumEiiEEvT1_mT4_T2_T3_ ; -- Begin function _ZN7rocprim6detail18single_scan_kernelILb0ENS0_19wrapped_scan_configINS_14default_configEiEEN6hipcub22TransformInputIteratorIiNS5_6CastOpIiEEPilEEPdNS5_3SumEiiEEvT1_mT4_T2_T3_
	.globl	_ZN7rocprim6detail18single_scan_kernelILb0ENS0_19wrapped_scan_configINS_14default_configEiEEN6hipcub22TransformInputIteratorIiNS5_6CastOpIiEEPilEEPdNS5_3SumEiiEEvT1_mT4_T2_T3_
	.p2align	8
	.type	_ZN7rocprim6detail18single_scan_kernelILb0ENS0_19wrapped_scan_configINS_14default_configEiEEN6hipcub22TransformInputIteratorIiNS5_6CastOpIiEEPilEEPdNS5_3SumEiiEEvT1_mT4_T2_T3_,@function
_ZN7rocprim6detail18single_scan_kernelILb0ENS0_19wrapped_scan_configINS_14default_configEiEEN6hipcub22TransformInputIteratorIiNS5_6CastOpIiEEPilEEPdNS5_3SumEiiEEvT1_mT4_T2_T3_: ; @_ZN7rocprim6detail18single_scan_kernelILb0ENS0_19wrapped_scan_configINS_14default_configEiEEN6hipcub22TransformInputIteratorIiNS5_6CastOpIiEEPilEEPdNS5_3SumEiiEEvT1_mT4_T2_T3_
; %bb.0:
	s_clause 0x1
	s_load_b64 s[2:3], s[0:1], 0x0
	s_load_b32 s20, s[0:1], 0x10
	s_waitcnt lgkmcnt(0)
	s_load_b32 s4, s[2:3], 0x0
	v_cmp_gt_u32_e32 vcc_lo, s20, v0
	s_waitcnt lgkmcnt(0)
	s_mov_b32 s5, s4
	s_mov_b32 s6, s4
	;; [unrolled: 1-line block ×15, first 2 shown]
	v_lshlrev_b32_e32 v19, 2, v0
	v_dual_mov_b32 v1, s4 :: v_dual_mov_b32 v4, s7
	v_dual_mov_b32 v2, s5 :: v_dual_mov_b32 v3, s6
	v_mov_b32_e32 v6, s9
	s_delay_alu instid0(VALU_DEP_4) | instskip(NEXT) | instid1(VALU_DEP_1)
	v_add_co_u32 v17, s2, s2, v19
	v_add_co_ci_u32_e64 v18, null, s3, 0, s2
	v_dual_mov_b32 v5, s8 :: v_dual_mov_b32 v8, s11
	v_dual_mov_b32 v7, s10 :: v_dual_mov_b32 v10, s13
	;; [unrolled: 1-line block ×6, first 2 shown]
	s_and_saveexec_b32 s2, vcc_lo
	s_cbranch_execz .LBB20_2
; %bb.1:
	global_load_b32 v20, v[17:18], off
	v_dual_mov_b32 v1, s4 :: v_dual_mov_b32 v2, s5
	v_dual_mov_b32 v3, s6 :: v_dual_mov_b32 v4, s7
	;; [unrolled: 1-line block ×8, first 2 shown]
                                        ; kill: def $vgpr1 killed $vgpr20 killed $exec
.LBB20_2:
	s_or_b32 exec_lo, exec_lo, s2
	v_or_b32_e32 v1, 64, v0
	s_delay_alu instid0(VALU_DEP_1) | instskip(NEXT) | instid1(VALU_DEP_1)
	v_cmp_gt_u32_e64 s2, s20, v1
	s_and_saveexec_b32 s3, s2
	s_cbranch_execz .LBB20_4
; %bb.3:
	global_load_b32 v2, v[17:18], off offset:256
.LBB20_4:
	s_or_b32 exec_lo, exec_lo, s3
	v_or_b32_e32 v21, 0x80, v0
	s_delay_alu instid0(VALU_DEP_1) | instskip(NEXT) | instid1(VALU_DEP_1)
	v_cmp_gt_u32_e64 s3, s20, v21
	s_and_saveexec_b32 s4, s3
	s_cbranch_execz .LBB20_6
; %bb.5:
	global_load_b32 v3, v[17:18], off offset:512
.LBB20_6:
	;; [unrolled: 9-line block ×15, first 2 shown]
	s_or_b32 exec_lo, exec_lo, s17
	v_lshrrev_b32_e32 v17, 3, v0
	v_lshrrev_b32_e32 v1, 3, v1
	;; [unrolled: 1-line block ×5, first 2 shown]
	v_and_b32_e32 v17, 4, v17
	v_and_b32_e32 v1, 12, v1
	v_lshrrev_b32_e32 v23, 3, v24
	v_and_b32_e32 v24, 28, v18
	v_and_b32_e32 v22, 60, v22
	v_add_nc_u32_e32 v17, v17, v19
	v_add_nc_u32_e32 v18, v1, v19
	v_and_b32_e32 v1, 28, v21
	v_add_nc_u32_e32 v21, v24, v19
	v_add_nc_u32_e32 v22, v22, v19
	s_waitcnt vmcnt(0)
	ds_store_b32 v17, v20
	ds_store_b32 v18, v2 offset:256
	v_and_b32_e32 v2, 60, v23
	v_add_nc_u32_e32 v20, v1, v19
	v_lshrrev_b32_e32 v1, 3, v25
	ds_store_b32 v21, v3 offset:512
	v_lshrrev_b32_e32 v3, 3, v27
	v_add_nc_u32_e32 v23, v2, v19
	v_lshrrev_b32_e32 v2, 3, v26
	v_and_b32_e32 v1, 60, v1
	ds_store_b32 v20, v4 offset:768
	ds_store_b32 v22, v5 offset:1024
	v_lshrrev_b32_e32 v4, 3, v28
	v_and_b32_e32 v3, 0x7c, v3
	ds_store_b32 v23, v6 offset:1280
	v_add_nc_u32_e32 v24, v1, v19
	v_and_b32_e32 v1, 60, v2
	v_lshrrev_b32_e32 v2, 3, v29
	v_and_b32_e32 v4, 0x7c, v4
	v_add_nc_u32_e32 v26, v3, v19
	v_lshrrev_b32_e32 v3, 3, v32
	v_add_nc_u32_e32 v25, v1, v19
	v_and_b32_e32 v1, 0x7c, v2
	v_lshrrev_b32_e32 v2, 3, v30
	v_add_nc_u32_e32 v27, v4, v19
	v_lshrrev_b32_e32 v4, 3, v33
	v_and_b32_e32 v3, 0x7c, v3
	v_add_nc_u32_e32 v28, v1, v19
	v_and_b32_e32 v1, 0x7c, v2
	v_lshrrev_b32_e32 v2, 3, v31
	v_and_b32_e32 v4, 0x7c, v4
	v_add_nc_u32_e32 v31, v3, v19
	v_lshrrev_b32_e32 v3, 1, v0
	v_add_nc_u32_e32 v29, v1, v19
	v_and_b32_e32 v1, 0x7c, v2
	v_lshrrev_b32_e32 v2, 3, v34
	v_add_nc_u32_e32 v32, v4, v19
	ds_store_b32 v24, v7 offset:1536
	ds_store_b32 v25, v8 offset:1792
	v_add_nc_u32_e32 v30, v1, v19
	v_and_b32_e32 v1, 0x7c, v2
	v_lshlrev_b32_e32 v2, 4, v0
	ds_store_b32 v26, v9 offset:2048
	ds_store_b32 v27, v10 offset:2304
	ds_store_b32 v28, v11 offset:2560
	ds_store_b32 v29, v12 offset:2816
	v_add_nc_u32_e32 v19, v1, v19
	v_add_lshl_u32 v33, v3, v2, 2
	ds_store_b32 v30, v13 offset:3072
	ds_store_b32 v31, v14 offset:3328
	;; [unrolled: 1-line block ×3, first 2 shown]
	s_mov_b32 s18, exec_lo
	ds_store_b32 v19, v16 offset:3840
	s_waitcnt lgkmcnt(0)
	s_barrier
	buffer_gl0_inv
	ds_load_2addr_b32 v[9:10], v33 offset1:1
	ds_load_2addr_b32 v[7:8], v33 offset0:2 offset1:3
	ds_load_2addr_b32 v[3:4], v33 offset0:4 offset1:5
	;; [unrolled: 1-line block ×5, first 2 shown]
	s_waitcnt lgkmcnt(5)
	v_add_nc_u32_e32 v5, v10, v9
	s_waitcnt lgkmcnt(4)
	s_delay_alu instid0(VALU_DEP_1) | instskip(SKIP_1) | instid1(VALU_DEP_1)
	v_add3_u32 v5, v5, v7, v8
	s_waitcnt lgkmcnt(3)
	v_add3_u32 v34, v5, v3, v4
	ds_load_2addr_b32 v[15:16], v33 offset0:12 offset1:13
	ds_load_2addr_b32 v[5:6], v33 offset0:14 offset1:15
	s_waitcnt lgkmcnt(0)
	s_barrier
	buffer_gl0_inv
	v_add3_u32 v34, v34, v1, v2
	s_delay_alu instid0(VALU_DEP_1) | instskip(NEXT) | instid1(VALU_DEP_1)
	v_add3_u32 v34, v34, v11, v12
	v_add3_u32 v34, v34, v13, v14
	s_delay_alu instid0(VALU_DEP_1) | instskip(NEXT) | instid1(VALU_DEP_1)
	v_add3_u32 v34, v34, v15, v16
	v_add3_u32 v34, v34, v5, v6
	ds_store_b32 v17, v34
	s_waitcnt lgkmcnt(0)
	s_barrier
	buffer_gl0_inv
	v_cmpx_gt_u32_e32 32, v0
	s_cbranch_execz .LBB20_34
; %bb.33:
	v_lshrrev_b32_e32 v35, 2, v0
	v_mbcnt_lo_u32_b32 v38, -1, 0
	s_delay_alu instid0(VALU_DEP_2) | instskip(NEXT) | instid1(VALU_DEP_2)
	v_and_b32_e32 v35, 12, v35
	v_and_b32_e32 v40, 15, v38
	v_add_nc_u32_e32 v42, -1, v38
	s_delay_alu instid0(VALU_DEP_3) | instskip(NEXT) | instid1(VALU_DEP_3)
	v_lshl_or_b32 v37, v0, 3, v35
	v_cmp_ne_u32_e64 s17, 0, v40
	ds_load_2addr_b32 v[35:36], v37 offset1:1
	s_waitcnt lgkmcnt(0)
	v_add_nc_u32_e32 v39, v36, v35
	s_delay_alu instid0(VALU_DEP_1) | instskip(NEXT) | instid1(VALU_DEP_1)
	v_mov_b32_dpp v41, v39 row_shr:1 row_mask:0xf bank_mask:0xf
	v_cndmask_b32_e64 v41, 0, v41, s17
	v_cmp_lt_u32_e64 s17, 1, v40
	s_delay_alu instid0(VALU_DEP_2) | instskip(NEXT) | instid1(VALU_DEP_1)
	v_add_nc_u32_e32 v39, v41, v39
	v_mov_b32_dpp v41, v39 row_shr:2 row_mask:0xf bank_mask:0xf
	s_delay_alu instid0(VALU_DEP_1) | instskip(SKIP_1) | instid1(VALU_DEP_2)
	v_cndmask_b32_e64 v41, 0, v41, s17
	v_cmp_lt_u32_e64 s17, 3, v40
	v_add_nc_u32_e32 v39, v39, v41
	s_delay_alu instid0(VALU_DEP_1) | instskip(NEXT) | instid1(VALU_DEP_1)
	v_mov_b32_dpp v41, v39 row_shr:4 row_mask:0xf bank_mask:0xf
	v_cndmask_b32_e64 v41, 0, v41, s17
	v_cmp_lt_u32_e64 s17, 7, v40
	s_delay_alu instid0(VALU_DEP_2) | instskip(NEXT) | instid1(VALU_DEP_1)
	v_add_nc_u32_e32 v39, v39, v41
	v_mov_b32_dpp v41, v39 row_shr:8 row_mask:0xf bank_mask:0xf
	s_delay_alu instid0(VALU_DEP_1) | instskip(SKIP_2) | instid1(VALU_DEP_3)
	v_cndmask_b32_e64 v40, 0, v41, s17
	v_bfe_i32 v41, v38, 4, 1
	v_cmp_gt_i32_e64 s17, 0, v42
	v_add_nc_u32_e32 v39, v39, v40
	s_delay_alu instid0(VALU_DEP_2)
	v_cndmask_b32_e64 v38, v42, v38, s17
	v_cmp_eq_u32_e64 s17, 0, v0
	ds_swizzle_b32 v40, v39 offset:swizzle(BROADCAST,32,15)
	v_lshlrev_b32_e32 v38, 2, v38
	s_waitcnt lgkmcnt(0)
	v_and_b32_e32 v40, v41, v40
	s_delay_alu instid0(VALU_DEP_1) | instskip(SKIP_3) | instid1(VALU_DEP_1)
	v_add_nc_u32_e32 v39, v39, v40
	ds_bpermute_b32 v38, v38, v39
	s_waitcnt lgkmcnt(0)
	v_add_nc_u32_e32 v35, v38, v35
	v_cndmask_b32_e64 v34, v35, v34, s17
	s_delay_alu instid0(VALU_DEP_1)
	v_add_nc_u32_e32 v35, v34, v36
	ds_store_2addr_b32 v37, v34, v35 offset1:1
.LBB20_34:
	s_or_b32 exec_lo, exec_lo, s18
	v_mov_b32_e32 v34, 0
	s_mov_b32 s18, exec_lo
	s_waitcnt lgkmcnt(0)
	s_barrier
	buffer_gl0_inv
	v_cmpx_ne_u32_e32 0, v0
	s_cbranch_execz .LBB20_36
; %bb.35:
	v_add_nc_u32_e32 v34, -1, v0
	s_delay_alu instid0(VALU_DEP_1) | instskip(NEXT) | instid1(VALU_DEP_1)
	v_lshrrev_b32_e32 v35, 5, v34
	v_add_lshl_u32 v34, v35, v34, 2
	ds_load_b32 v34, v34
.LBB20_36:
	s_or_b32 exec_lo, exec_lo, s18
	s_waitcnt lgkmcnt(0)
	v_add_nc_u32_e32 v9, v34, v9
	s_barrier
	buffer_gl0_inv
	s_load_b64 s[0:1], s[0:1], 0x20
	v_add_nc_u32_e32 v10, v9, v10
	v_lshlrev_b32_e32 v0, 3, v0
	s_delay_alu instid0(VALU_DEP_2) | instskip(NEXT) | instid1(VALU_DEP_1)
	v_add_nc_u32_e32 v7, v10, v7
	v_add_nc_u32_e32 v8, v7, v8
	s_delay_alu instid0(VALU_DEP_1) | instskip(SKIP_2) | instid1(VALU_DEP_2)
	v_add_nc_u32_e32 v3, v8, v3
	s_waitcnt lgkmcnt(0)
	v_add_co_u32 v0, s0, s0, v0
	v_add_nc_u32_e32 v4, v3, v4
	s_delay_alu instid0(VALU_DEP_1) | instskip(NEXT) | instid1(VALU_DEP_1)
	v_add_nc_u32_e32 v1, v4, v1
	v_add_nc_u32_e32 v2, v1, v2
	s_delay_alu instid0(VALU_DEP_1) | instskip(NEXT) | instid1(VALU_DEP_1)
	v_add_nc_u32_e32 v11, v2, v11
	;; [unrolled: 3-line block ×5, first 2 shown]
	v_add_nc_u32_e32 v6, v5, v6
	ds_store_2addr_b32 v33, v9, v10 offset1:1
	ds_store_2addr_b32 v33, v7, v8 offset0:2 offset1:3
	ds_store_2addr_b32 v33, v3, v4 offset0:4 offset1:5
	ds_store_2addr_b32 v33, v1, v2 offset0:6 offset1:7
	ds_store_2addr_b32 v33, v11, v12 offset0:8 offset1:9
	ds_store_2addr_b32 v33, v13, v14 offset0:10 offset1:11
	ds_store_2addr_b32 v33, v15, v16 offset0:12 offset1:13
	ds_store_2addr_b32 v33, v5, v6 offset0:14 offset1:15
	s_waitcnt lgkmcnt(0)
	s_barrier
	buffer_gl0_inv
	ds_load_b32 v16, v18 offset:256
	ds_load_b32 v15, v21 offset:512
	;; [unrolled: 1-line block ×15, first 2 shown]
	v_add_co_ci_u32_e64 v1, null, s1, 0, s0
	s_and_saveexec_b32 s0, vcc_lo
	s_cbranch_execnz .LBB20_53
; %bb.37:
	s_or_b32 exec_lo, exec_lo, s0
	s_and_saveexec_b32 s0, s2
	s_cbranch_execnz .LBB20_54
.LBB20_38:
	s_or_b32 exec_lo, exec_lo, s0
	s_and_saveexec_b32 s0, s3
	s_cbranch_execnz .LBB20_55
.LBB20_39:
	s_or_b32 exec_lo, exec_lo, s0
	s_and_saveexec_b32 s0, s4
	s_cbranch_execnz .LBB20_56
.LBB20_40:
	s_or_b32 exec_lo, exec_lo, s0
	s_and_saveexec_b32 s0, s5
	s_cbranch_execnz .LBB20_57
.LBB20_41:
	s_or_b32 exec_lo, exec_lo, s0
	s_and_saveexec_b32 s0, s6
	s_cbranch_execnz .LBB20_58
.LBB20_42:
	s_or_b32 exec_lo, exec_lo, s0
	s_and_saveexec_b32 s0, s7
	s_cbranch_execnz .LBB20_59
.LBB20_43:
	s_or_b32 exec_lo, exec_lo, s0
	s_and_saveexec_b32 s0, s8
	s_cbranch_execnz .LBB20_60
.LBB20_44:
	s_or_b32 exec_lo, exec_lo, s0
	s_and_saveexec_b32 s0, s9
	s_cbranch_execnz .LBB20_61
.LBB20_45:
	s_or_b32 exec_lo, exec_lo, s0
	s_and_saveexec_b32 s0, s10
	s_cbranch_execnz .LBB20_62
.LBB20_46:
	s_or_b32 exec_lo, exec_lo, s0
	s_and_saveexec_b32 s0, s11
	s_cbranch_execnz .LBB20_63
.LBB20_47:
	s_or_b32 exec_lo, exec_lo, s0
	s_and_saveexec_b32 s0, s12
	s_cbranch_execnz .LBB20_64
.LBB20_48:
	s_or_b32 exec_lo, exec_lo, s0
	s_and_saveexec_b32 s0, s13
	s_cbranch_execnz .LBB20_65
.LBB20_49:
	s_or_b32 exec_lo, exec_lo, s0
	s_and_saveexec_b32 s0, s14
	s_cbranch_execnz .LBB20_66
.LBB20_50:
	s_or_b32 exec_lo, exec_lo, s0
	s_and_saveexec_b32 s0, s15
	s_cbranch_execnz .LBB20_67
.LBB20_51:
	s_or_b32 exec_lo, exec_lo, s0
	s_and_saveexec_b32 s0, s16
	s_cbranch_execnz .LBB20_68
.LBB20_52:
	s_nop 0
	s_sendmsg sendmsg(MSG_DEALLOC_VGPRS)
	s_endpgm
.LBB20_53:
	ds_load_b32 v17, v17
	s_waitcnt lgkmcnt(0)
	v_cvt_f64_i32_e32 v[17:18], v17
	global_store_b64 v[0:1], v[17:18], off
	s_or_b32 exec_lo, exec_lo, s0
	s_and_saveexec_b32 s0, s2
	s_cbranch_execz .LBB20_38
.LBB20_54:
	s_waitcnt lgkmcnt(14)
	v_cvt_f64_i32_e32 v[16:17], v16
	global_store_b64 v[0:1], v[16:17], off offset:512
	s_or_b32 exec_lo, exec_lo, s0
	s_and_saveexec_b32 s0, s3
	s_cbranch_execz .LBB20_39
.LBB20_55:
	s_waitcnt lgkmcnt(13)
	v_cvt_f64_i32_e32 v[15:16], v15
	global_store_b64 v[0:1], v[15:16], off offset:1024
	s_or_b32 exec_lo, exec_lo, s0
	s_and_saveexec_b32 s0, s4
	s_cbranch_execz .LBB20_40
.LBB20_56:
	s_waitcnt lgkmcnt(12)
	v_cvt_f64_i32_e32 v[14:15], v14
	global_store_b64 v[0:1], v[14:15], off offset:1536
	s_or_b32 exec_lo, exec_lo, s0
	s_and_saveexec_b32 s0, s5
	s_cbranch_execz .LBB20_41
.LBB20_57:
	s_waitcnt lgkmcnt(11)
	v_cvt_f64_i32_e32 v[13:14], v13
	global_store_b64 v[0:1], v[13:14], off offset:2048
	s_or_b32 exec_lo, exec_lo, s0
	s_and_saveexec_b32 s0, s6
	s_cbranch_execz .LBB20_42
.LBB20_58:
	s_waitcnt lgkmcnt(10)
	v_cvt_f64_i32_e32 v[12:13], v12
	global_store_b64 v[0:1], v[12:13], off offset:2560
	s_or_b32 exec_lo, exec_lo, s0
	s_and_saveexec_b32 s0, s7
	s_cbranch_execz .LBB20_43
.LBB20_59:
	s_waitcnt lgkmcnt(9)
	v_cvt_f64_i32_e32 v[11:12], v11
	global_store_b64 v[0:1], v[11:12], off offset:3072
	s_or_b32 exec_lo, exec_lo, s0
	s_and_saveexec_b32 s0, s8
	s_cbranch_execz .LBB20_44
.LBB20_60:
	s_waitcnt lgkmcnt(8)
	v_cvt_f64_i32_e32 v[10:11], v10
	global_store_b64 v[0:1], v[10:11], off offset:3584
	s_or_b32 exec_lo, exec_lo, s0
	s_and_saveexec_b32 s0, s9
	s_cbranch_execz .LBB20_45
.LBB20_61:
	s_waitcnt lgkmcnt(7)
	v_cvt_f64_i32_e32 v[9:10], v9
	v_add_co_u32 v11, vcc_lo, 0x1000, v0
	v_add_co_ci_u32_e32 v12, vcc_lo, 0, v1, vcc_lo
	global_store_b64 v[11:12], v[9:10], off
	s_or_b32 exec_lo, exec_lo, s0
	s_and_saveexec_b32 s0, s10
	s_cbranch_execz .LBB20_46
.LBB20_62:
	s_waitcnt lgkmcnt(6)
	v_cvt_f64_i32_e32 v[8:9], v8
	v_add_co_u32 v10, vcc_lo, 0x1000, v0
	v_add_co_ci_u32_e32 v11, vcc_lo, 0, v1, vcc_lo
	global_store_b64 v[10:11], v[8:9], off offset:512
	s_or_b32 exec_lo, exec_lo, s0
	s_and_saveexec_b32 s0, s11
	s_cbranch_execz .LBB20_47
.LBB20_63:
	s_waitcnt lgkmcnt(5)
	v_cvt_f64_i32_e32 v[7:8], v7
	v_add_co_u32 v9, vcc_lo, 0x1000, v0
	v_add_co_ci_u32_e32 v10, vcc_lo, 0, v1, vcc_lo
	global_store_b64 v[9:10], v[7:8], off offset:1024
	s_or_b32 exec_lo, exec_lo, s0
	s_and_saveexec_b32 s0, s12
	s_cbranch_execz .LBB20_48
.LBB20_64:
	s_waitcnt lgkmcnt(4)
	v_cvt_f64_i32_e32 v[6:7], v6
	v_add_co_u32 v8, vcc_lo, 0x1000, v0
	v_add_co_ci_u32_e32 v9, vcc_lo, 0, v1, vcc_lo
	global_store_b64 v[8:9], v[6:7], off offset:1536
	s_or_b32 exec_lo, exec_lo, s0
	s_and_saveexec_b32 s0, s13
	s_cbranch_execz .LBB20_49
.LBB20_65:
	s_waitcnt lgkmcnt(3)
	v_cvt_f64_i32_e32 v[5:6], v5
	v_add_co_u32 v7, vcc_lo, 0x1000, v0
	v_add_co_ci_u32_e32 v8, vcc_lo, 0, v1, vcc_lo
	global_store_b64 v[7:8], v[5:6], off offset:2048
	s_or_b32 exec_lo, exec_lo, s0
	s_and_saveexec_b32 s0, s14
	s_cbranch_execz .LBB20_50
.LBB20_66:
	s_waitcnt lgkmcnt(2)
	v_cvt_f64_i32_e32 v[4:5], v4
	v_add_co_u32 v6, vcc_lo, 0x1000, v0
	v_add_co_ci_u32_e32 v7, vcc_lo, 0, v1, vcc_lo
	global_store_b64 v[6:7], v[4:5], off offset:2560
	s_or_b32 exec_lo, exec_lo, s0
	s_and_saveexec_b32 s0, s15
	s_cbranch_execz .LBB20_51
.LBB20_67:
	s_waitcnt lgkmcnt(1)
	v_cvt_f64_i32_e32 v[3:4], v3
	v_add_co_u32 v5, vcc_lo, 0x1000, v0
	v_add_co_ci_u32_e32 v6, vcc_lo, 0, v1, vcc_lo
	global_store_b64 v[5:6], v[3:4], off offset:3072
	s_or_b32 exec_lo, exec_lo, s0
	s_and_saveexec_b32 s0, s16
	s_cbranch_execz .LBB20_52
.LBB20_68:
	s_waitcnt lgkmcnt(0)
	v_cvt_f64_i32_e32 v[2:3], v2
	v_add_co_u32 v0, vcc_lo, 0x1000, v0
	v_add_co_ci_u32_e32 v1, vcc_lo, 0, v1, vcc_lo
	global_store_b64 v[0:1], v[2:3], off offset:3584
	s_nop 0
	s_sendmsg sendmsg(MSG_DEALLOC_VGPRS)
	s_endpgm
	.section	.rodata,"a",@progbits
	.p2align	6, 0x0
	.amdhsa_kernel _ZN7rocprim6detail18single_scan_kernelILb0ENS0_19wrapped_scan_configINS_14default_configEiEEN6hipcub22TransformInputIteratorIiNS5_6CastOpIiEEPilEEPdNS5_3SumEiiEEvT1_mT4_T2_T3_
		.amdhsa_group_segment_fixed_size 4224
		.amdhsa_private_segment_fixed_size 0
		.amdhsa_kernarg_size 44
		.amdhsa_user_sgpr_count 15
		.amdhsa_user_sgpr_dispatch_ptr 0
		.amdhsa_user_sgpr_queue_ptr 0
		.amdhsa_user_sgpr_kernarg_segment_ptr 1
		.amdhsa_user_sgpr_dispatch_id 0
		.amdhsa_user_sgpr_private_segment_size 0
		.amdhsa_wavefront_size32 1
		.amdhsa_uses_dynamic_stack 0
		.amdhsa_enable_private_segment 0
		.amdhsa_system_sgpr_workgroup_id_x 1
		.amdhsa_system_sgpr_workgroup_id_y 0
		.amdhsa_system_sgpr_workgroup_id_z 0
		.amdhsa_system_sgpr_workgroup_info 0
		.amdhsa_system_vgpr_workitem_id 0
		.amdhsa_next_free_vgpr 43
		.amdhsa_next_free_sgpr 21
		.amdhsa_reserve_vcc 1
		.amdhsa_float_round_mode_32 0
		.amdhsa_float_round_mode_16_64 0
		.amdhsa_float_denorm_mode_32 3
		.amdhsa_float_denorm_mode_16_64 3
		.amdhsa_dx10_clamp 1
		.amdhsa_ieee_mode 1
		.amdhsa_fp16_overflow 0
		.amdhsa_workgroup_processor_mode 1
		.amdhsa_memory_ordered 1
		.amdhsa_forward_progress 0
		.amdhsa_shared_vgpr_count 0
		.amdhsa_exception_fp_ieee_invalid_op 0
		.amdhsa_exception_fp_denorm_src 0
		.amdhsa_exception_fp_ieee_div_zero 0
		.amdhsa_exception_fp_ieee_overflow 0
		.amdhsa_exception_fp_ieee_underflow 0
		.amdhsa_exception_fp_ieee_inexact 0
		.amdhsa_exception_int_div_zero 0
	.end_amdhsa_kernel
	.section	.text._ZN7rocprim6detail18single_scan_kernelILb0ENS0_19wrapped_scan_configINS_14default_configEiEEN6hipcub22TransformInputIteratorIiNS5_6CastOpIiEEPilEEPdNS5_3SumEiiEEvT1_mT4_T2_T3_,"axG",@progbits,_ZN7rocprim6detail18single_scan_kernelILb0ENS0_19wrapped_scan_configINS_14default_configEiEEN6hipcub22TransformInputIteratorIiNS5_6CastOpIiEEPilEEPdNS5_3SumEiiEEvT1_mT4_T2_T3_,comdat
.Lfunc_end20:
	.size	_ZN7rocprim6detail18single_scan_kernelILb0ENS0_19wrapped_scan_configINS_14default_configEiEEN6hipcub22TransformInputIteratorIiNS5_6CastOpIiEEPilEEPdNS5_3SumEiiEEvT1_mT4_T2_T3_, .Lfunc_end20-_ZN7rocprim6detail18single_scan_kernelILb0ENS0_19wrapped_scan_configINS_14default_configEiEEN6hipcub22TransformInputIteratorIiNS5_6CastOpIiEEPilEEPdNS5_3SumEiiEEvT1_mT4_T2_T3_
                                        ; -- End function
	.section	.AMDGPU.csdata,"",@progbits
; Kernel info:
; codeLenInByte = 2948
; NumSgprs: 23
; NumVgprs: 43
; ScratchSize: 0
; MemoryBound: 0
; FloatMode: 240
; IeeeMode: 1
; LDSByteSize: 4224 bytes/workgroup (compile time only)
; SGPRBlocks: 2
; VGPRBlocks: 5
; NumSGPRsForWavesPerEU: 23
; NumVGPRsForWavesPerEU: 43
; Occupancy: 16
; WaveLimiterHint : 0
; COMPUTE_PGM_RSRC2:SCRATCH_EN: 0
; COMPUTE_PGM_RSRC2:USER_SGPR: 15
; COMPUTE_PGM_RSRC2:TRAP_HANDLER: 0
; COMPUTE_PGM_RSRC2:TGID_X_EN: 1
; COMPUTE_PGM_RSRC2:TGID_Y_EN: 0
; COMPUTE_PGM_RSRC2:TGID_Z_EN: 0
; COMPUTE_PGM_RSRC2:TIDIG_COMP_CNT: 0
	.section	.text._ZN7rocprim6detail31init_lookback_scan_state_kernelINS0_19lookback_scan_stateIsLb1ELb1EEEEEvT_jjPNS4_10value_typeE,"axG",@progbits,_ZN7rocprim6detail31init_lookback_scan_state_kernelINS0_19lookback_scan_stateIsLb1ELb1EEEEEvT_jjPNS4_10value_typeE,comdat
	.protected	_ZN7rocprim6detail31init_lookback_scan_state_kernelINS0_19lookback_scan_stateIsLb1ELb1EEEEEvT_jjPNS4_10value_typeE ; -- Begin function _ZN7rocprim6detail31init_lookback_scan_state_kernelINS0_19lookback_scan_stateIsLb1ELb1EEEEEvT_jjPNS4_10value_typeE
	.globl	_ZN7rocprim6detail31init_lookback_scan_state_kernelINS0_19lookback_scan_stateIsLb1ELb1EEEEEvT_jjPNS4_10value_typeE
	.p2align	8
	.type	_ZN7rocprim6detail31init_lookback_scan_state_kernelINS0_19lookback_scan_stateIsLb1ELb1EEEEEvT_jjPNS4_10value_typeE,@function
_ZN7rocprim6detail31init_lookback_scan_state_kernelINS0_19lookback_scan_stateIsLb1ELb1EEEEEvT_jjPNS4_10value_typeE: ; @_ZN7rocprim6detail31init_lookback_scan_state_kernelINS0_19lookback_scan_stateIsLb1ELb1EEEEEvT_jjPNS4_10value_typeE
; %bb.0:
	s_clause 0x2
	s_load_b32 s6, s[0:1], 0x24
	s_load_b64 s[4:5], s[0:1], 0x10
	s_load_b128 s[0:3], s[0:1], 0x0
	s_waitcnt lgkmcnt(0)
	s_and_b32 s6, s6, 0xffff
	s_cmp_eq_u64 s[4:5], 0
	v_mad_u64_u32 v[1:2], null, s15, s6, v[0:1]
	s_cbranch_scc1 .LBB21_9
; %bb.1:
	s_cmp_lt_u32 s3, s2
	s_mov_b32 s7, 0
	s_cselect_b32 s6, s3, 0
	s_mov_b32 s8, exec_lo
	s_delay_alu instid0(VALU_DEP_1)
	v_cmpx_eq_u32_e64 s6, v1
	s_cbranch_execz .LBB21_8
; %bb.2:
	s_add_i32 s6, s3, 32
	v_mov_b32_e32 v0, 0
	s_lshl_b64 s[6:7], s[6:7], 2
	s_delay_alu instid0(SALU_CYCLE_1) | instskip(SKIP_4) | instid1(VALU_DEP_1)
	s_add_u32 s6, s0, s6
	s_addc_u32 s7, s1, s7
	global_load_b32 v2, v0, s[6:7] glc
	s_waitcnt vmcnt(0)
	v_and_b32_e32 v3, 0xff0000, v2
	v_cmp_ne_u32_e32 vcc_lo, 0, v3
	s_cbranch_vccnz .LBB21_7
; %bb.3:
	s_mov_b32 s3, 1
.LBB21_4:                               ; =>This Loop Header: Depth=1
                                        ;     Child Loop BB21_5 Depth 2
	s_delay_alu instid0(SALU_CYCLE_1)
	s_max_u32 s9, s3, 1
.LBB21_5:                               ;   Parent Loop BB21_4 Depth=1
                                        ; =>  This Inner Loop Header: Depth=2
	s_delay_alu instid0(SALU_CYCLE_1)
	s_add_i32 s9, s9, -1
	s_sleep 1
	s_cmp_eq_u32 s9, 0
	s_cbranch_scc0 .LBB21_5
; %bb.6:                                ;   in Loop: Header=BB21_4 Depth=1
	global_load_b32 v2, v0, s[6:7] glc
	s_cmp_lt_u32 s3, 32
	s_cselect_b32 s9, -1, 0
	s_delay_alu instid0(SALU_CYCLE_1) | instskip(SKIP_3) | instid1(VALU_DEP_1)
	s_cmp_lg_u32 s9, 0
	s_addc_u32 s3, s3, 0
	s_waitcnt vmcnt(0)
	v_and_b32_e32 v3, 0xff0000, v2
	v_cmp_ne_u32_e32 vcc_lo, 0, v3
	s_cbranch_vccz .LBB21_4
.LBB21_7:
	v_mov_b32_e32 v0, 0
	global_store_b16 v0, v2, s[4:5]
.LBB21_8:
	s_or_b32 exec_lo, exec_lo, s8
.LBB21_9:
	s_delay_alu instid0(VALU_DEP_1)
	v_cmp_gt_u32_e32 vcc_lo, s2, v1
	s_and_saveexec_b32 s2, vcc_lo
	s_cbranch_execz .LBB21_11
; %bb.10:
	v_dual_mov_b32 v3, 0 :: v_dual_add_nc_u32 v2, 32, v1
	s_delay_alu instid0(VALU_DEP_1) | instskip(NEXT) | instid1(VALU_DEP_1)
	v_lshlrev_b64 v[4:5], 2, v[2:3]
	v_add_co_u32 v4, vcc_lo, s0, v4
	s_delay_alu instid0(VALU_DEP_2)
	v_add_co_ci_u32_e32 v5, vcc_lo, s1, v5, vcc_lo
	global_store_b32 v[4:5], v3, off
.LBB21_11:
	s_or_b32 exec_lo, exec_lo, s2
	s_delay_alu instid0(SALU_CYCLE_1)
	s_mov_b32 s2, exec_lo
	v_cmpx_gt_u32_e32 32, v1
	s_cbranch_execz .LBB21_13
; %bb.12:
	v_mov_b32_e32 v2, 0
	s_delay_alu instid0(VALU_DEP_1) | instskip(SKIP_1) | instid1(VALU_DEP_2)
	v_lshlrev_b64 v[0:1], 2, v[1:2]
	v_mov_b32_e32 v2, 0xff0000
	v_add_co_u32 v0, vcc_lo, s0, v0
	s_delay_alu instid0(VALU_DEP_3)
	v_add_co_ci_u32_e32 v1, vcc_lo, s1, v1, vcc_lo
	global_store_b32 v[0:1], v2, off
.LBB21_13:
	s_nop 0
	s_sendmsg sendmsg(MSG_DEALLOC_VGPRS)
	s_endpgm
	.section	.rodata,"a",@progbits
	.p2align	6, 0x0
	.amdhsa_kernel _ZN7rocprim6detail31init_lookback_scan_state_kernelINS0_19lookback_scan_stateIsLb1ELb1EEEEEvT_jjPNS4_10value_typeE
		.amdhsa_group_segment_fixed_size 0
		.amdhsa_private_segment_fixed_size 0
		.amdhsa_kernarg_size 280
		.amdhsa_user_sgpr_count 15
		.amdhsa_user_sgpr_dispatch_ptr 0
		.amdhsa_user_sgpr_queue_ptr 0
		.amdhsa_user_sgpr_kernarg_segment_ptr 1
		.amdhsa_user_sgpr_dispatch_id 0
		.amdhsa_user_sgpr_private_segment_size 0
		.amdhsa_wavefront_size32 1
		.amdhsa_uses_dynamic_stack 0
		.amdhsa_enable_private_segment 0
		.amdhsa_system_sgpr_workgroup_id_x 1
		.amdhsa_system_sgpr_workgroup_id_y 0
		.amdhsa_system_sgpr_workgroup_id_z 0
		.amdhsa_system_sgpr_workgroup_info 0
		.amdhsa_system_vgpr_workitem_id 0
		.amdhsa_next_free_vgpr 6
		.amdhsa_next_free_sgpr 16
		.amdhsa_reserve_vcc 1
		.amdhsa_float_round_mode_32 0
		.amdhsa_float_round_mode_16_64 0
		.amdhsa_float_denorm_mode_32 3
		.amdhsa_float_denorm_mode_16_64 3
		.amdhsa_dx10_clamp 1
		.amdhsa_ieee_mode 1
		.amdhsa_fp16_overflow 0
		.amdhsa_workgroup_processor_mode 1
		.amdhsa_memory_ordered 1
		.amdhsa_forward_progress 0
		.amdhsa_shared_vgpr_count 0
		.amdhsa_exception_fp_ieee_invalid_op 0
		.amdhsa_exception_fp_denorm_src 0
		.amdhsa_exception_fp_ieee_div_zero 0
		.amdhsa_exception_fp_ieee_overflow 0
		.amdhsa_exception_fp_ieee_underflow 0
		.amdhsa_exception_fp_ieee_inexact 0
		.amdhsa_exception_int_div_zero 0
	.end_amdhsa_kernel
	.section	.text._ZN7rocprim6detail31init_lookback_scan_state_kernelINS0_19lookback_scan_stateIsLb1ELb1EEEEEvT_jjPNS4_10value_typeE,"axG",@progbits,_ZN7rocprim6detail31init_lookback_scan_state_kernelINS0_19lookback_scan_stateIsLb1ELb1EEEEEvT_jjPNS4_10value_typeE,comdat
.Lfunc_end21:
	.size	_ZN7rocprim6detail31init_lookback_scan_state_kernelINS0_19lookback_scan_stateIsLb1ELb1EEEEEvT_jjPNS4_10value_typeE, .Lfunc_end21-_ZN7rocprim6detail31init_lookback_scan_state_kernelINS0_19lookback_scan_stateIsLb1ELb1EEEEEvT_jjPNS4_10value_typeE
                                        ; -- End function
	.section	.AMDGPU.csdata,"",@progbits
; Kernel info:
; codeLenInByte = 376
; NumSgprs: 18
; NumVgprs: 6
; ScratchSize: 0
; MemoryBound: 0
; FloatMode: 240
; IeeeMode: 1
; LDSByteSize: 0 bytes/workgroup (compile time only)
; SGPRBlocks: 2
; VGPRBlocks: 0
; NumSGPRsForWavesPerEU: 18
; NumVGPRsForWavesPerEU: 6
; Occupancy: 16
; WaveLimiterHint : 0
; COMPUTE_PGM_RSRC2:SCRATCH_EN: 0
; COMPUTE_PGM_RSRC2:USER_SGPR: 15
; COMPUTE_PGM_RSRC2:TRAP_HANDLER: 0
; COMPUTE_PGM_RSRC2:TGID_X_EN: 1
; COMPUTE_PGM_RSRC2:TGID_Y_EN: 0
; COMPUTE_PGM_RSRC2:TGID_Z_EN: 0
; COMPUTE_PGM_RSRC2:TIDIG_COMP_CNT: 0
	.section	.text._ZN7rocprim6detail31init_lookback_scan_state_kernelINS0_19lookback_scan_stateIsLb0ELb1EEEEEvT_jjPNS4_10value_typeE,"axG",@progbits,_ZN7rocprim6detail31init_lookback_scan_state_kernelINS0_19lookback_scan_stateIsLb0ELb1EEEEEvT_jjPNS4_10value_typeE,comdat
	.protected	_ZN7rocprim6detail31init_lookback_scan_state_kernelINS0_19lookback_scan_stateIsLb0ELb1EEEEEvT_jjPNS4_10value_typeE ; -- Begin function _ZN7rocprim6detail31init_lookback_scan_state_kernelINS0_19lookback_scan_stateIsLb0ELb1EEEEEvT_jjPNS4_10value_typeE
	.globl	_ZN7rocprim6detail31init_lookback_scan_state_kernelINS0_19lookback_scan_stateIsLb0ELb1EEEEEvT_jjPNS4_10value_typeE
	.p2align	8
	.type	_ZN7rocprim6detail31init_lookback_scan_state_kernelINS0_19lookback_scan_stateIsLb0ELb1EEEEEvT_jjPNS4_10value_typeE,@function
_ZN7rocprim6detail31init_lookback_scan_state_kernelINS0_19lookback_scan_stateIsLb0ELb1EEEEEvT_jjPNS4_10value_typeE: ; @_ZN7rocprim6detail31init_lookback_scan_state_kernelINS0_19lookback_scan_stateIsLb0ELb1EEEEEvT_jjPNS4_10value_typeE
; %bb.0:
	s_clause 0x2
	s_load_b32 s6, s[0:1], 0x24
	s_load_b64 s[4:5], s[0:1], 0x10
	s_load_b128 s[0:3], s[0:1], 0x0
	s_waitcnt lgkmcnt(0)
	s_and_b32 s6, s6, 0xffff
	s_cmp_eq_u64 s[4:5], 0
	v_mad_u64_u32 v[1:2], null, s15, s6, v[0:1]
	s_cbranch_scc1 .LBB22_6
; %bb.1:
	s_cmp_lt_u32 s3, s2
	s_mov_b32 s7, 0
	s_cselect_b32 s6, s3, 0
	s_mov_b32 s8, exec_lo
	s_delay_alu instid0(VALU_DEP_1)
	v_cmpx_eq_u32_e64 s6, v1
	s_cbranch_execz .LBB22_5
; %bb.2:
	s_add_i32 s6, s3, 32
	v_mov_b32_e32 v2, 0
	s_lshl_b64 s[6:7], s[6:7], 2
	s_delay_alu instid0(SALU_CYCLE_1) | instskip(SKIP_4) | instid1(VALU_DEP_1)
	s_add_u32 s6, s0, s6
	s_addc_u32 s7, s1, s7
	global_load_b32 v0, v2, s[6:7] glc
	s_waitcnt vmcnt(0)
	v_and_b32_e32 v3, 0xff0000, v0
	v_cmp_ne_u32_e32 vcc_lo, 0, v3
	s_cbranch_vccnz .LBB22_4
.LBB22_3:                               ; =>This Inner Loop Header: Depth=1
	global_load_b32 v0, v2, s[6:7] glc
	s_waitcnt vmcnt(0)
	v_and_b32_e32 v3, 0xff0000, v0
	s_delay_alu instid0(VALU_DEP_1)
	v_cmp_eq_u32_e32 vcc_lo, 0, v3
	s_cbranch_vccnz .LBB22_3
.LBB22_4:
	v_mov_b32_e32 v2, 0
	global_store_b16 v2, v0, s[4:5]
.LBB22_5:
	s_or_b32 exec_lo, exec_lo, s8
.LBB22_6:
	s_delay_alu instid0(VALU_DEP_1)
	v_cmp_gt_u32_e32 vcc_lo, s2, v1
	s_and_saveexec_b32 s2, vcc_lo
	s_cbranch_execz .LBB22_8
; %bb.7:
	v_dual_mov_b32 v3, 0 :: v_dual_add_nc_u32 v2, 32, v1
	s_delay_alu instid0(VALU_DEP_1) | instskip(NEXT) | instid1(VALU_DEP_1)
	v_lshlrev_b64 v[4:5], 2, v[2:3]
	v_add_co_u32 v4, vcc_lo, s0, v4
	s_delay_alu instid0(VALU_DEP_2)
	v_add_co_ci_u32_e32 v5, vcc_lo, s1, v5, vcc_lo
	global_store_b32 v[4:5], v3, off
.LBB22_8:
	s_or_b32 exec_lo, exec_lo, s2
	s_delay_alu instid0(SALU_CYCLE_1)
	s_mov_b32 s2, exec_lo
	v_cmpx_gt_u32_e32 32, v1
	s_cbranch_execz .LBB22_10
; %bb.9:
	v_mov_b32_e32 v2, 0
	s_delay_alu instid0(VALU_DEP_1) | instskip(SKIP_1) | instid1(VALU_DEP_2)
	v_lshlrev_b64 v[0:1], 2, v[1:2]
	v_mov_b32_e32 v2, 0xff0000
	v_add_co_u32 v0, vcc_lo, s0, v0
	s_delay_alu instid0(VALU_DEP_3)
	v_add_co_ci_u32_e32 v1, vcc_lo, s1, v1, vcc_lo
	global_store_b32 v[0:1], v2, off
.LBB22_10:
	s_nop 0
	s_sendmsg sendmsg(MSG_DEALLOC_VGPRS)
	s_endpgm
	.section	.rodata,"a",@progbits
	.p2align	6, 0x0
	.amdhsa_kernel _ZN7rocprim6detail31init_lookback_scan_state_kernelINS0_19lookback_scan_stateIsLb0ELb1EEEEEvT_jjPNS4_10value_typeE
		.amdhsa_group_segment_fixed_size 0
		.amdhsa_private_segment_fixed_size 0
		.amdhsa_kernarg_size 280
		.amdhsa_user_sgpr_count 15
		.amdhsa_user_sgpr_dispatch_ptr 0
		.amdhsa_user_sgpr_queue_ptr 0
		.amdhsa_user_sgpr_kernarg_segment_ptr 1
		.amdhsa_user_sgpr_dispatch_id 0
		.amdhsa_user_sgpr_private_segment_size 0
		.amdhsa_wavefront_size32 1
		.amdhsa_uses_dynamic_stack 0
		.amdhsa_enable_private_segment 0
		.amdhsa_system_sgpr_workgroup_id_x 1
		.amdhsa_system_sgpr_workgroup_id_y 0
		.amdhsa_system_sgpr_workgroup_id_z 0
		.amdhsa_system_sgpr_workgroup_info 0
		.amdhsa_system_vgpr_workitem_id 0
		.amdhsa_next_free_vgpr 6
		.amdhsa_next_free_sgpr 16
		.amdhsa_reserve_vcc 1
		.amdhsa_float_round_mode_32 0
		.amdhsa_float_round_mode_16_64 0
		.amdhsa_float_denorm_mode_32 3
		.amdhsa_float_denorm_mode_16_64 3
		.amdhsa_dx10_clamp 1
		.amdhsa_ieee_mode 1
		.amdhsa_fp16_overflow 0
		.amdhsa_workgroup_processor_mode 1
		.amdhsa_memory_ordered 1
		.amdhsa_forward_progress 0
		.amdhsa_shared_vgpr_count 0
		.amdhsa_exception_fp_ieee_invalid_op 0
		.amdhsa_exception_fp_denorm_src 0
		.amdhsa_exception_fp_ieee_div_zero 0
		.amdhsa_exception_fp_ieee_overflow 0
		.amdhsa_exception_fp_ieee_underflow 0
		.amdhsa_exception_fp_ieee_inexact 0
		.amdhsa_exception_int_div_zero 0
	.end_amdhsa_kernel
	.section	.text._ZN7rocprim6detail31init_lookback_scan_state_kernelINS0_19lookback_scan_stateIsLb0ELb1EEEEEvT_jjPNS4_10value_typeE,"axG",@progbits,_ZN7rocprim6detail31init_lookback_scan_state_kernelINS0_19lookback_scan_stateIsLb0ELb1EEEEEvT_jjPNS4_10value_typeE,comdat
.Lfunc_end22:
	.size	_ZN7rocprim6detail31init_lookback_scan_state_kernelINS0_19lookback_scan_stateIsLb0ELb1EEEEEvT_jjPNS4_10value_typeE, .Lfunc_end22-_ZN7rocprim6detail31init_lookback_scan_state_kernelINS0_19lookback_scan_stateIsLb0ELb1EEEEEvT_jjPNS4_10value_typeE
                                        ; -- End function
	.section	.AMDGPU.csdata,"",@progbits
; Kernel info:
; codeLenInByte = 328
; NumSgprs: 18
; NumVgprs: 6
; ScratchSize: 0
; MemoryBound: 0
; FloatMode: 240
; IeeeMode: 1
; LDSByteSize: 0 bytes/workgroup (compile time only)
; SGPRBlocks: 2
; VGPRBlocks: 0
; NumSGPRsForWavesPerEU: 18
; NumVGPRsForWavesPerEU: 6
; Occupancy: 16
; WaveLimiterHint : 0
; COMPUTE_PGM_RSRC2:SCRATCH_EN: 0
; COMPUTE_PGM_RSRC2:USER_SGPR: 15
; COMPUTE_PGM_RSRC2:TRAP_HANDLER: 0
; COMPUTE_PGM_RSRC2:TGID_X_EN: 1
; COMPUTE_PGM_RSRC2:TGID_Y_EN: 0
; COMPUTE_PGM_RSRC2:TGID_Z_EN: 0
; COMPUTE_PGM_RSRC2:TIDIG_COMP_CNT: 0
	.section	.text._ZN7rocprim6detail20lookback_scan_kernelILNS0_25lookback_scan_determinismE0ELb0ENS0_19wrapped_scan_configINS_14default_configEsEEN6hipcub22TransformInputIteratorIsNS6_6CastOpIsEEPslEEPfNS6_3MaxEssNS0_19lookback_scan_stateIsLb1ELb1EEEEEvT2_T3_mT5_T4_T7_jPT6_SM_bb,"axG",@progbits,_ZN7rocprim6detail20lookback_scan_kernelILNS0_25lookback_scan_determinismE0ELb0ENS0_19wrapped_scan_configINS_14default_configEsEEN6hipcub22TransformInputIteratorIsNS6_6CastOpIsEEPslEEPfNS6_3MaxEssNS0_19lookback_scan_stateIsLb1ELb1EEEEEvT2_T3_mT5_T4_T7_jPT6_SM_bb,comdat
	.protected	_ZN7rocprim6detail20lookback_scan_kernelILNS0_25lookback_scan_determinismE0ELb0ENS0_19wrapped_scan_configINS_14default_configEsEEN6hipcub22TransformInputIteratorIsNS6_6CastOpIsEEPslEEPfNS6_3MaxEssNS0_19lookback_scan_stateIsLb1ELb1EEEEEvT2_T3_mT5_T4_T7_jPT6_SM_bb ; -- Begin function _ZN7rocprim6detail20lookback_scan_kernelILNS0_25lookback_scan_determinismE0ELb0ENS0_19wrapped_scan_configINS_14default_configEsEEN6hipcub22TransformInputIteratorIsNS6_6CastOpIsEEPslEEPfNS6_3MaxEssNS0_19lookback_scan_stateIsLb1ELb1EEEEEvT2_T3_mT5_T4_T7_jPT6_SM_bb
	.globl	_ZN7rocprim6detail20lookback_scan_kernelILNS0_25lookback_scan_determinismE0ELb0ENS0_19wrapped_scan_configINS_14default_configEsEEN6hipcub22TransformInputIteratorIsNS6_6CastOpIsEEPslEEPfNS6_3MaxEssNS0_19lookback_scan_stateIsLb1ELb1EEEEEvT2_T3_mT5_T4_T7_jPT6_SM_bb
	.p2align	8
	.type	_ZN7rocprim6detail20lookback_scan_kernelILNS0_25lookback_scan_determinismE0ELb0ENS0_19wrapped_scan_configINS_14default_configEsEEN6hipcub22TransformInputIteratorIsNS6_6CastOpIsEEPslEEPfNS6_3MaxEssNS0_19lookback_scan_stateIsLb1ELb1EEEEEvT2_T3_mT5_T4_T7_jPT6_SM_bb,@function
_ZN7rocprim6detail20lookback_scan_kernelILNS0_25lookback_scan_determinismE0ELb0ENS0_19wrapped_scan_configINS_14default_configEsEEN6hipcub22TransformInputIteratorIsNS6_6CastOpIsEEPslEEPfNS6_3MaxEssNS0_19lookback_scan_stateIsLb1ELb1EEEEEvT2_T3_mT5_T4_T7_jPT6_SM_bb: ; @_ZN7rocprim6detail20lookback_scan_kernelILNS0_25lookback_scan_determinismE0ELb0ENS0_19wrapped_scan_configINS_14default_configEsEEN6hipcub22TransformInputIteratorIsNS6_6CastOpIsEEPslEEPfNS6_3MaxEssNS0_19lookback_scan_stateIsLb1ELb1EEEEEvT2_T3_mT5_T4_T7_jPT6_SM_bb
; %bb.0:
	s_endpgm
	.section	.rodata,"a",@progbits
	.p2align	6, 0x0
	.amdhsa_kernel _ZN7rocprim6detail20lookback_scan_kernelILNS0_25lookback_scan_determinismE0ELb0ENS0_19wrapped_scan_configINS_14default_configEsEEN6hipcub22TransformInputIteratorIsNS6_6CastOpIsEEPslEEPfNS6_3MaxEssNS0_19lookback_scan_stateIsLb1ELb1EEEEEvT2_T3_mT5_T4_T7_jPT6_SM_bb
		.amdhsa_group_segment_fixed_size 0
		.amdhsa_private_segment_fixed_size 0
		.amdhsa_kernarg_size 76
		.amdhsa_user_sgpr_count 15
		.amdhsa_user_sgpr_dispatch_ptr 0
		.amdhsa_user_sgpr_queue_ptr 0
		.amdhsa_user_sgpr_kernarg_segment_ptr 1
		.amdhsa_user_sgpr_dispatch_id 0
		.amdhsa_user_sgpr_private_segment_size 0
		.amdhsa_wavefront_size32 1
		.amdhsa_uses_dynamic_stack 0
		.amdhsa_enable_private_segment 0
		.amdhsa_system_sgpr_workgroup_id_x 1
		.amdhsa_system_sgpr_workgroup_id_y 0
		.amdhsa_system_sgpr_workgroup_id_z 0
		.amdhsa_system_sgpr_workgroup_info 0
		.amdhsa_system_vgpr_workitem_id 0
		.amdhsa_next_free_vgpr 1
		.amdhsa_next_free_sgpr 1
		.amdhsa_reserve_vcc 0
		.amdhsa_float_round_mode_32 0
		.amdhsa_float_round_mode_16_64 0
		.amdhsa_float_denorm_mode_32 3
		.amdhsa_float_denorm_mode_16_64 3
		.amdhsa_dx10_clamp 1
		.amdhsa_ieee_mode 1
		.amdhsa_fp16_overflow 0
		.amdhsa_workgroup_processor_mode 1
		.amdhsa_memory_ordered 1
		.amdhsa_forward_progress 0
		.amdhsa_shared_vgpr_count 0
		.amdhsa_exception_fp_ieee_invalid_op 0
		.amdhsa_exception_fp_denorm_src 0
		.amdhsa_exception_fp_ieee_div_zero 0
		.amdhsa_exception_fp_ieee_overflow 0
		.amdhsa_exception_fp_ieee_underflow 0
		.amdhsa_exception_fp_ieee_inexact 0
		.amdhsa_exception_int_div_zero 0
	.end_amdhsa_kernel
	.section	.text._ZN7rocprim6detail20lookback_scan_kernelILNS0_25lookback_scan_determinismE0ELb0ENS0_19wrapped_scan_configINS_14default_configEsEEN6hipcub22TransformInputIteratorIsNS6_6CastOpIsEEPslEEPfNS6_3MaxEssNS0_19lookback_scan_stateIsLb1ELb1EEEEEvT2_T3_mT5_T4_T7_jPT6_SM_bb,"axG",@progbits,_ZN7rocprim6detail20lookback_scan_kernelILNS0_25lookback_scan_determinismE0ELb0ENS0_19wrapped_scan_configINS_14default_configEsEEN6hipcub22TransformInputIteratorIsNS6_6CastOpIsEEPslEEPfNS6_3MaxEssNS0_19lookback_scan_stateIsLb1ELb1EEEEEvT2_T3_mT5_T4_T7_jPT6_SM_bb,comdat
.Lfunc_end23:
	.size	_ZN7rocprim6detail20lookback_scan_kernelILNS0_25lookback_scan_determinismE0ELb0ENS0_19wrapped_scan_configINS_14default_configEsEEN6hipcub22TransformInputIteratorIsNS6_6CastOpIsEEPslEEPfNS6_3MaxEssNS0_19lookback_scan_stateIsLb1ELb1EEEEEvT2_T3_mT5_T4_T7_jPT6_SM_bb, .Lfunc_end23-_ZN7rocprim6detail20lookback_scan_kernelILNS0_25lookback_scan_determinismE0ELb0ENS0_19wrapped_scan_configINS_14default_configEsEEN6hipcub22TransformInputIteratorIsNS6_6CastOpIsEEPslEEPfNS6_3MaxEssNS0_19lookback_scan_stateIsLb1ELb1EEEEEvT2_T3_mT5_T4_T7_jPT6_SM_bb
                                        ; -- End function
	.section	.AMDGPU.csdata,"",@progbits
; Kernel info:
; codeLenInByte = 4
; NumSgprs: 0
; NumVgprs: 0
; ScratchSize: 0
; MemoryBound: 0
; FloatMode: 240
; IeeeMode: 1
; LDSByteSize: 0 bytes/workgroup (compile time only)
; SGPRBlocks: 0
; VGPRBlocks: 0
; NumSGPRsForWavesPerEU: 1
; NumVGPRsForWavesPerEU: 1
; Occupancy: 16
; WaveLimiterHint : 0
; COMPUTE_PGM_RSRC2:SCRATCH_EN: 0
; COMPUTE_PGM_RSRC2:USER_SGPR: 15
; COMPUTE_PGM_RSRC2:TRAP_HANDLER: 0
; COMPUTE_PGM_RSRC2:TGID_X_EN: 1
; COMPUTE_PGM_RSRC2:TGID_Y_EN: 0
; COMPUTE_PGM_RSRC2:TGID_Z_EN: 0
; COMPUTE_PGM_RSRC2:TIDIG_COMP_CNT: 0
	.section	.text._ZN7rocprim6detail20lookback_scan_kernelILNS0_25lookback_scan_determinismE0ELb0ENS0_19wrapped_scan_configINS_14default_configEsEEN6hipcub22TransformInputIteratorIsNS6_6CastOpIsEEPslEEPfNS6_3MaxEssNS0_19lookback_scan_stateIsLb0ELb1EEEEEvT2_T3_mT5_T4_T7_jPT6_SM_bb,"axG",@progbits,_ZN7rocprim6detail20lookback_scan_kernelILNS0_25lookback_scan_determinismE0ELb0ENS0_19wrapped_scan_configINS_14default_configEsEEN6hipcub22TransformInputIteratorIsNS6_6CastOpIsEEPslEEPfNS6_3MaxEssNS0_19lookback_scan_stateIsLb0ELb1EEEEEvT2_T3_mT5_T4_T7_jPT6_SM_bb,comdat
	.protected	_ZN7rocprim6detail20lookback_scan_kernelILNS0_25lookback_scan_determinismE0ELb0ENS0_19wrapped_scan_configINS_14default_configEsEEN6hipcub22TransformInputIteratorIsNS6_6CastOpIsEEPslEEPfNS6_3MaxEssNS0_19lookback_scan_stateIsLb0ELb1EEEEEvT2_T3_mT5_T4_T7_jPT6_SM_bb ; -- Begin function _ZN7rocprim6detail20lookback_scan_kernelILNS0_25lookback_scan_determinismE0ELb0ENS0_19wrapped_scan_configINS_14default_configEsEEN6hipcub22TransformInputIteratorIsNS6_6CastOpIsEEPslEEPfNS6_3MaxEssNS0_19lookback_scan_stateIsLb0ELb1EEEEEvT2_T3_mT5_T4_T7_jPT6_SM_bb
	.globl	_ZN7rocprim6detail20lookback_scan_kernelILNS0_25lookback_scan_determinismE0ELb0ENS0_19wrapped_scan_configINS_14default_configEsEEN6hipcub22TransformInputIteratorIsNS6_6CastOpIsEEPslEEPfNS6_3MaxEssNS0_19lookback_scan_stateIsLb0ELb1EEEEEvT2_T3_mT5_T4_T7_jPT6_SM_bb
	.p2align	8
	.type	_ZN7rocprim6detail20lookback_scan_kernelILNS0_25lookback_scan_determinismE0ELb0ENS0_19wrapped_scan_configINS_14default_configEsEEN6hipcub22TransformInputIteratorIsNS6_6CastOpIsEEPslEEPfNS6_3MaxEssNS0_19lookback_scan_stateIsLb0ELb1EEEEEvT2_T3_mT5_T4_T7_jPT6_SM_bb,@function
_ZN7rocprim6detail20lookback_scan_kernelILNS0_25lookback_scan_determinismE0ELb0ENS0_19wrapped_scan_configINS_14default_configEsEEN6hipcub22TransformInputIteratorIsNS6_6CastOpIsEEPslEEPfNS6_3MaxEssNS0_19lookback_scan_stateIsLb0ELb1EEEEEvT2_T3_mT5_T4_T7_jPT6_SM_bb: ; @_ZN7rocprim6detail20lookback_scan_kernelILNS0_25lookback_scan_determinismE0ELb0ENS0_19wrapped_scan_configINS_14default_configEsEEN6hipcub22TransformInputIteratorIsNS6_6CastOpIsEEPslEEPfNS6_3MaxEssNS0_19lookback_scan_stateIsLb0ELb1EEEEEvT2_T3_mT5_T4_T7_jPT6_SM_bb
; %bb.0:
	s_clause 0x2
	s_load_b32 s4, s[0:1], 0x30
	s_load_b128 s[8:11], s[0:1], 0x10
	s_load_b64 s[2:3], s[0:1], 0x0
	s_mov_b32 s13, 0
	s_mul_i32 s12, s15, 0x580
	v_lshlrev_b32_e32 v16, 1, v0
	s_waitcnt lgkmcnt(0)
	s_add_i32 s4, s4, -1
	s_delay_alu instid0(SALU_CYCLE_1) | instskip(NEXT) | instid1(SALU_CYCLE_1)
	s_mul_i32 s5, s4, 0x580
	s_sub_u32 s14, s10, s5
	s_subb_u32 s16, s11, 0
	s_cmp_lg_u32 s15, s4
	s_cselect_b32 s17, -1, 0
	s_lshl_b64 s[4:5], s[12:13], 1
	s_delay_alu instid0(SALU_CYCLE_1)
	s_add_u32 s4, s2, s4
	s_addc_u32 s5, s3, s5
	s_and_b32 vcc_lo, exec_lo, s17
	s_mov_b32 s3, -1
	s_cbranch_vccz .LBB24_2
; %bb.1:
	s_clause 0x15
	global_load_u16 v1, v16, s[4:5]
	global_load_u16 v2, v16, s[4:5] offset:128
	global_load_u16 v3, v16, s[4:5] offset:256
	global_load_u16 v4, v16, s[4:5] offset:384
	global_load_u16 v5, v16, s[4:5] offset:512
	global_load_u16 v6, v16, s[4:5] offset:640
	global_load_u16 v7, v16, s[4:5] offset:768
	global_load_u16 v8, v16, s[4:5] offset:896
	global_load_u16 v9, v16, s[4:5] offset:1024
	global_load_u16 v10, v16, s[4:5] offset:1152
	global_load_u16 v11, v16, s[4:5] offset:1280
	global_load_u16 v12, v16, s[4:5] offset:1408
	global_load_u16 v13, v16, s[4:5] offset:1536
	global_load_u16 v14, v16, s[4:5] offset:1664
	global_load_u16 v15, v16, s[4:5] offset:1792
	global_load_u16 v17, v16, s[4:5] offset:1920
	global_load_u16 v18, v16, s[4:5] offset:2048
	global_load_u16 v19, v16, s[4:5] offset:2176
	global_load_u16 v20, v16, s[4:5] offset:2304
	global_load_u16 v21, v16, s[4:5] offset:2432
	global_load_u16 v22, v16, s[4:5] offset:2560
	global_load_u16 v23, v16, s[4:5] offset:2688
	s_mov_b32 s3, s13
	s_waitcnt vmcnt(21)
	ds_store_b16 v16, v1
	s_waitcnt vmcnt(20)
	ds_store_b16 v16, v2 offset:128
	s_waitcnt vmcnt(19)
	ds_store_b16 v16, v3 offset:256
	;; [unrolled: 2-line block ×21, first 2 shown]
	s_waitcnt lgkmcnt(0)
	s_barrier
.LBB24_2:
	v_cmp_gt_u32_e64 s2, s14, v0
	s_and_not1_b32 vcc_lo, exec_lo, s3
	s_cbranch_vccnz .LBB24_48
; %bb.3:
	v_mov_b32_e32 v1, 0
	global_load_u16 v3, v1, s[4:5]
	v_add_co_u32 v1, s3, s4, v16
	s_delay_alu instid0(VALU_DEP_1)
	v_add_co_ci_u32_e64 v2, null, s5, 0, s3
	s_waitcnt vmcnt(0)
	v_mov_b32_e32 v4, v3
	s_and_saveexec_b32 s3, s2
	s_cbranch_execz .LBB24_5
; %bb.4:
	global_load_u16 v4, v[1:2], off
.LBB24_5:
	s_or_b32 exec_lo, exec_lo, s3
	v_or_b32_e32 v5, 64, v0
	s_delay_alu instid0(VALU_DEP_1)
	v_cmp_gt_u32_e32 vcc_lo, s14, v5
	v_mov_b32_e32 v5, v3
	s_and_saveexec_b32 s2, vcc_lo
	s_cbranch_execz .LBB24_7
; %bb.6:
	global_load_u16 v5, v[1:2], off offset:128
.LBB24_7:
	s_or_b32 exec_lo, exec_lo, s2
	v_or_b32_e32 v6, 0x80, v0
	s_delay_alu instid0(VALU_DEP_1)
	v_cmp_gt_u32_e32 vcc_lo, s14, v6
	v_mov_b32_e32 v6, v3
	s_and_saveexec_b32 s2, vcc_lo
	s_cbranch_execz .LBB24_9
; %bb.8:
	global_load_u16 v6, v[1:2], off offset:256
.LBB24_9:
	;; [unrolled: 10-line block ×20, first 2 shown]
	s_or_b32 exec_lo, exec_lo, s2
	v_or_b32_e32 v26, 0x540, v0
	s_mov_b32 s2, exec_lo
	s_delay_alu instid0(VALU_DEP_1)
	v_cmpx_gt_u32_e64 s14, v26
	s_cbranch_execz .LBB24_47
; %bb.46:
	global_load_u16 v3, v[1:2], off offset:2688
.LBB24_47:
	s_or_b32 exec_lo, exec_lo, s2
	s_waitcnt vmcnt(0)
	ds_store_b16 v16, v4
	ds_store_b16 v16, v5 offset:128
	ds_store_b16 v16, v6 offset:256
	;; [unrolled: 1-line block ×21, first 2 shown]
	s_waitcnt lgkmcnt(0)
	s_barrier
.LBB24_48:
	v_mul_u32_u24_e32 v15, 22, v0
	buffer_gl0_inv
	s_load_b64 s[10:11], s[0:1], 0x28
	v_lshrrev_b32_e32 v30, 5, v0
	v_cmp_gt_u32_e32 vcc_lo, 32, v0
	v_lshlrev_b32_e32 v17, 1, v15
	s_cmp_lg_u32 s15, 0
	ds_load_2addr_b32 v[1:2], v17 offset1:1
	ds_load_2addr_b32 v[9:10], v17 offset0:2 offset1:3
	ds_load_2addr_b32 v[7:8], v17 offset0:4 offset1:5
	;; [unrolled: 1-line block ×4, first 2 shown]
	ds_load_b32 v18, v17 offset:40
	s_waitcnt lgkmcnt(0)
	s_barrier
	buffer_gl0_inv
	v_lshrrev_b32_e32 v29, 16, v1
	v_lshrrev_b32_e32 v28, 16, v2
	;; [unrolled: 1-line block ×11, first 2 shown]
	s_cbranch_scc0 .LBB24_73
; %bb.49:
	v_max_i16 v11, v1, v29
	v_add_lshl_u32 v12, v30, v0, 1
	s_delay_alu instid0(VALU_DEP_2) | instskip(NEXT) | instid1(VALU_DEP_1)
	v_max3_i16 v11, v11, v2, v28
	v_max3_i16 v11, v11, v9, v27
	s_delay_alu instid0(VALU_DEP_1) | instskip(NEXT) | instid1(VALU_DEP_1)
	v_max3_i16 v11, v11, v10, v26
	v_max3_i16 v11, v11, v7, v25
	s_delay_alu instid0(VALU_DEP_1) | instskip(NEXT) | instid1(VALU_DEP_1)
	;; [unrolled: 3-line block ×4, first 2 shown]
	v_max3_i16 v11, v11, v4, v20
	v_max3_i16 v31, v11, v18, v19
	ds_store_b16 v12, v31
	s_waitcnt lgkmcnt(0)
	s_barrier
	buffer_gl0_inv
	s_and_saveexec_b32 s3, vcc_lo
	s_cbranch_execz .LBB24_51
; %bb.50:
	v_lshrrev_b32_e32 v11, 3, v0
	v_mbcnt_lo_u32_b32 v33, -1, 0
	s_delay_alu instid0(VALU_DEP_2) | instskip(NEXT) | instid1(VALU_DEP_2)
	v_and_b32_e32 v11, 6, v11
	v_and_b32_e32 v34, 15, v33
	v_add_nc_u32_e32 v35, -1, v33
	s_delay_alu instid0(VALU_DEP_3) | instskip(NEXT) | instid1(VALU_DEP_3)
	v_lshl_or_b32 v11, v0, 2, v11
	v_cmp_eq_u32_e64 s2, 0, v34
	ds_load_u16 v12, v11
	ds_load_u16 v13, v11 offset:2
	s_waitcnt lgkmcnt(0)
	v_max_i16 v14, v12, v13
	s_delay_alu instid0(VALU_DEP_1) | instskip(NEXT) | instid1(VALU_DEP_1)
	v_and_b32_e32 v32, 0xffff, v14
	v_mov_b32_dpp v32, v32 row_shr:1 row_mask:0xf bank_mask:0xf
	s_delay_alu instid0(VALU_DEP_1) | instskip(NEXT) | instid1(VALU_DEP_1)
	v_max_i16 v32, v32, v14
	v_cndmask_b32_e64 v14, v32, v14, s2
	v_cmp_lt_u32_e64 s2, 1, v34
	s_delay_alu instid0(VALU_DEP_2) | instskip(NEXT) | instid1(VALU_DEP_1)
	v_and_b32_e32 v32, 0xffff, v14
	v_mov_b32_dpp v32, v32 row_shr:2 row_mask:0xf bank_mask:0xf
	s_delay_alu instid0(VALU_DEP_1) | instskip(NEXT) | instid1(VALU_DEP_1)
	v_max_i16 v32, v32, v14
	v_cndmask_b32_e64 v14, v14, v32, s2
	v_cmp_lt_u32_e64 s2, 3, v34
	s_delay_alu instid0(VALU_DEP_2) | instskip(NEXT) | instid1(VALU_DEP_1)
	v_and_b32_e32 v32, 0xffff, v14
	v_mov_b32_dpp v32, v32 row_shr:4 row_mask:0xf bank_mask:0xf
	s_delay_alu instid0(VALU_DEP_1) | instskip(NEXT) | instid1(VALU_DEP_1)
	v_max_i16 v32, v32, v14
	v_cndmask_b32_e64 v14, v14, v32, s2
	v_cmp_lt_u32_e64 s2, 7, v34
	v_and_b32_e32 v34, 16, v33
	s_delay_alu instid0(VALU_DEP_3) | instskip(NEXT) | instid1(VALU_DEP_1)
	v_and_b32_e32 v32, 0xffff, v14
	v_mov_b32_dpp v32, v32 row_shr:8 row_mask:0xf bank_mask:0xf
	s_delay_alu instid0(VALU_DEP_1) | instskip(NEXT) | instid1(VALU_DEP_1)
	v_max_i16 v32, v32, v14
	v_cndmask_b32_e64 v14, v14, v32, s2
	v_cmp_eq_u32_e64 s2, 0, v34
	s_delay_alu instid0(VALU_DEP_2) | instskip(SKIP_3) | instid1(VALU_DEP_1)
	v_and_b32_e32 v32, 0xffff, v14
	ds_swizzle_b32 v32, v32 offset:swizzle(BROADCAST,32,15)
	s_waitcnt lgkmcnt(0)
	v_max_i16 v32, v32, v14
	v_cndmask_b32_e64 v14, v32, v14, s2
	v_cmp_gt_i32_e64 s2, 0, v35
	s_delay_alu instid0(VALU_DEP_2) | instskip(NEXT) | instid1(VALU_DEP_2)
	v_and_b32_e32 v14, 0xffff, v14
	v_cndmask_b32_e64 v32, v35, v33, s2
	v_cmp_eq_u32_e64 s2, 0, v0
	s_delay_alu instid0(VALU_DEP_2) | instskip(SKIP_3) | instid1(VALU_DEP_1)
	v_lshlrev_b32_e32 v32, 2, v32
	ds_bpermute_b32 v14, v32, v14
	s_waitcnt lgkmcnt(0)
	v_max_i16 v12, v14, v12
	v_cndmask_b32_e64 v12, v12, v31, s2
	s_delay_alu instid0(VALU_DEP_1)
	v_max_i16 v13, v12, v13
	ds_store_b16 v11, v12
	ds_store_b16 v11, v13 offset:2
.LBB24_51:
	s_or_b32 exec_lo, exec_lo, s3
	v_cmp_eq_u32_e64 s2, 0, v0
	s_mov_b32 s4, exec_lo
	s_waitcnt lgkmcnt(0)
	s_barrier
	buffer_gl0_inv
	v_cmpx_ne_u32_e32 0, v0
	s_cbranch_execz .LBB24_53
; %bb.52:
	v_add_nc_u32_e32 v11, -1, v0
	s_delay_alu instid0(VALU_DEP_1) | instskip(NEXT) | instid1(VALU_DEP_1)
	v_lshrrev_b32_e32 v12, 5, v11
	v_add_lshl_u32 v11, v12, v11, 1
	ds_load_u16 v31, v11
.LBB24_53:
	s_or_b32 exec_lo, exec_lo, s4
	s_and_saveexec_b32 s6, vcc_lo
	s_cbranch_execz .LBB24_72
; %bb.54:
	v_mov_b32_e32 v13, 0
	v_mbcnt_lo_u32_b32 v14, -1, 0
	s_mov_b32 s5, 0
	ds_load_u16 v32, v13 offset:128
	v_cmp_eq_u32_e64 s3, 0, v14
	s_delay_alu instid0(VALU_DEP_1)
	s_and_saveexec_b32 s7, s3
	s_cbranch_execz .LBB24_56
; %bb.55:
	s_add_i32 s4, s15, 32
	s_waitcnt lgkmcnt(0)
	v_or_b32_e32 v11, 0x10000, v32
	s_lshl_b64 s[4:5], s[4:5], 2
	s_delay_alu instid0(SALU_CYCLE_1)
	s_add_u32 s4, s10, s4
	s_addc_u32 s5, s11, s5
	global_store_b32 v13, v11, s[4:5]
.LBB24_56:
	s_or_b32 exec_lo, exec_lo, s7
	v_xad_u32 v11, v14, -1, s15
	s_mov_b32 s4, exec_lo
	s_delay_alu instid0(VALU_DEP_1) | instskip(NEXT) | instid1(VALU_DEP_1)
	v_add_nc_u32_e32 v12, 32, v11
	v_lshlrev_b64 v[12:13], 2, v[12:13]
	s_delay_alu instid0(VALU_DEP_1) | instskip(NEXT) | instid1(VALU_DEP_2)
	v_add_co_u32 v12, vcc_lo, s10, v12
	v_add_co_ci_u32_e32 v13, vcc_lo, s11, v13, vcc_lo
	global_load_b32 v38, v[12:13], off glc
	s_waitcnt vmcnt(0)
	v_lshrrev_b32_e32 v33, 16, v38
	s_delay_alu instid0(VALU_DEP_1) | instskip(NEXT) | instid1(VALU_DEP_1)
	v_and_b32_e32 v34, 0xff, v33
	v_cmpx_eq_u16_e32 0, v34
	s_cbranch_execz .LBB24_60
; %bb.57:
	s_mov_b32 s5, 0
.LBB24_58:                              ; =>This Inner Loop Header: Depth=1
	global_load_b32 v38, v[12:13], off glc
	s_waitcnt vmcnt(0)
	v_lshrrev_b32_e32 v33, 16, v38
	s_delay_alu instid0(VALU_DEP_1) | instskip(NEXT) | instid1(VALU_DEP_1)
	v_and_b32_e32 v34, 0xff, v33
	v_cmp_ne_u16_e32 vcc_lo, 0, v34
	s_or_b32 s5, vcc_lo, s5
	s_delay_alu instid0(SALU_CYCLE_1)
	s_and_not1_b32 exec_lo, exec_lo, s5
	s_cbranch_execnz .LBB24_58
; %bb.59:
	s_or_b32 exec_lo, exec_lo, s5
.LBB24_60:
	s_delay_alu instid0(SALU_CYCLE_1)
	s_or_b32 exec_lo, exec_lo, s4
	v_cmp_ne_u32_e32 vcc_lo, 31, v14
	v_and_b32_e32 v36, 0xff, v33
	v_lshlrev_b32_e64 v35, v14, -1
	v_and_b32_e32 v13, 0xffff, v38
	v_cmp_gt_u32_e64 s4, 30, v14
	v_add_co_ci_u32_e32 v12, vcc_lo, 0, v14, vcc_lo
	v_cmp_eq_u16_e32 vcc_lo, 2, v36
	v_add_nc_u32_e32 v36, 1, v14
	s_delay_alu instid0(VALU_DEP_4) | instskip(SKIP_1) | instid1(VALU_DEP_1)
	v_cndmask_b32_e64 v37, 0, 1, s4
	v_and_or_b32 v39, vcc_lo, v35, 0x80000000
	v_ctz_i32_b32_e32 v42, v39
	s_delay_alu instid0(VALU_DEP_1)
	v_cmp_gt_u32_e32 vcc_lo, v36, v42
	v_lshlrev_b32_e32 v34, 2, v12
	ds_bpermute_b32 v12, v34, v13
	s_waitcnt lgkmcnt(0)
	v_max_i16 v12, v12, v38
	v_lshlrev_b32_e32 v37, 1, v37
	s_delay_alu instid0(VALU_DEP_2) | instskip(NEXT) | instid1(VALU_DEP_2)
	v_dual_cndmask_b32 v12, v12, v38 :: v_dual_and_b32 v39, 0xffff, v12
	v_add_lshl_u32 v37, v37, v14, 2
	s_delay_alu instid0(VALU_DEP_2)
	v_cndmask_b32_e32 v13, v39, v13, vcc_lo
	v_cmp_gt_u32_e32 vcc_lo, 28, v14
	ds_bpermute_b32 v39, v37, v13
	v_cndmask_b32_e64 v38, 0, 1, vcc_lo
	s_waitcnt lgkmcnt(0)
	v_max_i16 v40, v39, v12
	s_delay_alu instid0(VALU_DEP_2) | instskip(SKIP_1) | instid1(VALU_DEP_3)
	v_lshlrev_b32_e32 v39, 2, v38
	v_add_nc_u32_e32 v38, 2, v14
	v_and_b32_e32 v41, 0xffff, v40
	s_delay_alu instid0(VALU_DEP_3) | instskip(NEXT) | instid1(VALU_DEP_3)
	v_add_lshl_u32 v39, v39, v14, 2
	v_cmp_gt_u32_e32 vcc_lo, v38, v42
	s_delay_alu instid0(VALU_DEP_3)
	v_dual_cndmask_b32 v13, v41, v13 :: v_dual_cndmask_b32 v12, v40, v12
	v_cmp_gt_u32_e32 vcc_lo, 24, v14
	ds_bpermute_b32 v41, v39, v13
	v_cndmask_b32_e64 v40, 0, 1, vcc_lo
	s_waitcnt lgkmcnt(0)
	v_max_i16 v43, v41, v12
	s_delay_alu instid0(VALU_DEP_2) | instskip(SKIP_1) | instid1(VALU_DEP_3)
	v_lshlrev_b32_e32 v41, 3, v40
	v_add_nc_u32_e32 v40, 4, v14
	v_and_b32_e32 v44, 0xffff, v43
	s_delay_alu instid0(VALU_DEP_3) | instskip(NEXT) | instid1(VALU_DEP_3)
	v_add_lshl_u32 v41, v41, v14, 2
	v_cmp_gt_u32_e32 vcc_lo, v40, v42
	s_delay_alu instid0(VALU_DEP_3)
	v_dual_cndmask_b32 v13, v44, v13 :: v_dual_cndmask_b32 v12, v43, v12
	;; [unrolled: 14-line block ×3, first 2 shown]
	v_add_nc_u32_e32 v45, 16, v14
	ds_bpermute_b32 v13, v44, v13
	v_cmp_gt_u32_e32 vcc_lo, v45, v42
	s_waitcnt lgkmcnt(0)
	v_max_i16 v13, v13, v12
	s_delay_alu instid0(VALU_DEP_1)
	v_dual_cndmask_b32 v13, v13, v12 :: v_dual_mov_b32 v12, 0
	s_branch .LBB24_62
.LBB24_61:                              ;   in Loop: Header=BB24_62 Depth=1
	s_or_b32 exec_lo, exec_lo, s4
	v_and_b32_e32 v13, 0xffff, v46
	v_subrev_nc_u32_e32 v11, 32, v11
	ds_bpermute_b32 v14, v34, v13
	s_waitcnt lgkmcnt(0)
	v_max_i16 v14, v14, v46
	v_and_b32_e32 v47, 0xff, v33
	s_delay_alu instid0(VALU_DEP_2) | instskip(NEXT) | instid1(VALU_DEP_2)
	v_and_b32_e32 v48, 0xffff, v14
	v_cmp_eq_u16_e32 vcc_lo, 2, v47
	v_and_or_b32 v47, vcc_lo, v35, 0x80000000
	s_delay_alu instid0(VALU_DEP_1) | instskip(NEXT) | instid1(VALU_DEP_1)
	v_ctz_i32_b32_e32 v47, v47
	v_cmp_gt_u32_e32 vcc_lo, v36, v47
	v_dual_cndmask_b32 v14, v14, v46 :: v_dual_cndmask_b32 v13, v48, v13
	v_cmp_gt_u32_e32 vcc_lo, v38, v47
	ds_bpermute_b32 v48, v37, v13
	s_waitcnt lgkmcnt(0)
	v_max_i16 v46, v48, v14
	s_delay_alu instid0(VALU_DEP_1) | instskip(NEXT) | instid1(VALU_DEP_1)
	v_and_b32_e32 v48, 0xffff, v46
	v_dual_cndmask_b32 v14, v46, v14 :: v_dual_cndmask_b32 v13, v48, v13
	v_cmp_gt_u32_e32 vcc_lo, v40, v47
	ds_bpermute_b32 v48, v39, v13
	s_waitcnt lgkmcnt(0)
	v_max_i16 v46, v48, v14
	s_delay_alu instid0(VALU_DEP_1) | instskip(NEXT) | instid1(VALU_DEP_1)
	v_and_b32_e32 v48, 0xffff, v46
	;; [unrolled: 7-line block ×3, first 2 shown]
	v_dual_cndmask_b32 v14, v46, v14 :: v_dual_cndmask_b32 v13, v48, v13
	v_cmp_gt_u32_e32 vcc_lo, v45, v47
	ds_bpermute_b32 v13, v44, v13
	s_waitcnt lgkmcnt(0)
	v_max_i16 v13, v13, v14
	s_delay_alu instid0(VALU_DEP_1) | instskip(NEXT) | instid1(VALU_DEP_1)
	v_cndmask_b32_e32 v13, v13, v14, vcc_lo
	v_max_i16 v13, v13, v42
.LBB24_62:                              ; =>This Loop Header: Depth=1
                                        ;     Child Loop BB24_65 Depth 2
	v_and_b32_e32 v14, 0xff, v33
	s_delay_alu instid0(VALU_DEP_2) | instskip(NEXT) | instid1(VALU_DEP_2)
	v_mov_b32_e32 v42, v13
	v_cmp_ne_u16_e32 vcc_lo, 2, v14
	v_cndmask_b32_e64 v14, 0, 1, vcc_lo
	;;#ASMSTART
	;;#ASMEND
	s_delay_alu instid0(VALU_DEP_1)
	v_cmp_ne_u32_e32 vcc_lo, 0, v14
	s_cmp_lg_u32 vcc_lo, exec_lo
	s_cbranch_scc1 .LBB24_67
; %bb.63:                               ;   in Loop: Header=BB24_62 Depth=1
	v_lshlrev_b64 v[13:14], 2, v[11:12]
	s_mov_b32 s4, exec_lo
	s_delay_alu instid0(VALU_DEP_1) | instskip(NEXT) | instid1(VALU_DEP_2)
	v_add_co_u32 v13, vcc_lo, s10, v13
	v_add_co_ci_u32_e32 v14, vcc_lo, s11, v14, vcc_lo
	global_load_b32 v46, v[13:14], off glc
	s_waitcnt vmcnt(0)
	v_lshrrev_b32_e32 v33, 16, v46
	s_delay_alu instid0(VALU_DEP_1) | instskip(NEXT) | instid1(VALU_DEP_1)
	v_and_b32_e32 v47, 0xff, v33
	v_cmpx_eq_u16_e32 0, v47
	s_cbranch_execz .LBB24_61
; %bb.64:                               ;   in Loop: Header=BB24_62 Depth=1
	s_mov_b32 s5, 0
.LBB24_65:                              ;   Parent Loop BB24_62 Depth=1
                                        ; =>  This Inner Loop Header: Depth=2
	global_load_b32 v46, v[13:14], off glc
	s_waitcnt vmcnt(0)
	v_lshrrev_b32_e32 v33, 16, v46
	s_delay_alu instid0(VALU_DEP_1) | instskip(NEXT) | instid1(VALU_DEP_1)
	v_and_b32_e32 v47, 0xff, v33
	v_cmp_ne_u16_e32 vcc_lo, 0, v47
	s_or_b32 s5, vcc_lo, s5
	s_delay_alu instid0(SALU_CYCLE_1)
	s_and_not1_b32 exec_lo, exec_lo, s5
	s_cbranch_execnz .LBB24_65
; %bb.66:                               ;   in Loop: Header=BB24_62 Depth=1
	s_or_b32 exec_lo, exec_lo, s5
	s_branch .LBB24_61
.LBB24_67:                              ;   in Loop: Header=BB24_62 Depth=1
                                        ; implicit-def: $vgpr13
                                        ; implicit-def: $vgpr33
	s_cbranch_execz .LBB24_62
; %bb.68:
	s_and_saveexec_b32 s4, s3
	s_cbranch_execz .LBB24_70
; %bb.69:
	v_max_i16 v11, v42, v32
	s_add_i32 s18, s15, 32
	s_mov_b32 s19, 0
	v_mov_b32_e32 v12, 0
	s_lshl_b64 s[18:19], s[18:19], 2
	v_and_b32_e32 v11, 0xffff, v11
	s_add_u32 s18, s10, s18
	s_addc_u32 s19, s11, s19
	s_delay_alu instid0(VALU_DEP_1)
	v_or_b32_e32 v11, 0x20000, v11
	global_store_b32 v12, v11, s[18:19]
.LBB24_70:
	s_or_b32 exec_lo, exec_lo, s4
	s_delay_alu instid0(SALU_CYCLE_1)
	s_and_b32 exec_lo, exec_lo, s2
	s_cbranch_execz .LBB24_72
; %bb.71:
	v_mov_b32_e32 v11, 0
	ds_store_b16 v11, v42
.LBB24_72:
	s_or_b32 exec_lo, exec_lo, s6
	v_mov_b32_e32 v11, 0
	s_waitcnt lgkmcnt(0)
	s_waitcnt_vscnt null, 0x0
	s_barrier
	buffer_gl0_inv
	v_max_i16 v12, v31, v1
	ds_load_u16 v11, v11
	v_cndmask_b32_e64 v12, v12, v1, s2
	s_waitcnt lgkmcnt(0)
	s_delay_alu instid0(VALU_DEP_1) | instskip(NEXT) | instid1(VALU_DEP_1)
	v_max_i16 v12, v11, v12
	v_max_i16 v11, v12, v29
	s_delay_alu instid0(VALU_DEP_1) | instskip(NEXT) | instid1(VALU_DEP_1)
	v_max_i16 v13, v11, v2
	v_max_i16 v14, v13, v28
	;; [unrolled: 3-line block ×11, first 2 shown]
	s_load_b128 s[4:7], s[0:1], 0x38
	s_branch .LBB24_83
.LBB24_73:
                                        ; implicit-def: $vgpr12
                                        ; implicit-def: $vgpr11
                                        ; implicit-def: $vgpr13
                                        ; implicit-def: $vgpr14
                                        ; implicit-def: $vgpr31
                                        ; implicit-def: $vgpr32
                                        ; implicit-def: $vgpr33
                                        ; implicit-def: $vgpr34
                                        ; implicit-def: $vgpr35
                                        ; implicit-def: $vgpr36
                                        ; implicit-def: $vgpr37
                                        ; implicit-def: $vgpr38
                                        ; implicit-def: $vgpr39
                                        ; implicit-def: $vgpr40
                                        ; implicit-def: $vgpr41
                                        ; implicit-def: $vgpr42
                                        ; implicit-def: $vgpr43
                                        ; implicit-def: $vgpr44
                                        ; implicit-def: $vgpr45
                                        ; implicit-def: $vgpr46
                                        ; implicit-def: $vgpr47
                                        ; implicit-def: $vgpr48
	s_load_b128 s[4:7], s[0:1], 0x38
	s_cbranch_execz .LBB24_83
; %bb.74:
	s_load_b32 s2, s[0:1], 0x48
	v_cmp_eq_u32_e32 vcc_lo, 0, v0
	s_waitcnt lgkmcnt(0)
	s_bitcmp1_b32 s2, 0
	v_cmp_ne_u32_e64 s2, 0, v0
	s_cselect_b32 s3, -1, 0
	s_delay_alu instid0(SALU_CYCLE_1) | instskip(NEXT) | instid1(SALU_CYCLE_1)
	s_and_b32 s15, vcc_lo, s3
	s_and_saveexec_b32 s3, s15
	s_cbranch_execz .LBB24_76
; %bb.75:
	v_mov_b32_e32 v11, 0
	global_load_u16 v11, v11, s[4:5]
	s_waitcnt vmcnt(0)
	v_max_i16 v1, v11, v1
.LBB24_76:
	s_or_b32 exec_lo, exec_lo, s3
	s_delay_alu instid0(VALU_DEP_1) | instskip(SKIP_2) | instid1(VALU_DEP_2)
	v_max_i16 v11, v1, v29
	v_add_lshl_u32 v12, v30, v0, 1
	s_mov_b32 s4, exec_lo
	v_max3_i16 v11, v11, v2, v28
	s_delay_alu instid0(VALU_DEP_1) | instskip(NEXT) | instid1(VALU_DEP_1)
	v_max3_i16 v11, v11, v9, v27
	v_max3_i16 v11, v11, v10, v26
	s_delay_alu instid0(VALU_DEP_1) | instskip(NEXT) | instid1(VALU_DEP_1)
	v_max3_i16 v11, v11, v7, v25
	;; [unrolled: 3-line block ×4, first 2 shown]
	v_max3_i16 v11, v11, v4, v20
	s_delay_alu instid0(VALU_DEP_1)
	v_max3_i16 v11, v11, v18, v19
	ds_store_b16 v12, v11
	s_waitcnt lgkmcnt(0)
	s_barrier
	buffer_gl0_inv
	v_cmpx_gt_u32_e32 32, v0
	s_cbranch_execz .LBB24_78
; %bb.77:
	v_lshrrev_b32_e32 v12, 3, v0
	v_mbcnt_lo_u32_b32 v32, -1, 0
	s_delay_alu instid0(VALU_DEP_2) | instskip(NEXT) | instid1(VALU_DEP_2)
	v_and_b32_e32 v12, 6, v12
	v_and_b32_e32 v33, 15, v32
	v_add_nc_u32_e32 v34, -1, v32
	s_delay_alu instid0(VALU_DEP_3) | instskip(NEXT) | instid1(VALU_DEP_3)
	v_lshl_or_b32 v12, v0, 2, v12
	v_cmp_eq_u32_e64 s3, 0, v33
	ds_load_u16 v13, v12
	ds_load_u16 v14, v12 offset:2
	s_waitcnt lgkmcnt(0)
	v_max_i16 v30, v13, v14
	s_delay_alu instid0(VALU_DEP_1) | instskip(NEXT) | instid1(VALU_DEP_1)
	v_and_b32_e32 v31, 0xffff, v30
	v_mov_b32_dpp v31, v31 row_shr:1 row_mask:0xf bank_mask:0xf
	s_delay_alu instid0(VALU_DEP_1) | instskip(NEXT) | instid1(VALU_DEP_1)
	v_max_i16 v31, v31, v30
	v_cndmask_b32_e64 v30, v31, v30, s3
	v_cmp_lt_u32_e64 s3, 1, v33
	s_delay_alu instid0(VALU_DEP_2) | instskip(NEXT) | instid1(VALU_DEP_1)
	v_and_b32_e32 v31, 0xffff, v30
	v_mov_b32_dpp v31, v31 row_shr:2 row_mask:0xf bank_mask:0xf
	s_delay_alu instid0(VALU_DEP_1) | instskip(NEXT) | instid1(VALU_DEP_1)
	v_max_i16 v31, v31, v30
	v_cndmask_b32_e64 v30, v30, v31, s3
	v_cmp_lt_u32_e64 s3, 3, v33
	s_delay_alu instid0(VALU_DEP_2) | instskip(NEXT) | instid1(VALU_DEP_1)
	v_and_b32_e32 v31, 0xffff, v30
	v_mov_b32_dpp v31, v31 row_shr:4 row_mask:0xf bank_mask:0xf
	s_delay_alu instid0(VALU_DEP_1) | instskip(NEXT) | instid1(VALU_DEP_1)
	v_max_i16 v31, v31, v30
	v_cndmask_b32_e64 v30, v30, v31, s3
	v_cmp_lt_u32_e64 s3, 7, v33
	v_and_b32_e32 v33, 16, v32
	s_delay_alu instid0(VALU_DEP_3) | instskip(NEXT) | instid1(VALU_DEP_1)
	v_and_b32_e32 v31, 0xffff, v30
	v_mov_b32_dpp v31, v31 row_shr:8 row_mask:0xf bank_mask:0xf
	s_delay_alu instid0(VALU_DEP_1) | instskip(NEXT) | instid1(VALU_DEP_1)
	v_max_i16 v31, v31, v30
	v_cndmask_b32_e64 v30, v30, v31, s3
	v_cmp_eq_u32_e64 s3, 0, v33
	s_delay_alu instid0(VALU_DEP_2) | instskip(SKIP_3) | instid1(VALU_DEP_1)
	v_and_b32_e32 v31, 0xffff, v30
	ds_swizzle_b32 v31, v31 offset:swizzle(BROADCAST,32,15)
	s_waitcnt lgkmcnt(0)
	v_max_i16 v31, v31, v30
	v_cndmask_b32_e64 v30, v31, v30, s3
	v_cmp_gt_i32_e64 s3, 0, v34
	s_delay_alu instid0(VALU_DEP_2) | instskip(NEXT) | instid1(VALU_DEP_2)
	v_and_b32_e32 v30, 0xffff, v30
	v_cndmask_b32_e64 v31, v34, v32, s3
	s_delay_alu instid0(VALU_DEP_1) | instskip(SKIP_3) | instid1(VALU_DEP_1)
	v_lshlrev_b32_e32 v31, 2, v31
	ds_bpermute_b32 v30, v31, v30
	s_waitcnt lgkmcnt(0)
	v_max_i16 v13, v30, v13
	v_cndmask_b32_e32 v13, v13, v11, vcc_lo
	s_delay_alu instid0(VALU_DEP_1)
	v_max_i16 v14, v13, v14
	ds_store_b16 v12, v13
	ds_store_b16 v12, v14 offset:2
.LBB24_78:
	s_or_b32 exec_lo, exec_lo, s4
	s_waitcnt lgkmcnt(0)
	s_barrier
	buffer_gl0_inv
	s_and_saveexec_b32 s3, s2
	s_cbranch_execz .LBB24_80
; %bb.79:
	v_add_nc_u32_e32 v11, -1, v0
	s_delay_alu instid0(VALU_DEP_1) | instskip(NEXT) | instid1(VALU_DEP_1)
	v_lshrrev_b32_e32 v12, 5, v11
	v_add_lshl_u32 v11, v12, v11, 1
	ds_load_u16 v11, v11
.LBB24_80:
	s_or_b32 exec_lo, exec_lo, s3
	s_waitcnt lgkmcnt(0)
	v_max_i16 v12, v11, v1
	s_delay_alu instid0(VALU_DEP_1) | instskip(NEXT) | instid1(VALU_DEP_1)
	v_cndmask_b32_e32 v11, v12, v1, vcc_lo
	v_max_i16 v11, v11, v29
	s_delay_alu instid0(VALU_DEP_1) | instskip(NEXT) | instid1(VALU_DEP_1)
	v_max_i16 v13, v11, v2
	v_max_i16 v14, v13, v28
	s_delay_alu instid0(VALU_DEP_1) | instskip(NEXT) | instid1(VALU_DEP_1)
	v_max_i16 v31, v14, v9
	;; [unrolled: 3-line block ×9, first 2 shown]
	v_max_i16 v46, v45, v20
	s_delay_alu instid0(VALU_DEP_1)
	v_max_i16 v47, v46, v18
	s_and_saveexec_b32 s2, vcc_lo
	s_cbranch_execz .LBB24_82
; %bb.81:
	v_mov_b32_e32 v2, 0
	v_mov_b32_e32 v12, v1
	ds_load_u16 v3, v2 offset:128
	s_waitcnt lgkmcnt(0)
	v_or_b32_e32 v3, 0x20000, v3
	global_store_b32 v2, v3, s[10:11] offset:128
.LBB24_82:
	s_or_b32 exec_lo, exec_lo, s2
	s_delay_alu instid0(VALU_DEP_1)
	v_max_i16 v48, v47, v19
.LBB24_83:
	s_lshl_b64 s[2:3], s[12:13], 2
	v_perm_b32 v5, v14, v13, 0x5040100
	v_perm_b32 v6, v11, v12, 0x5040100
	;; [unrolled: 1-line block ×11, first 2 shown]
	v_lshlrev_b32_e32 v2, 2, v0
	s_add_u32 s2, s8, s2
	s_addc_u32 s3, s9, s3
	s_and_b32 vcc_lo, exec_lo, s17
	s_waitcnt lgkmcnt(0)
	s_mov_b32 s4, -1
	s_waitcnt_vscnt null, 0x0
	s_barrier
	buffer_gl0_inv
	s_cbranch_vccz .LBB24_85
; %bb.84:
	ds_store_2addr_b32 v17, v6, v5 offset1:1
	ds_store_2addr_b32 v17, v8, v7 offset0:2 offset1:3
	ds_store_2addr_b32 v17, v10, v9 offset0:4 offset1:5
	;; [unrolled: 1-line block ×4, first 2 shown]
	ds_store_b32 v17, v4 offset:40
	s_waitcnt lgkmcnt(0)
	s_barrier
	buffer_gl0_inv
	ds_load_i16 v13, v16
	ds_load_i16 v14, v16 offset:128
	ds_load_i16 v18, v16 offset:256
	;; [unrolled: 1-line block ×21, first 2 shown]
	s_waitcnt lgkmcnt(20)
	v_cvt_f32_i32_e32 v14, v14
	v_cvt_f32_i32_e32 v39, v13
	s_waitcnt lgkmcnt(19)
	v_cvt_f32_i32_e32 v13, v18
	s_waitcnt lgkmcnt(17)
	;; [unrolled: 2-line block ×3, first 2 shown]
	v_cvt_f32_i32_e32 v20, v22
	global_store_b32 v2, v14, s[2:3] offset:256
	v_cvt_f32_i32_e32 v14, v19
	v_cvt_f32_i32_e32 v19, v21
	v_add_co_u32 v37, s5, s2, v2
	s_waitcnt lgkmcnt(14)
	v_cvt_f32_i32_e32 v21, v23
	s_waitcnt lgkmcnt(13)
	v_cvt_f32_i32_e32 v22, v24
	;; [unrolled: 2-line block ×3, first 2 shown]
	s_clause 0x7
	global_store_b32 v2, v13, s[2:3] offset:512
	global_store_b32 v2, v14, s[2:3] offset:768
	;; [unrolled: 1-line block ×8, first 2 shown]
	s_waitcnt lgkmcnt(11)
	v_cvt_f32_i32_e32 v13, v26
	s_waitcnt lgkmcnt(10)
	v_cvt_f32_i32_e32 v14, v27
	v_add_co_ci_u32_e64 v38, null, s3, 0, s5
	s_waitcnt lgkmcnt(9)
	v_cvt_f32_i32_e32 v18, v28
	s_waitcnt lgkmcnt(8)
	v_cvt_f32_i32_e32 v19, v29
	;; [unrolled: 2-line block ×4, first 2 shown]
	s_clause 0x5
	global_store_b32 v2, v13, s[2:3] offset:2560
	global_store_b32 v2, v14, s[2:3] offset:2816
	;; [unrolled: 1-line block ×6, first 2 shown]
	v_add_co_u32 v13, vcc_lo, 0x1000, v37
	s_waitcnt lgkmcnt(5)
	v_cvt_f32_i32_e32 v18, v32
	v_add_co_ci_u32_e32 v14, vcc_lo, 0, v38, vcc_lo
	s_waitcnt lgkmcnt(4)
	v_cvt_f32_i32_e32 v19, v33
	s_waitcnt lgkmcnt(3)
	v_cvt_f32_i32_e32 v20, v34
	;; [unrolled: 2-line block ×4, first 2 shown]
	s_mov_b32 s4, 0
	s_waitcnt lgkmcnt(0)
	v_cvt_f32_i32_e32 v16, v16
	s_clause 0x6
	global_store_b32 v[13:14], v18, off
	global_store_b32 v[13:14], v19, off offset:256
	global_store_b32 v[13:14], v20, off offset:512
	;; [unrolled: 1-line block ×4, first 2 shown]
	global_store_b32 v2, v39, s[2:3]
	global_store_b32 v[13:14], v16, off offset:1280
.LBB24_85:
	s_and_not1_b32 vcc_lo, exec_lo, s4
	s_cbranch_vccnz .LBB24_212
; %bb.86:
	v_mad_i32_i24 v26, 0xffffffd6, v0, v17
	ds_store_2addr_b32 v17, v6, v5 offset1:1
	ds_store_2addr_b32 v17, v8, v7 offset0:2 offset1:3
	ds_store_2addr_b32 v17, v10, v9 offset0:4 offset1:5
	;; [unrolled: 1-line block ×4, first 2 shown]
	ds_store_b32 v17, v4 offset:40
	s_waitcnt lgkmcnt(0)
	s_waitcnt_vscnt null, 0x0
	s_barrier
	buffer_gl0_inv
	ds_load_u16 v5, v26
	ds_load_u16 v4, v26 offset:128
	ds_load_u16 v7, v26 offset:256
	;; [unrolled: 1-line block ×21, first 2 shown]
	v_add_co_u32 v2, s2, s2, v2
	v_mov_b32_e32 v1, 0
	v_add_co_ci_u32_e64 v3, null, s3, 0, s2
	s_mov_b32 s2, exec_lo
	v_cmpx_gt_u32_e64 s14, v0
	s_cbranch_execz .LBB24_88
; %bb.87:
	s_waitcnt lgkmcnt(21)
	v_bfe_i32 v27, v5, 0, 16
	s_delay_alu instid0(VALU_DEP_1)
	v_cvt_f32_i32_e32 v27, v27
	global_store_b32 v[2:3], v27, off
.LBB24_88:
	s_or_b32 exec_lo, exec_lo, s2
	v_or_b32_e32 v27, 64, v0
	s_mov_b32 s2, exec_lo
	s_delay_alu instid0(VALU_DEP_1)
	v_cmpx_gt_u32_e64 s14, v27
	s_cbranch_execz .LBB24_90
; %bb.89:
	s_waitcnt lgkmcnt(20)
	v_bfe_i32 v27, v4, 0, 16
	s_delay_alu instid0(VALU_DEP_1)
	v_cvt_f32_i32_e32 v27, v27
	global_store_b32 v[2:3], v27, off offset:256
.LBB24_90:
	s_or_b32 exec_lo, exec_lo, s2
	v_or_b32_e32 v27, 0x80, v0
	s_mov_b32 s2, exec_lo
	s_delay_alu instid0(VALU_DEP_1)
	v_cmpx_gt_u32_e64 s14, v27
	s_cbranch_execz .LBB24_92
; %bb.91:
	s_waitcnt lgkmcnt(19)
	v_bfe_i32 v27, v7, 0, 16
	s_delay_alu instid0(VALU_DEP_1)
	v_cvt_f32_i32_e32 v27, v27
	global_store_b32 v[2:3], v27, off offset:512
.LBB24_92:
	;; [unrolled: 13-line block ×15, first 2 shown]
	s_or_b32 exec_lo, exec_lo, s2
	v_or_b32_e32 v27, 0x400, v0
	s_mov_b32 s2, exec_lo
	s_delay_alu instid0(VALU_DEP_1)
	v_cmpx_gt_u32_e64 s14, v27
	s_cbranch_execz .LBB24_120
; %bb.119:
	s_waitcnt lgkmcnt(5)
	v_bfe_i32 v27, v22, 0, 16
	s_delay_alu instid0(VALU_DEP_1)
	v_cvt_f32_i32_e32 v29, v27
	v_add_co_u32 v27, vcc_lo, 0x1000, v2
	v_add_co_ci_u32_e32 v28, vcc_lo, 0, v3, vcc_lo
	global_store_b32 v[27:28], v29, off
.LBB24_120:
	s_or_b32 exec_lo, exec_lo, s2
	v_or_b32_e32 v27, 0x440, v0
	s_mov_b32 s2, exec_lo
	s_delay_alu instid0(VALU_DEP_1)
	v_cmpx_gt_u32_e64 s14, v27
	s_cbranch_execz .LBB24_122
; %bb.121:
	s_waitcnt lgkmcnt(4)
	v_bfe_i32 v27, v19, 0, 16
	s_delay_alu instid0(VALU_DEP_1)
	v_cvt_f32_i32_e32 v29, v27
	v_add_co_u32 v27, vcc_lo, 0x1000, v2
	v_add_co_ci_u32_e32 v28, vcc_lo, 0, v3, vcc_lo
	global_store_b32 v[27:28], v29, off offset:256
.LBB24_122:
	s_or_b32 exec_lo, exec_lo, s2
	v_or_b32_e32 v27, 0x480, v0
	s_mov_b32 s2, exec_lo
	s_delay_alu instid0(VALU_DEP_1)
	v_cmpx_gt_u32_e64 s14, v27
	s_cbranch_execz .LBB24_124
; %bb.123:
	s_waitcnt lgkmcnt(3)
	v_bfe_i32 v27, v24, 0, 16
	s_delay_alu instid0(VALU_DEP_1)
	v_cvt_f32_i32_e32 v29, v27
	v_add_co_u32 v27, vcc_lo, 0x1000, v2
	v_add_co_ci_u32_e32 v28, vcc_lo, 0, v3, vcc_lo
	global_store_b32 v[27:28], v29, off offset:512
.LBB24_124:
	;; [unrolled: 15-line block ×4, first 2 shown]
	s_or_b32 exec_lo, exec_lo, s2
	v_or_b32_e32 v27, 0x540, v0
	s_mov_b32 s2, exec_lo
	s_delay_alu instid0(VALU_DEP_1)
	v_cmpx_gt_u32_e64 s14, v27
	s_cbranch_execz .LBB24_130
; %bb.129:
	s_waitcnt lgkmcnt(0)
	v_bfe_i32 v27, v26, 0, 16
	v_add_co_u32 v2, vcc_lo, 0x1000, v2
	v_add_co_ci_u32_e32 v3, vcc_lo, 0, v3, vcc_lo
	s_delay_alu instid0(VALU_DEP_3)
	v_cvt_f32_i32_e32 v27, v27
	global_store_b32 v[2:3], v27, off offset:1280
.LBB24_130:
	s_or_b32 exec_lo, exec_lo, s2
	s_load_b32 s0, s[0:1], 0x48
	s_waitcnt lgkmcnt(0)
	s_bfe_u32 s0, s0, 0x10008
	s_delay_alu instid0(SALU_CYCLE_1)
	s_cmp_eq_u32 s0, 0
	s_cbranch_scc1 .LBB24_212
; %bb.131:
	s_add_u32 s0, s14, -1
	s_addc_u32 s1, s16, -1
	s_add_u32 s2, 0, 0x2e8b0a00
	s_addc_u32 s3, 0, 42
	s_mul_hi_u32 s5, s2, 0xffffffea
	s_add_i32 s3, s3, 0xba2e890
	s_sub_i32 s5, s5, s2
	s_mul_i32 s8, s3, 0xffffffea
	s_mul_i32 s4, s2, 0xffffffea
	s_add_i32 s5, s5, s8
	s_mul_hi_u32 s9, s3, s4
	s_mul_i32 s8, s3, s4
	s_mul_i32 s10, s2, s5
	s_mul_hi_u32 s4, s2, s4
	s_mul_hi_u32 s11, s2, s5
	s_add_u32 s4, s4, s10
	s_addc_u32 s10, 0, s11
	s_mul_hi_u32 s11, s3, s5
	s_add_u32 s4, s4, s8
	s_addc_u32 s4, s10, s9
	s_mul_i32 s5, s3, s5
	s_addc_u32 s8, s11, 0
	s_add_u32 s4, s4, s5
	s_delay_alu instid0(SALU_CYCLE_1) | instskip(SKIP_2) | instid1(VALU_DEP_1)
	v_add_co_u32 v2, s2, s2, s4
	s_addc_u32 s4, 0, s8
	s_cmp_lg_u32 s2, 0
	v_readfirstlane_b32 s2, v2
	s_addc_u32 s3, s3, s4
	s_delay_alu instid0(SALU_CYCLE_1) | instskip(SKIP_1) | instid1(VALU_DEP_1)
	s_mul_i32 s4, s0, s3
	s_mul_hi_u32 s8, s0, s3
	s_mul_hi_u32 s5, s0, s2
	s_mul_i32 s9, s1, s2
	s_add_u32 s4, s5, s4
	s_addc_u32 s5, 0, s8
	s_mul_hi_u32 s2, s1, s2
	s_mul_hi_u32 s8, s1, s3
	s_add_u32 s4, s4, s9
	s_addc_u32 s2, s5, s2
	s_mul_i32 s3, s1, s3
	s_addc_u32 s4, s8, 0
	s_add_u32 s2, s2, s3
	s_addc_u32 s3, 0, s4
	s_mul_i32 s5, s2, 22
	s_add_u32 s4, s2, 1
	v_sub_co_u32 v2, s5, s0, s5
	s_addc_u32 s8, s3, 0
	s_mul_i32 s10, s3, 22
	s_mul_hi_u32 s12, s2, 22
	s_delay_alu instid0(VALU_DEP_1)
	v_sub_co_u32 v3, s11, v2, 22
	s_add_u32 s9, s2, 2
	s_addc_u32 s13, s3, 0
	s_add_i32 s12, s12, s10
	s_cmp_lg_u32 s5, 0
	v_readfirstlane_b32 s5, v3
	s_subb_u32 s10, s1, s12
	s_cmp_lg_u32 s11, 0
	s_subb_u32 s11, s10, 0
	s_delay_alu instid0(VALU_DEP_1) | instskip(SKIP_4) | instid1(SALU_CYCLE_1)
	s_cmp_gt_u32 s5, 21
	s_cselect_b32 s5, -1, 0
	s_cmp_eq_u32 s11, 0
	v_readfirstlane_b32 s11, v2
	s_cselect_b32 s5, s5, -1
	s_cmp_lg_u32 s5, 0
	s_cselect_b32 s4, s9, s4
	s_cselect_b32 s5, s13, s8
	s_cmp_gt_u32 s11, 21
	s_cselect_b32 s8, -1, 0
	s_cmp_eq_u32 s10, 0
	s_cselect_b32 s8, s8, -1
	s_delay_alu instid0(SALU_CYCLE_1) | instskip(SKIP_2) | instid1(SALU_CYCLE_1)
	s_cmp_lg_u32 s8, 0
	s_cselect_b32 s3, s5, s3
	s_cselect_b32 s2, s4, s2
	v_cmp_eq_u64_e32 vcc_lo, s[2:3], v[0:1]
	s_and_saveexec_b32 s2, vcc_lo
	s_cbranch_execz .LBB24_212
; %bb.132:
	v_mul_hi_u32_u24_e32 v1, 22, v0
	v_sub_co_u32 v0, vcc_lo, s0, v15
	s_mov_b32 s0, 0
	s_mov_b32 s2, 0
	s_delay_alu instid0(VALU_DEP_2) | instskip(SKIP_1) | instid1(VALU_DEP_1)
	v_sub_co_ci_u32_e32 v1, vcc_lo, s1, v1, vcc_lo
	s_mov_b32 s1, exec_lo
	v_cmpx_lt_i64_e32 10, v[0:1]
	s_xor_b32 s1, exec_lo, s1
	s_cbranch_execnz .LBB24_136
; %bb.133:
	s_or_saveexec_b32 s1, s1
	s_mov_b32 s3, 0
	s_xor_b32 exec_lo, exec_lo, s1
	s_cbranch_execnz .LBB24_177
.LBB24_134:
	s_or_b32 exec_lo, exec_lo, s1
	s_and_saveexec_b32 s1, s2
	s_cbranch_execnz .LBB24_188
.LBB24_135:
	s_or_b32 exec_lo, exec_lo, s1
	s_and_saveexec_b32 s1, s0
	s_cbranch_execnz .LBB24_189
	s_branch .LBB24_193
.LBB24_136:
	s_mov_b32 s3, 0
	s_mov_b32 s2, exec_lo
	v_cmpx_lt_i64_e32 15, v[0:1]
	s_xor_b32 s2, exec_lo, s2
	s_cbranch_execz .LBB24_158
; %bb.137:
	s_mov_b32 s4, exec_lo
                                        ; implicit-def: $vgpr12
	v_cmpx_lt_i64_e32 18, v[0:1]
	s_xor_b32 s4, exec_lo, s4
	s_cbranch_execz .LBB24_147
; %bb.138:
	s_mov_b32 s5, 0
	s_mov_b32 s3, exec_lo
                                        ; implicit-def: $vgpr12
	v_cmpx_lt_i64_e32 19, v[0:1]
	s_xor_b32 s3, exec_lo, s3
	s_cbranch_execz .LBB24_144
; %bb.139:
	s_mov_b32 s5, exec_lo
	v_cmpx_lt_i64_e32 20, v[0:1]
	s_xor_b32 s5, exec_lo, s5
	s_cbranch_execz .LBB24_141
; %bb.140:
	v_mov_b32_e32 v2, 0
                                        ; implicit-def: $vgpr20
	global_store_b16 v2, v26, s[6:7]
.LBB24_141:
	s_or_saveexec_b32 s5, s5
	s_mov_b32 s8, 0
	s_xor_b32 exec_lo, exec_lo, s5
; %bb.142:
	s_delay_alu instid0(SALU_CYCLE_1)
	s_mov_b32 s8, exec_lo
; %bb.143:
	s_or_b32 exec_lo, exec_lo, s5
	v_mov_b32_e32 v12, v20
	s_and_b32 s5, s8, exec_lo
                                        ; implicit-def: $vgpr25
.LBB24_144:
	s_and_not1_saveexec_b32 s3, s3
	s_cbranch_execz .LBB24_146
; %bb.145:
	v_mov_b32_e32 v2, 0
                                        ; implicit-def: $vgpr12
	global_store_b16 v2, v25, s[6:7]
.LBB24_146:
	s_or_b32 exec_lo, exec_lo, s3
	s_delay_alu instid0(SALU_CYCLE_1)
	s_and_b32 s3, s5, exec_lo
                                        ; implicit-def: $vgpr22
                                        ; implicit-def: $vgpr19
                                        ; implicit-def: $vgpr24
.LBB24_147:
	s_and_not1_saveexec_b32 s4, s4
	s_cbranch_execz .LBB24_157
; %bb.148:
	s_mov_b32 s5, exec_lo
	v_cmpx_lt_i64_e32 16, v[0:1]
	s_xor_b32 s5, exec_lo, s5
	s_cbranch_execz .LBB24_154
; %bb.149:
	s_mov_b32 s8, exec_lo
	v_cmpx_lt_i64_e32 17, v[0:1]
	s_xor_b32 s8, exec_lo, s8
	s_cbranch_execz .LBB24_151
; %bb.150:
	v_mov_b32_e32 v2, 0
                                        ; implicit-def: $vgpr19
	global_store_b16 v2, v24, s[6:7]
.LBB24_151:
	s_and_not1_saveexec_b32 s8, s8
	s_cbranch_execz .LBB24_153
; %bb.152:
	v_mov_b32_e32 v2, 0
	global_store_b16 v2, v19, s[6:7]
.LBB24_153:
	s_or_b32 exec_lo, exec_lo, s8
                                        ; implicit-def: $vgpr22
.LBB24_154:
	s_and_not1_saveexec_b32 s5, s5
	s_cbranch_execz .LBB24_156
; %bb.155:
	v_mov_b32_e32 v2, 0
	global_store_b16 v2, v22, s[6:7]
.LBB24_156:
	s_or_b32 exec_lo, exec_lo, s5
                                        ; implicit-def: $vgpr12
.LBB24_157:
	s_delay_alu instid0(SALU_CYCLE_1) | instskip(NEXT) | instid1(SALU_CYCLE_1)
	s_or_b32 exec_lo, exec_lo, s4
	s_and_b32 s3, s3, exec_lo
                                        ; implicit-def: $vgpr21
                                        ; implicit-def: $vgpr18
                                        ; implicit-def: $vgpr17
                                        ; implicit-def: $vgpr23
.LBB24_158:
	s_and_not1_saveexec_b32 s2, s2
	s_cbranch_execz .LBB24_176
; %bb.159:
	s_mov_b32 s4, exec_lo
	v_cmpx_lt_i64_e32 12, v[0:1]
	s_xor_b32 s4, exec_lo, s4
	s_cbranch_execz .LBB24_169
; %bb.160:
	s_mov_b32 s5, exec_lo
	v_cmpx_lt_i64_e32 13, v[0:1]
	s_xor_b32 s5, exec_lo, s5
	;; [unrolled: 5-line block ×3, first 2 shown]
	s_cbranch_execz .LBB24_163
; %bb.162:
	v_mov_b32_e32 v2, 0
                                        ; implicit-def: $vgpr17
	global_store_b16 v2, v23, s[6:7]
.LBB24_163:
	s_and_not1_saveexec_b32 s8, s8
	s_cbranch_execz .LBB24_165
; %bb.164:
	v_mov_b32_e32 v2, 0
	global_store_b16 v2, v17, s[6:7]
.LBB24_165:
	s_or_b32 exec_lo, exec_lo, s8
                                        ; implicit-def: $vgpr21
.LBB24_166:
	s_and_not1_saveexec_b32 s5, s5
	s_cbranch_execz .LBB24_168
; %bb.167:
	v_mov_b32_e32 v2, 0
	global_store_b16 v2, v21, s[6:7]
.LBB24_168:
	s_or_b32 exec_lo, exec_lo, s5
                                        ; implicit-def: $vgpr12
                                        ; implicit-def: $vgpr18
.LBB24_169:
	s_or_saveexec_b32 s4, s4
	s_mov_b32 s5, s3
	s_xor_b32 exec_lo, exec_lo, s4
	s_cbranch_execz .LBB24_175
; %bb.170:
	s_mov_b32 s5, exec_lo
	v_cmpx_lt_i64_e32 11, v[0:1]
	s_xor_b32 s5, exec_lo, s5
	s_cbranch_execz .LBB24_172
; %bb.171:
	v_mov_b32_e32 v2, 0
                                        ; implicit-def: $vgpr12
	global_store_b16 v2, v18, s[6:7]
.LBB24_172:
	s_or_saveexec_b32 s5, s5
	s_mov_b32 s8, s3
	s_xor_b32 exec_lo, exec_lo, s5
; %bb.173:
	s_delay_alu instid0(SALU_CYCLE_1)
	s_or_b32 s8, s3, exec_lo
; %bb.174:
	s_or_b32 exec_lo, exec_lo, s5
	s_delay_alu instid0(SALU_CYCLE_1) | instskip(SKIP_1) | instid1(SALU_CYCLE_1)
	s_and_not1_b32 s5, s3, exec_lo
	s_and_b32 s8, s8, exec_lo
	s_or_b32 s5, s5, s8
.LBB24_175:
	s_or_b32 exec_lo, exec_lo, s4
	s_delay_alu instid0(SALU_CYCLE_1) | instskip(SKIP_1) | instid1(SALU_CYCLE_1)
	s_and_not1_b32 s3, s3, exec_lo
	s_and_b32 s4, s5, exec_lo
	s_or_b32 s3, s3, s4
.LBB24_176:
	s_or_b32 exec_lo, exec_lo, s2
	s_delay_alu instid0(SALU_CYCLE_1)
	s_and_b32 s2, s3, exec_lo
                                        ; implicit-def: $vgpr14
                                        ; implicit-def: $vgpr16
                                        ; implicit-def: $vgpr13
	s_or_saveexec_b32 s1, s1
	s_mov_b32 s3, 0
	s_xor_b32 exec_lo, exec_lo, s1
	s_cbranch_execz .LBB24_134
.LBB24_177:
	s_mov_b32 s4, 0
	s_mov_b32 s3, -1
	s_mov_b32 s5, s2
	s_mov_b32 s0, exec_lo
                                        ; implicit-def: $vgpr12
	v_cmpx_lt_i64_e32 5, v[0:1]
	s_cbranch_execz .LBB24_187
; %bb.178:
	s_mov_b32 s4, -1
	s_mov_b32 s5, s2
	s_mov_b32 s3, exec_lo
	v_cmpx_lt_i64_e32 7, v[0:1]
	s_cbranch_execz .LBB24_186
; %bb.179:
	s_mov_b32 s4, exec_lo
	v_cmpx_lt_i64_e32 8, v[0:1]
	s_cbranch_execz .LBB24_185
; %bb.180:
	s_mov_b32 s5, exec_lo
	v_cmpx_lt_i64_e32 9, v[0:1]
	s_xor_b32 s5, exec_lo, s5
; %bb.181:
                                        ; implicit-def: $vgpr16
; %bb.182:
	s_delay_alu instid0(SALU_CYCLE_1)
	s_and_not1_saveexec_b32 s5, s5
; %bb.183:
	v_mov_b32_e32 v13, v16
; %bb.184:
	s_or_b32 exec_lo, exec_lo, s5
	s_delay_alu instid0(VALU_DEP_1)
	v_mov_b32_e32 v14, v13
.LBB24_185:
	s_or_b32 exec_lo, exec_lo, s4
	s_delay_alu instid0(SALU_CYCLE_1)
	s_xor_b32 s4, exec_lo, -1
	s_or_b32 s5, s2, exec_lo
.LBB24_186:
	s_or_b32 exec_lo, exec_lo, s3
	v_mov_b32_e32 v12, v14
	s_and_not1_b32 s8, s2, exec_lo
	s_and_b32 s5, s5, exec_lo
	s_xor_b32 s3, exec_lo, -1
	s_and_b32 s4, s4, exec_lo
	s_or_b32 s5, s8, s5
.LBB24_187:
	s_or_b32 exec_lo, exec_lo, s0
	s_delay_alu instid0(SALU_CYCLE_1)
	s_and_not1_b32 s2, s2, exec_lo
	s_and_b32 s5, s5, exec_lo
	s_and_b32 s3, s3, exec_lo
	;; [unrolled: 1-line block ×3, first 2 shown]
	s_or_b32 s2, s2, s5
	s_or_b32 exec_lo, exec_lo, s1
	s_and_saveexec_b32 s1, s2
	s_cbranch_execz .LBB24_135
.LBB24_188:
	v_mov_b32_e32 v2, 0
	global_store_b16 v2, v12, s[6:7]
	s_or_b32 exec_lo, exec_lo, s1
	s_and_saveexec_b32 s1, s0
	s_cbranch_execz .LBB24_193
.LBB24_189:
	s_mov_b32 s0, exec_lo
	v_cmpx_lt_i64_e32 6, v[0:1]
	s_xor_b32 s0, exec_lo, s0
	s_cbranch_execz .LBB24_191
; %bb.190:
	v_mov_b32_e32 v2, 0
                                        ; implicit-def: $vgpr10
	global_store_b16 v2, v11, s[6:7]
.LBB24_191:
	s_and_not1_saveexec_b32 s0, s0
	s_cbranch_execz .LBB24_193
; %bb.192:
	v_mov_b32_e32 v2, 0
	global_store_b16 v2, v10, s[6:7]
.LBB24_193:
	s_or_b32 exec_lo, exec_lo, s1
	s_delay_alu instid0(SALU_CYCLE_1)
	s_and_b32 exec_lo, exec_lo, s3
	s_cbranch_execz .LBB24_212
; %bb.194:
	s_mov_b32 s0, exec_lo
	v_cmpx_lt_i64_e32 2, v[0:1]
	s_xor_b32 s0, exec_lo, s0
	s_cbranch_execz .LBB24_204
; %bb.195:
	s_mov_b32 s1, exec_lo
	v_cmpx_lt_i64_e32 3, v[0:1]
	s_xor_b32 s1, exec_lo, s1
	;; [unrolled: 5-line block ×3, first 2 shown]
	s_cbranch_execz .LBB24_198
; %bb.197:
	v_mov_b32_e32 v0, 0
                                        ; implicit-def: $vgpr6
	global_store_b16 v0, v9, s[6:7]
.LBB24_198:
	s_and_not1_saveexec_b32 s2, s2
	s_cbranch_execz .LBB24_200
; %bb.199:
	v_mov_b32_e32 v0, 0
	global_store_b16 v0, v6, s[6:7]
.LBB24_200:
	s_or_b32 exec_lo, exec_lo, s2
                                        ; implicit-def: $vgpr8
.LBB24_201:
	s_and_not1_saveexec_b32 s1, s1
	s_cbranch_execz .LBB24_203
; %bb.202:
	v_mov_b32_e32 v0, 0
	global_store_b16 v0, v8, s[6:7]
.LBB24_203:
	s_or_b32 exec_lo, exec_lo, s1
                                        ; implicit-def: $vgpr0_vgpr1
                                        ; implicit-def: $vgpr7
                                        ; implicit-def: $vgpr4
                                        ; implicit-def: $vgpr5
.LBB24_204:
	s_and_not1_saveexec_b32 s0, s0
	s_cbranch_execz .LBB24_212
; %bb.205:
	s_mov_b32 s0, exec_lo
	v_cmpx_lt_i64_e32 1, v[0:1]
	s_xor_b32 s0, exec_lo, s0
	s_cbranch_execz .LBB24_207
; %bb.206:
	v_mov_b32_e32 v0, 0
                                        ; implicit-def: $vgpr4
                                        ; implicit-def: $vgpr5
	global_store_b16 v0, v7, s[6:7]
                                        ; implicit-def: $vgpr0_vgpr1
.LBB24_207:
	s_and_not1_saveexec_b32 s0, s0
	s_cbranch_execz .LBB24_212
; %bb.208:
	s_mov_b32 s0, exec_lo
	v_cmpx_ne_u64_e32 1, v[0:1]
	s_xor_b32 s0, exec_lo, s0
	s_cbranch_execz .LBB24_210
; %bb.209:
	v_mov_b32_e32 v0, 0
                                        ; implicit-def: $vgpr4
	global_store_b16 v0, v5, s[6:7]
.LBB24_210:
	s_and_not1_saveexec_b32 s0, s0
	s_cbranch_execz .LBB24_212
; %bb.211:
	v_mov_b32_e32 v0, 0
	global_store_b16 v0, v4, s[6:7]
.LBB24_212:
	s_nop 0
	s_sendmsg sendmsg(MSG_DEALLOC_VGPRS)
	s_endpgm
	.section	.rodata,"a",@progbits
	.p2align	6, 0x0
	.amdhsa_kernel _ZN7rocprim6detail20lookback_scan_kernelILNS0_25lookback_scan_determinismE0ELb0ENS0_19wrapped_scan_configINS_14default_configEsEEN6hipcub22TransformInputIteratorIsNS6_6CastOpIsEEPslEEPfNS6_3MaxEssNS0_19lookback_scan_stateIsLb0ELb1EEEEEvT2_T3_mT5_T4_T7_jPT6_SM_bb
		.amdhsa_group_segment_fixed_size 2816
		.amdhsa_private_segment_fixed_size 0
		.amdhsa_kernarg_size 76
		.amdhsa_user_sgpr_count 15
		.amdhsa_user_sgpr_dispatch_ptr 0
		.amdhsa_user_sgpr_queue_ptr 0
		.amdhsa_user_sgpr_kernarg_segment_ptr 1
		.amdhsa_user_sgpr_dispatch_id 0
		.amdhsa_user_sgpr_private_segment_size 0
		.amdhsa_wavefront_size32 1
		.amdhsa_uses_dynamic_stack 0
		.amdhsa_enable_private_segment 0
		.amdhsa_system_sgpr_workgroup_id_x 1
		.amdhsa_system_sgpr_workgroup_id_y 0
		.amdhsa_system_sgpr_workgroup_id_z 0
		.amdhsa_system_sgpr_workgroup_info 0
		.amdhsa_system_vgpr_workitem_id 0
		.amdhsa_next_free_vgpr 49
		.amdhsa_next_free_sgpr 20
		.amdhsa_reserve_vcc 1
		.amdhsa_float_round_mode_32 0
		.amdhsa_float_round_mode_16_64 0
		.amdhsa_float_denorm_mode_32 3
		.amdhsa_float_denorm_mode_16_64 3
		.amdhsa_dx10_clamp 1
		.amdhsa_ieee_mode 1
		.amdhsa_fp16_overflow 0
		.amdhsa_workgroup_processor_mode 1
		.amdhsa_memory_ordered 1
		.amdhsa_forward_progress 0
		.amdhsa_shared_vgpr_count 0
		.amdhsa_exception_fp_ieee_invalid_op 0
		.amdhsa_exception_fp_denorm_src 0
		.amdhsa_exception_fp_ieee_div_zero 0
		.amdhsa_exception_fp_ieee_overflow 0
		.amdhsa_exception_fp_ieee_underflow 0
		.amdhsa_exception_fp_ieee_inexact 0
		.amdhsa_exception_int_div_zero 0
	.end_amdhsa_kernel
	.section	.text._ZN7rocprim6detail20lookback_scan_kernelILNS0_25lookback_scan_determinismE0ELb0ENS0_19wrapped_scan_configINS_14default_configEsEEN6hipcub22TransformInputIteratorIsNS6_6CastOpIsEEPslEEPfNS6_3MaxEssNS0_19lookback_scan_stateIsLb0ELb1EEEEEvT2_T3_mT5_T4_T7_jPT6_SM_bb,"axG",@progbits,_ZN7rocprim6detail20lookback_scan_kernelILNS0_25lookback_scan_determinismE0ELb0ENS0_19wrapped_scan_configINS_14default_configEsEEN6hipcub22TransformInputIteratorIsNS6_6CastOpIsEEPslEEPfNS6_3MaxEssNS0_19lookback_scan_stateIsLb0ELb1EEEEEvT2_T3_mT5_T4_T7_jPT6_SM_bb,comdat
.Lfunc_end24:
	.size	_ZN7rocprim6detail20lookback_scan_kernelILNS0_25lookback_scan_determinismE0ELb0ENS0_19wrapped_scan_configINS_14default_configEsEEN6hipcub22TransformInputIteratorIsNS6_6CastOpIsEEPslEEPfNS6_3MaxEssNS0_19lookback_scan_stateIsLb0ELb1EEEEEvT2_T3_mT5_T4_T7_jPT6_SM_bb, .Lfunc_end24-_ZN7rocprim6detail20lookback_scan_kernelILNS0_25lookback_scan_determinismE0ELb0ENS0_19wrapped_scan_configINS_14default_configEsEEN6hipcub22TransformInputIteratorIsNS6_6CastOpIsEEPslEEPfNS6_3MaxEssNS0_19lookback_scan_stateIsLb0ELb1EEEEEvT2_T3_mT5_T4_T7_jPT6_SM_bb
                                        ; -- End function
	.section	.AMDGPU.csdata,"",@progbits
; Kernel info:
; codeLenInByte = 8864
; NumSgprs: 22
; NumVgprs: 49
; ScratchSize: 0
; MemoryBound: 0
; FloatMode: 240
; IeeeMode: 1
; LDSByteSize: 2816 bytes/workgroup (compile time only)
; SGPRBlocks: 2
; VGPRBlocks: 6
; NumSGPRsForWavesPerEU: 22
; NumVGPRsForWavesPerEU: 49
; Occupancy: 16
; WaveLimiterHint : 1
; COMPUTE_PGM_RSRC2:SCRATCH_EN: 0
; COMPUTE_PGM_RSRC2:USER_SGPR: 15
; COMPUTE_PGM_RSRC2:TRAP_HANDLER: 0
; COMPUTE_PGM_RSRC2:TGID_X_EN: 1
; COMPUTE_PGM_RSRC2:TGID_Y_EN: 0
; COMPUTE_PGM_RSRC2:TGID_Z_EN: 0
; COMPUTE_PGM_RSRC2:TIDIG_COMP_CNT: 0
	.section	.text._ZN7rocprim6detail16transform_kernelINS0_24wrapped_transform_configINS_14default_configEsEEsPsS5_NS_8identityIsEEEEvT1_mT2_T3_,"axG",@progbits,_ZN7rocprim6detail16transform_kernelINS0_24wrapped_transform_configINS_14default_configEsEEsPsS5_NS_8identityIsEEEEvT1_mT2_T3_,comdat
	.protected	_ZN7rocprim6detail16transform_kernelINS0_24wrapped_transform_configINS_14default_configEsEEsPsS5_NS_8identityIsEEEEvT1_mT2_T3_ ; -- Begin function _ZN7rocprim6detail16transform_kernelINS0_24wrapped_transform_configINS_14default_configEsEEsPsS5_NS_8identityIsEEEEvT1_mT2_T3_
	.globl	_ZN7rocprim6detail16transform_kernelINS0_24wrapped_transform_configINS_14default_configEsEEsPsS5_NS_8identityIsEEEEvT1_mT2_T3_
	.p2align	8
	.type	_ZN7rocprim6detail16transform_kernelINS0_24wrapped_transform_configINS_14default_configEsEEsPsS5_NS_8identityIsEEEEvT1_mT2_T3_,@function
_ZN7rocprim6detail16transform_kernelINS0_24wrapped_transform_configINS_14default_configEsEEsPsS5_NS_8identityIsEEEEvT1_mT2_T3_: ; @_ZN7rocprim6detail16transform_kernelINS0_24wrapped_transform_configINS_14default_configEsEEsPsS5_NS_8identityIsEEEEvT1_mT2_T3_
; %bb.0:
	s_clause 0x2
	s_load_b32 s10, s[0:1], 0x20
	s_load_b128 s[4:7], s[0:1], 0x0
	s_load_b64 s[2:3], s[0:1], 0x10
	s_mov_b32 s1, 0
	s_lshl_b32 s0, s15, 11
	v_lshlrev_b32_e32 v3, 1, v0
	s_lshl_b64 s[8:9], s[0:1], 1
	s_waitcnt lgkmcnt(0)
	s_add_i32 s10, s10, -1
	s_add_u32 s4, s4, s8
	s_addc_u32 s5, s5, s9
	v_add_co_u32 v1, s4, s4, v3
	s_delay_alu instid0(VALU_DEP_1)
	v_add_co_ci_u32_e64 v2, null, s5, 0, s4
	s_cmp_lg_u32 s15, s10
	s_mov_b32 s4, -1
	s_cbranch_scc0 .LBB25_2
; %bb.1:
	s_clause 0x1
	global_load_u16 v5, v[1:2], off
	global_load_u16 v4, v[1:2], off offset:2048
	s_add_u32 s10, s2, s8
	s_addc_u32 s11, s3, s9
	s_mov_b32 s1, -1
	s_waitcnt vmcnt(1)
	global_store_b16 v3, v5, s[10:11]
	s_cbranch_execz .LBB25_3
	s_branch .LBB25_10
.LBB25_2:
                                        ; implicit-def: $vgpr4
	s_and_not1_b32 vcc_lo, exec_lo, s4
	s_cbranch_vccnz .LBB25_10
.LBB25_3:
	s_sub_i32 s0, s6, s0
                                        ; implicit-def: $vgpr5
	s_delay_alu instid0(SALU_CYCLE_1)
	v_cmp_gt_u32_e32 vcc_lo, s0, v0
	s_and_saveexec_b32 s4, vcc_lo
	s_cbranch_execz .LBB25_5
; %bb.4:
	global_load_d16_b16 v5, v[1:2], off
.LBB25_5:
	s_or_b32 exec_lo, exec_lo, s4
	v_or_b32_e32 v0, 0x400, v0
	s_delay_alu instid0(VALU_DEP_1) | instskip(NEXT) | instid1(VALU_DEP_1)
	v_cmp_gt_u32_e64 s0, s0, v0
	s_and_saveexec_b32 s4, s0
	s_cbranch_execnz .LBB25_13
; %bb.6:
	s_or_b32 exec_lo, exec_lo, s4
	s_and_saveexec_b32 s4, vcc_lo
	s_cbranch_execnz .LBB25_14
.LBB25_7:
	s_or_b32 exec_lo, exec_lo, s4
                                        ; implicit-def: $vgpr4
	s_and_saveexec_b32 s4, s0
	s_cbranch_execz .LBB25_9
.LBB25_8:
	s_waitcnt vmcnt(0)
	v_lshrrev_b32_e32 v4, 16, v5
	s_or_b32 s1, s1, exec_lo
.LBB25_9:
	s_or_b32 exec_lo, exec_lo, s4
.LBB25_10:
	s_and_saveexec_b32 s0, s1
	s_cbranch_execnz .LBB25_12
; %bb.11:
	s_nop 0
	s_sendmsg sendmsg(MSG_DEALLOC_VGPRS)
	s_endpgm
.LBB25_12:
	s_add_u32 s0, s2, s8
	s_addc_u32 s1, s3, s9
	s_waitcnt vmcnt(0)
	global_store_b16 v3, v4, s[0:1] offset:2048
	s_nop 0
	s_sendmsg sendmsg(MSG_DEALLOC_VGPRS)
	s_endpgm
.LBB25_13:
	global_load_d16_hi_b16 v5, v[1:2], off offset:2048
	s_or_b32 exec_lo, exec_lo, s4
	s_and_saveexec_b32 s4, vcc_lo
	s_cbranch_execz .LBB25_7
.LBB25_14:
	s_add_u32 s6, s2, s8
	s_addc_u32 s7, s3, s9
	s_waitcnt vmcnt(0)
	global_store_b16 v3, v5, s[6:7]
	s_or_b32 exec_lo, exec_lo, s4
                                        ; implicit-def: $vgpr4
	s_and_saveexec_b32 s4, s0
	s_cbranch_execnz .LBB25_8
	s_branch .LBB25_9
	.section	.rodata,"a",@progbits
	.p2align	6, 0x0
	.amdhsa_kernel _ZN7rocprim6detail16transform_kernelINS0_24wrapped_transform_configINS_14default_configEsEEsPsS5_NS_8identityIsEEEEvT1_mT2_T3_
		.amdhsa_group_segment_fixed_size 0
		.amdhsa_private_segment_fixed_size 0
		.amdhsa_kernarg_size 288
		.amdhsa_user_sgpr_count 15
		.amdhsa_user_sgpr_dispatch_ptr 0
		.amdhsa_user_sgpr_queue_ptr 0
		.amdhsa_user_sgpr_kernarg_segment_ptr 1
		.amdhsa_user_sgpr_dispatch_id 0
		.amdhsa_user_sgpr_private_segment_size 0
		.amdhsa_wavefront_size32 1
		.amdhsa_uses_dynamic_stack 0
		.amdhsa_enable_private_segment 0
		.amdhsa_system_sgpr_workgroup_id_x 1
		.amdhsa_system_sgpr_workgroup_id_y 0
		.amdhsa_system_sgpr_workgroup_id_z 0
		.amdhsa_system_sgpr_workgroup_info 0
		.amdhsa_system_vgpr_workitem_id 0
		.amdhsa_next_free_vgpr 6
		.amdhsa_next_free_sgpr 16
		.amdhsa_reserve_vcc 1
		.amdhsa_float_round_mode_32 0
		.amdhsa_float_round_mode_16_64 0
		.amdhsa_float_denorm_mode_32 3
		.amdhsa_float_denorm_mode_16_64 3
		.amdhsa_dx10_clamp 1
		.amdhsa_ieee_mode 1
		.amdhsa_fp16_overflow 0
		.amdhsa_workgroup_processor_mode 1
		.amdhsa_memory_ordered 1
		.amdhsa_forward_progress 0
		.amdhsa_shared_vgpr_count 0
		.amdhsa_exception_fp_ieee_invalid_op 0
		.amdhsa_exception_fp_denorm_src 0
		.amdhsa_exception_fp_ieee_div_zero 0
		.amdhsa_exception_fp_ieee_overflow 0
		.amdhsa_exception_fp_ieee_underflow 0
		.amdhsa_exception_fp_ieee_inexact 0
		.amdhsa_exception_int_div_zero 0
	.end_amdhsa_kernel
	.section	.text._ZN7rocprim6detail16transform_kernelINS0_24wrapped_transform_configINS_14default_configEsEEsPsS5_NS_8identityIsEEEEvT1_mT2_T3_,"axG",@progbits,_ZN7rocprim6detail16transform_kernelINS0_24wrapped_transform_configINS_14default_configEsEEsPsS5_NS_8identityIsEEEEvT1_mT2_T3_,comdat
.Lfunc_end25:
	.size	_ZN7rocprim6detail16transform_kernelINS0_24wrapped_transform_configINS_14default_configEsEEsPsS5_NS_8identityIsEEEEvT1_mT2_T3_, .Lfunc_end25-_ZN7rocprim6detail16transform_kernelINS0_24wrapped_transform_configINS_14default_configEsEEsPsS5_NS_8identityIsEEEEvT1_mT2_T3_
                                        ; -- End function
	.section	.AMDGPU.csdata,"",@progbits
; Kernel info:
; codeLenInByte = 360
; NumSgprs: 18
; NumVgprs: 6
; ScratchSize: 0
; MemoryBound: 0
; FloatMode: 240
; IeeeMode: 1
; LDSByteSize: 0 bytes/workgroup (compile time only)
; SGPRBlocks: 2
; VGPRBlocks: 0
; NumSGPRsForWavesPerEU: 18
; NumVGPRsForWavesPerEU: 6
; Occupancy: 16
; WaveLimiterHint : 1
; COMPUTE_PGM_RSRC2:SCRATCH_EN: 0
; COMPUTE_PGM_RSRC2:USER_SGPR: 15
; COMPUTE_PGM_RSRC2:TRAP_HANDLER: 0
; COMPUTE_PGM_RSRC2:TGID_X_EN: 1
; COMPUTE_PGM_RSRC2:TGID_Y_EN: 0
; COMPUTE_PGM_RSRC2:TGID_Z_EN: 0
; COMPUTE_PGM_RSRC2:TIDIG_COMP_CNT: 0
	.section	.text._ZN7rocprim6detail18single_scan_kernelILb0ENS0_19wrapped_scan_configINS_14default_configEsEEN6hipcub22TransformInputIteratorIsNS5_6CastOpIsEEPslEEPfNS5_3MaxEssEEvT1_mT4_T2_T3_,"axG",@progbits,_ZN7rocprim6detail18single_scan_kernelILb0ENS0_19wrapped_scan_configINS_14default_configEsEEN6hipcub22TransformInputIteratorIsNS5_6CastOpIsEEPslEEPfNS5_3MaxEssEEvT1_mT4_T2_T3_,comdat
	.protected	_ZN7rocprim6detail18single_scan_kernelILb0ENS0_19wrapped_scan_configINS_14default_configEsEEN6hipcub22TransformInputIteratorIsNS5_6CastOpIsEEPslEEPfNS5_3MaxEssEEvT1_mT4_T2_T3_ ; -- Begin function _ZN7rocprim6detail18single_scan_kernelILb0ENS0_19wrapped_scan_configINS_14default_configEsEEN6hipcub22TransformInputIteratorIsNS5_6CastOpIsEEPslEEPfNS5_3MaxEssEEvT1_mT4_T2_T3_
	.globl	_ZN7rocprim6detail18single_scan_kernelILb0ENS0_19wrapped_scan_configINS_14default_configEsEEN6hipcub22TransformInputIteratorIsNS5_6CastOpIsEEPslEEPfNS5_3MaxEssEEvT1_mT4_T2_T3_
	.p2align	8
	.type	_ZN7rocprim6detail18single_scan_kernelILb0ENS0_19wrapped_scan_configINS_14default_configEsEEN6hipcub22TransformInputIteratorIsNS5_6CastOpIsEEPslEEPfNS5_3MaxEssEEvT1_mT4_T2_T3_,@function
_ZN7rocprim6detail18single_scan_kernelILb0ENS0_19wrapped_scan_configINS_14default_configEsEEN6hipcub22TransformInputIteratorIsNS5_6CastOpIsEEPslEEPfNS5_3MaxEssEEvT1_mT4_T2_T3_: ; @_ZN7rocprim6detail18single_scan_kernelILb0ENS0_19wrapped_scan_configINS_14default_configEsEEN6hipcub22TransformInputIteratorIsNS5_6CastOpIsEEPslEEPfNS5_3MaxEssEEvT1_mT4_T2_T3_
; %bb.0:
	s_clause 0x1
	s_load_b64 s[2:3], s[0:1], 0x0
	s_load_b32 s16, s[0:1], 0x10
	v_mov_b32_e32 v1, 0
	v_lshlrev_b32_e32 v11, 1, v0
	s_waitcnt lgkmcnt(0)
	global_load_u16 v3, v1, s[2:3]
	v_add_co_u32 v1, s2, s2, v11
	s_delay_alu instid0(VALU_DEP_1)
	v_add_co_ci_u32_e64 v2, null, s3, 0, s2
	v_cmp_gt_u32_e32 vcc_lo, s16, v0
	s_waitcnt vmcnt(0)
	v_mov_b32_e32 v4, v3
	s_and_saveexec_b32 s2, vcc_lo
	s_cbranch_execz .LBB26_2
; %bb.1:
	global_load_u16 v4, v[1:2], off
.LBB26_2:
	s_or_b32 exec_lo, exec_lo, s2
	v_or_b32_e32 v5, 64, v0
	s_delay_alu instid0(VALU_DEP_1) | instskip(SKIP_1) | instid1(VALU_DEP_2)
	v_cmp_gt_u32_e64 s2, s16, v5
	v_mov_b32_e32 v5, v3
	s_and_saveexec_b32 s3, s2
	s_cbranch_execz .LBB26_4
; %bb.3:
	global_load_u16 v5, v[1:2], off offset:128
.LBB26_4:
	s_or_b32 exec_lo, exec_lo, s3
	v_or_b32_e32 v6, 0x80, v0
	s_delay_alu instid0(VALU_DEP_1) | instskip(SKIP_1) | instid1(VALU_DEP_2)
	v_cmp_gt_u32_e64 s3, s16, v6
	v_mov_b32_e32 v6, v3
	s_and_saveexec_b32 s4, s3
	s_cbranch_execz .LBB26_6
; %bb.5:
	global_load_u16 v6, v[1:2], off offset:256
.LBB26_6:
	;; [unrolled: 10-line block ×20, first 2 shown]
	s_or_b32 exec_lo, exec_lo, s23
	v_or_b32_e32 v26, 0x540, v0
	s_delay_alu instid0(VALU_DEP_1) | instskip(NEXT) | instid1(VALU_DEP_1)
	v_cmp_gt_u32_e64 s16, s16, v26
	s_and_saveexec_b32 s23, s16
	s_cbranch_execz .LBB26_44
; %bb.43:
	global_load_u16 v3, v[1:2], off offset:2688
.LBB26_44:
	s_or_b32 exec_lo, exec_lo, s23
	s_waitcnt vmcnt(0)
	ds_store_b16 v11, v4
	ds_store_b16 v11, v5 offset:128
	ds_store_b16 v11, v6 offset:256
	;; [unrolled: 1-line block ×15, first 2 shown]
	v_mad_u32_u24 v12, v0, 42, v11
	ds_store_b16 v11, v21 offset:2048
	ds_store_b16 v11, v22 offset:2176
	;; [unrolled: 1-line block ×6, first 2 shown]
	s_waitcnt lgkmcnt(0)
	s_barrier
	buffer_gl0_inv
	ds_load_2addr_b32 v[7:8], v12 offset1:1
	ds_load_2addr_b32 v[5:6], v12 offset0:2 offset1:3
	ds_load_2addr_b32 v[3:4], v12 offset0:4 offset1:5
	;; [unrolled: 1-line block ×3, first 2 shown]
	v_lshrrev_b32_e32 v25, 4, v0
	s_mov_b32 s24, exec_lo
	s_delay_alu instid0(VALU_DEP_1) | instskip(NEXT) | instid1(VALU_DEP_1)
	v_and_b32_e32 v25, 2, v25
	v_add_nc_u32_e32 v27, v11, v25
	s_waitcnt lgkmcnt(3)
	v_lshrrev_b32_e32 v16, 16, v7
	v_lshrrev_b32_e32 v15, 16, v8
	s_waitcnt lgkmcnt(2)
	v_lshrrev_b32_e32 v17, 16, v5
	v_lshrrev_b32_e32 v18, 16, v6
	s_waitcnt lgkmcnt(1)
	v_lshrrev_b32_e32 v19, 16, v3
	v_max_i16 v9, v7, v16
	v_lshrrev_b32_e32 v21, 16, v4
	s_waitcnt lgkmcnt(0)
	v_lshrrev_b32_e32 v22, 16, v1
	v_lshrrev_b32_e32 v23, 16, v2
	v_max3_i16 v9, v9, v8, v15
	s_delay_alu instid0(VALU_DEP_1) | instskip(SKIP_2) | instid1(VALU_DEP_1)
	v_max3_i16 v13, v9, v5, v17
	ds_load_2addr_b32 v[9:10], v12 offset0:8 offset1:9
	v_max3_i16 v13, v13, v6, v18
	v_max3_i16 v14, v13, v3, v19
	ds_load_b32 v13, v12 offset:40
	s_waitcnt lgkmcnt(0)
	s_barrier
	buffer_gl0_inv
	v_max3_i16 v14, v14, v4, v21
	s_delay_alu instid0(VALU_DEP_1) | instskip(SKIP_2) | instid1(VALU_DEP_3)
	v_max3_i16 v14, v14, v1, v22
	v_lshrrev_b32_e32 v24, 16, v9
	v_lshrrev_b32_e32 v20, 16, v10
	v_max3_i16 v14, v14, v2, v23
	s_delay_alu instid0(VALU_DEP_1) | instskip(SKIP_1) | instid1(VALU_DEP_2)
	v_max3_i16 v26, v14, v9, v24
	v_lshrrev_b32_e32 v14, 16, v13
	v_max3_i16 v26, v26, v10, v20
	s_delay_alu instid0(VALU_DEP_1)
	v_max3_i16 v25, v26, v13, v14
	ds_store_b16 v27, v25
	s_waitcnt lgkmcnt(0)
	s_barrier
	buffer_gl0_inv
	v_cmpx_gt_u32_e32 32, v0
	s_cbranch_execz .LBB26_46
; %bb.45:
	v_lshrrev_b32_e32 v26, 3, v0
	v_mbcnt_lo_u32_b32 v31, -1, 0
	s_delay_alu instid0(VALU_DEP_2) | instskip(NEXT) | instid1(VALU_DEP_2)
	v_and_b32_e32 v26, 6, v26
	v_and_b32_e32 v32, 15, v31
	v_add_nc_u32_e32 v33, -1, v31
	s_delay_alu instid0(VALU_DEP_3) | instskip(NEXT) | instid1(VALU_DEP_3)
	v_lshl_or_b32 v26, v0, 2, v26
	v_cmp_eq_u32_e64 s23, 0, v32
	ds_load_u16 v27, v26
	ds_load_u16 v28, v26 offset:2
	s_waitcnt lgkmcnt(0)
	v_max_i16 v29, v27, v28
	s_delay_alu instid0(VALU_DEP_1) | instskip(NEXT) | instid1(VALU_DEP_1)
	v_and_b32_e32 v30, 0xffff, v29
	v_mov_b32_dpp v30, v30 row_shr:1 row_mask:0xf bank_mask:0xf
	s_delay_alu instid0(VALU_DEP_1) | instskip(NEXT) | instid1(VALU_DEP_1)
	v_max_i16 v30, v30, v29
	v_cndmask_b32_e64 v29, v30, v29, s23
	v_cmp_lt_u32_e64 s23, 1, v32
	s_delay_alu instid0(VALU_DEP_2) | instskip(NEXT) | instid1(VALU_DEP_1)
	v_and_b32_e32 v30, 0xffff, v29
	v_mov_b32_dpp v30, v30 row_shr:2 row_mask:0xf bank_mask:0xf
	s_delay_alu instid0(VALU_DEP_1) | instskip(NEXT) | instid1(VALU_DEP_1)
	v_max_i16 v30, v30, v29
	v_cndmask_b32_e64 v29, v29, v30, s23
	v_cmp_lt_u32_e64 s23, 3, v32
	s_delay_alu instid0(VALU_DEP_2) | instskip(NEXT) | instid1(VALU_DEP_1)
	v_and_b32_e32 v30, 0xffff, v29
	v_mov_b32_dpp v30, v30 row_shr:4 row_mask:0xf bank_mask:0xf
	s_delay_alu instid0(VALU_DEP_1) | instskip(NEXT) | instid1(VALU_DEP_1)
	v_max_i16 v30, v30, v29
	v_cndmask_b32_e64 v29, v29, v30, s23
	v_cmp_lt_u32_e64 s23, 7, v32
	v_and_b32_e32 v32, 16, v31
	s_delay_alu instid0(VALU_DEP_3) | instskip(NEXT) | instid1(VALU_DEP_1)
	v_and_b32_e32 v30, 0xffff, v29
	v_mov_b32_dpp v30, v30 row_shr:8 row_mask:0xf bank_mask:0xf
	s_delay_alu instid0(VALU_DEP_1) | instskip(NEXT) | instid1(VALU_DEP_1)
	v_max_i16 v30, v30, v29
	v_cndmask_b32_e64 v29, v29, v30, s23
	v_cmp_eq_u32_e64 s23, 0, v32
	s_delay_alu instid0(VALU_DEP_2) | instskip(SKIP_3) | instid1(VALU_DEP_1)
	v_and_b32_e32 v30, 0xffff, v29
	ds_swizzle_b32 v30, v30 offset:swizzle(BROADCAST,32,15)
	s_waitcnt lgkmcnt(0)
	v_max_i16 v30, v30, v29
	v_cndmask_b32_e64 v29, v30, v29, s23
	v_cmp_gt_i32_e64 s23, 0, v33
	s_delay_alu instid0(VALU_DEP_2) | instskip(NEXT) | instid1(VALU_DEP_2)
	v_and_b32_e32 v29, 0xffff, v29
	v_cndmask_b32_e64 v30, v33, v31, s23
	v_cmp_eq_u32_e64 s23, 0, v0
	s_delay_alu instid0(VALU_DEP_2) | instskip(SKIP_3) | instid1(VALU_DEP_1)
	v_lshlrev_b32_e32 v30, 2, v30
	ds_bpermute_b32 v29, v30, v29
	s_waitcnt lgkmcnt(0)
	v_max_i16 v27, v29, v27
	v_cndmask_b32_e64 v27, v27, v25, s23
	s_delay_alu instid0(VALU_DEP_1)
	v_max_i16 v28, v27, v28
	ds_store_b16 v26, v27
	ds_store_b16 v26, v28 offset:2
.LBB26_46:
	s_or_b32 exec_lo, exec_lo, s24
	v_cmp_eq_u32_e64 s23, 0, v0
	s_mov_b32 s25, exec_lo
	s_waitcnt lgkmcnt(0)
	s_barrier
	buffer_gl0_inv
	v_cmpx_ne_u32_e32 0, v0
	s_cbranch_execz .LBB26_48
; %bb.47:
	v_add_nc_u32_e32 v25, -1, v0
	s_delay_alu instid0(VALU_DEP_1) | instskip(NEXT) | instid1(VALU_DEP_1)
	v_lshrrev_b32_e32 v26, 5, v25
	v_add_lshl_u32 v25, v26, v25, 1
	ds_load_u16 v25, v25
.LBB26_48:
	s_or_b32 exec_lo, exec_lo, s25
	s_waitcnt lgkmcnt(0)
	v_max_i16 v25, v25, v7
	s_barrier
	buffer_gl0_inv
	s_load_b64 s[0:1], s[0:1], 0x20
	v_cndmask_b32_e64 v7, v25, v7, s23
	v_mad_i32_i24 v25, 0xffffffd6, v0, v12
	v_lshlrev_b32_e32 v0, 2, v0
	s_delay_alu instid0(VALU_DEP_3) | instskip(NEXT) | instid1(VALU_DEP_1)
	v_max_i16 v16, v7, v16
	v_max_i16 v8, v16, v8
	v_perm_b32 v7, v16, v7, 0x5040100
	s_delay_alu instid0(VALU_DEP_2) | instskip(SKIP_2) | instid1(VALU_DEP_2)
	v_max_i16 v15, v8, v15
	s_waitcnt lgkmcnt(0)
	v_add_co_u32 v0, s0, s0, v0
	v_max_i16 v5, v15, v5
	v_perm_b32 v8, v15, v8, 0x5040100
	s_delay_alu instid0(VALU_DEP_2) | instskip(NEXT) | instid1(VALU_DEP_1)
	v_max_i16 v17, v5, v17
	v_max_i16 v6, v17, v6
	v_perm_b32 v5, v17, v5, 0x5040100
	s_delay_alu instid0(VALU_DEP_2) | instskip(NEXT) | instid1(VALU_DEP_1)
	v_max_i16 v18, v6, v18
	;; [unrolled: 4-line block ×9, first 2 shown]
	v_perm_b32 v13, v14, v13, 0x5040100
	ds_store_2addr_b32 v12, v7, v8 offset1:1
	ds_store_2addr_b32 v12, v5, v6 offset0:2 offset1:3
	ds_store_2addr_b32 v12, v3, v4 offset0:4 offset1:5
	;; [unrolled: 1-line block ×4, first 2 shown]
	ds_store_b32 v12, v13 offset:40
	s_waitcnt lgkmcnt(0)
	s_barrier
	buffer_gl0_inv
	ds_load_u16 v22, v25 offset:256
	ds_load_u16 v21, v25 offset:384
	;; [unrolled: 1-line block ×21, first 2 shown]
	v_add_co_ci_u32_e64 v1, null, s1, 0, s0
	s_and_saveexec_b32 s0, vcc_lo
	s_cbranch_execnz .LBB26_71
; %bb.49:
	s_or_b32 exec_lo, exec_lo, s0
	s_and_saveexec_b32 s0, s2
	s_cbranch_execnz .LBB26_72
.LBB26_50:
	s_or_b32 exec_lo, exec_lo, s0
	s_and_saveexec_b32 s0, s3
	s_cbranch_execnz .LBB26_73
.LBB26_51:
	s_or_b32 exec_lo, exec_lo, s0
	s_and_saveexec_b32 s0, s4
	s_cbranch_execnz .LBB26_74
.LBB26_52:
	s_or_b32 exec_lo, exec_lo, s0
	s_and_saveexec_b32 s0, s5
	s_cbranch_execnz .LBB26_75
.LBB26_53:
	s_or_b32 exec_lo, exec_lo, s0
	s_and_saveexec_b32 s0, s6
	s_cbranch_execnz .LBB26_76
.LBB26_54:
	s_or_b32 exec_lo, exec_lo, s0
	s_and_saveexec_b32 s0, s7
	s_cbranch_execnz .LBB26_77
.LBB26_55:
	s_or_b32 exec_lo, exec_lo, s0
	s_and_saveexec_b32 s0, s8
	s_cbranch_execnz .LBB26_78
.LBB26_56:
	s_or_b32 exec_lo, exec_lo, s0
	s_and_saveexec_b32 s0, s9
	s_cbranch_execnz .LBB26_79
.LBB26_57:
	s_or_b32 exec_lo, exec_lo, s0
	s_and_saveexec_b32 s0, s10
	s_cbranch_execnz .LBB26_80
.LBB26_58:
	s_or_b32 exec_lo, exec_lo, s0
	s_and_saveexec_b32 s0, s11
	s_cbranch_execnz .LBB26_81
.LBB26_59:
	s_or_b32 exec_lo, exec_lo, s0
	s_and_saveexec_b32 s0, s12
	s_cbranch_execnz .LBB26_82
.LBB26_60:
	s_or_b32 exec_lo, exec_lo, s0
	s_and_saveexec_b32 s0, s13
	s_cbranch_execnz .LBB26_83
.LBB26_61:
	s_or_b32 exec_lo, exec_lo, s0
	s_and_saveexec_b32 s0, s14
	s_cbranch_execnz .LBB26_84
.LBB26_62:
	s_or_b32 exec_lo, exec_lo, s0
	s_and_saveexec_b32 s0, s15
	s_cbranch_execnz .LBB26_85
.LBB26_63:
	s_or_b32 exec_lo, exec_lo, s0
	s_and_saveexec_b32 s0, s18
	s_cbranch_execnz .LBB26_86
.LBB26_64:
	s_or_b32 exec_lo, exec_lo, s0
	s_and_saveexec_b32 s0, s22
	s_cbranch_execnz .LBB26_87
.LBB26_65:
	s_or_b32 exec_lo, exec_lo, s0
	s_and_saveexec_b32 s0, s21
	s_cbranch_execnz .LBB26_88
.LBB26_66:
	s_or_b32 exec_lo, exec_lo, s0
	s_and_saveexec_b32 s0, s20
	s_cbranch_execnz .LBB26_89
.LBB26_67:
	s_or_b32 exec_lo, exec_lo, s0
	s_and_saveexec_b32 s0, s19
	s_cbranch_execnz .LBB26_90
.LBB26_68:
	s_or_b32 exec_lo, exec_lo, s0
	s_and_saveexec_b32 s0, s17
	s_cbranch_execnz .LBB26_91
.LBB26_69:
	s_or_b32 exec_lo, exec_lo, s0
	s_and_saveexec_b32 s0, s16
	s_cbranch_execnz .LBB26_92
.LBB26_70:
	s_nop 0
	s_sendmsg sendmsg(MSG_DEALLOC_VGPRS)
	s_endpgm
.LBB26_71:
	ds_load_i16 v11, v11
	s_waitcnt lgkmcnt(0)
	v_cvt_f32_i32_e32 v11, v11
	global_store_b32 v[0:1], v11, off
	s_or_b32 exec_lo, exec_lo, s0
	s_and_saveexec_b32 s0, s2
	s_cbranch_execz .LBB26_50
.LBB26_72:
	s_waitcnt lgkmcnt(6)
	v_bfe_i32 v11, v23, 0, 16
	s_delay_alu instid0(VALU_DEP_1)
	v_cvt_f32_i32_e32 v11, v11
	global_store_b32 v[0:1], v11, off offset:256
	s_or_b32 exec_lo, exec_lo, s0
	s_and_saveexec_b32 s0, s3
	s_cbranch_execz .LBB26_51
.LBB26_73:
	s_waitcnt lgkmcnt(20)
	v_bfe_i32 v11, v22, 0, 16
	s_delay_alu instid0(VALU_DEP_1)
	v_cvt_f32_i32_e32 v11, v11
	global_store_b32 v[0:1], v11, off offset:512
	s_or_b32 exec_lo, exec_lo, s0
	s_and_saveexec_b32 s0, s4
	s_cbranch_execz .LBB26_52
.LBB26_74:
	s_waitcnt lgkmcnt(19)
	v_bfe_i32 v11, v21, 0, 16
	s_delay_alu instid0(VALU_DEP_1)
	v_cvt_f32_i32_e32 v11, v11
	global_store_b32 v[0:1], v11, off offset:768
	s_or_b32 exec_lo, exec_lo, s0
	s_and_saveexec_b32 s0, s5
	s_cbranch_execz .LBB26_53
.LBB26_75:
	s_waitcnt lgkmcnt(18)
	v_bfe_i32 v11, v20, 0, 16
	s_delay_alu instid0(VALU_DEP_1)
	v_cvt_f32_i32_e32 v11, v11
	global_store_b32 v[0:1], v11, off offset:1024
	s_or_b32 exec_lo, exec_lo, s0
	s_and_saveexec_b32 s0, s6
	s_cbranch_execz .LBB26_54
.LBB26_76:
	s_waitcnt lgkmcnt(17)
	v_bfe_i32 v11, v19, 0, 16
	s_delay_alu instid0(VALU_DEP_1)
	v_cvt_f32_i32_e32 v11, v11
	global_store_b32 v[0:1], v11, off offset:1280
	s_or_b32 exec_lo, exec_lo, s0
	s_and_saveexec_b32 s0, s7
	s_cbranch_execz .LBB26_55
.LBB26_77:
	s_waitcnt lgkmcnt(16)
	v_bfe_i32 v11, v18, 0, 16
	s_delay_alu instid0(VALU_DEP_1)
	v_cvt_f32_i32_e32 v11, v11
	global_store_b32 v[0:1], v11, off offset:1536
	s_or_b32 exec_lo, exec_lo, s0
	s_and_saveexec_b32 s0, s8
	s_cbranch_execz .LBB26_56
.LBB26_78:
	s_waitcnt lgkmcnt(15)
	v_bfe_i32 v11, v17, 0, 16
	s_delay_alu instid0(VALU_DEP_1)
	v_cvt_f32_i32_e32 v11, v11
	global_store_b32 v[0:1], v11, off offset:1792
	s_or_b32 exec_lo, exec_lo, s0
	s_and_saveexec_b32 s0, s9
	s_cbranch_execz .LBB26_57
.LBB26_79:
	s_waitcnt lgkmcnt(14)
	v_bfe_i32 v11, v16, 0, 16
	s_delay_alu instid0(VALU_DEP_1)
	v_cvt_f32_i32_e32 v11, v11
	global_store_b32 v[0:1], v11, off offset:2048
	s_or_b32 exec_lo, exec_lo, s0
	s_and_saveexec_b32 s0, s10
	s_cbranch_execz .LBB26_58
.LBB26_80:
	s_waitcnt lgkmcnt(13)
	v_bfe_i32 v11, v15, 0, 16
	s_delay_alu instid0(VALU_DEP_1)
	v_cvt_f32_i32_e32 v11, v11
	global_store_b32 v[0:1], v11, off offset:2304
	s_or_b32 exec_lo, exec_lo, s0
	s_and_saveexec_b32 s0, s11
	s_cbranch_execz .LBB26_59
.LBB26_81:
	s_waitcnt lgkmcnt(12)
	v_bfe_i32 v11, v14, 0, 16
	s_delay_alu instid0(VALU_DEP_1)
	v_cvt_f32_i32_e32 v11, v11
	global_store_b32 v[0:1], v11, off offset:2560
	s_or_b32 exec_lo, exec_lo, s0
	s_and_saveexec_b32 s0, s12
	s_cbranch_execz .LBB26_60
.LBB26_82:
	s_waitcnt lgkmcnt(11)
	v_bfe_i32 v11, v13, 0, 16
	s_delay_alu instid0(VALU_DEP_1)
	v_cvt_f32_i32_e32 v11, v11
	global_store_b32 v[0:1], v11, off offset:2816
	s_or_b32 exec_lo, exec_lo, s0
	s_and_saveexec_b32 s0, s13
	s_cbranch_execz .LBB26_61
.LBB26_83:
	s_waitcnt lgkmcnt(10)
	v_bfe_i32 v11, v12, 0, 16
	s_delay_alu instid0(VALU_DEP_1)
	v_cvt_f32_i32_e32 v11, v11
	global_store_b32 v[0:1], v11, off offset:3072
	s_or_b32 exec_lo, exec_lo, s0
	s_and_saveexec_b32 s0, s14
	s_cbranch_execz .LBB26_62
.LBB26_84:
	s_waitcnt lgkmcnt(9)
	v_bfe_i32 v10, v10, 0, 16
	s_delay_alu instid0(VALU_DEP_1)
	v_cvt_f32_i32_e32 v10, v10
	global_store_b32 v[0:1], v10, off offset:3328
	s_or_b32 exec_lo, exec_lo, s0
	s_and_saveexec_b32 s0, s15
	s_cbranch_execz .LBB26_63
.LBB26_85:
	s_waitcnt lgkmcnt(8)
	v_bfe_i32 v9, v9, 0, 16
	s_delay_alu instid0(VALU_DEP_1)
	v_cvt_f32_i32_e32 v9, v9
	global_store_b32 v[0:1], v9, off offset:3584
	s_or_b32 exec_lo, exec_lo, s0
	s_and_saveexec_b32 s0, s18
	s_cbranch_execz .LBB26_64
.LBB26_86:
	s_waitcnt lgkmcnt(7)
	v_bfe_i32 v8, v8, 0, 16
	s_delay_alu instid0(VALU_DEP_1)
	v_cvt_f32_i32_e32 v8, v8
	global_store_b32 v[0:1], v8, off offset:3840
	s_or_b32 exec_lo, exec_lo, s0
	s_and_saveexec_b32 s0, s22
	s_cbranch_execz .LBB26_65
.LBB26_87:
	s_waitcnt lgkmcnt(5)
	v_bfe_i32 v7, v7, 0, 16
	s_delay_alu instid0(VALU_DEP_1)
	v_cvt_f32_i32_e32 v9, v7
	v_add_co_u32 v7, vcc_lo, 0x1000, v0
	v_add_co_ci_u32_e32 v8, vcc_lo, 0, v1, vcc_lo
	global_store_b32 v[7:8], v9, off
	s_or_b32 exec_lo, exec_lo, s0
	s_and_saveexec_b32 s0, s21
	s_cbranch_execz .LBB26_66
.LBB26_88:
	s_waitcnt lgkmcnt(4)
	v_bfe_i32 v6, v6, 0, 16
	s_delay_alu instid0(VALU_DEP_1)
	v_cvt_f32_i32_e32 v8, v6
	v_add_co_u32 v6, vcc_lo, 0x1000, v0
	v_add_co_ci_u32_e32 v7, vcc_lo, 0, v1, vcc_lo
	global_store_b32 v[6:7], v8, off offset:256
	s_or_b32 exec_lo, exec_lo, s0
	s_and_saveexec_b32 s0, s20
	s_cbranch_execz .LBB26_67
.LBB26_89:
	s_waitcnt lgkmcnt(3)
	v_bfe_i32 v5, v5, 0, 16
	s_delay_alu instid0(VALU_DEP_1)
	v_cvt_f32_i32_e32 v7, v5
	v_add_co_u32 v5, vcc_lo, 0x1000, v0
	v_add_co_ci_u32_e32 v6, vcc_lo, 0, v1, vcc_lo
	global_store_b32 v[5:6], v7, off offset:512
	s_or_b32 exec_lo, exec_lo, s0
	s_and_saveexec_b32 s0, s19
	s_cbranch_execz .LBB26_68
.LBB26_90:
	s_waitcnt lgkmcnt(2)
	v_bfe_i32 v4, v4, 0, 16
	s_delay_alu instid0(VALU_DEP_1)
	v_cvt_f32_i32_e32 v6, v4
	v_add_co_u32 v4, vcc_lo, 0x1000, v0
	v_add_co_ci_u32_e32 v5, vcc_lo, 0, v1, vcc_lo
	global_store_b32 v[4:5], v6, off offset:768
	s_or_b32 exec_lo, exec_lo, s0
	s_and_saveexec_b32 s0, s17
	s_cbranch_execz .LBB26_69
.LBB26_91:
	s_waitcnt lgkmcnt(1)
	v_bfe_i32 v3, v3, 0, 16
	s_delay_alu instid0(VALU_DEP_1)
	v_cvt_f32_i32_e32 v5, v3
	v_add_co_u32 v3, vcc_lo, 0x1000, v0
	v_add_co_ci_u32_e32 v4, vcc_lo, 0, v1, vcc_lo
	global_store_b32 v[3:4], v5, off offset:1024
	s_or_b32 exec_lo, exec_lo, s0
	s_and_saveexec_b32 s0, s16
	s_cbranch_execz .LBB26_70
.LBB26_92:
	s_waitcnt lgkmcnt(0)
	v_bfe_i32 v2, v2, 0, 16
	v_add_co_u32 v0, vcc_lo, 0x1000, v0
	v_add_co_ci_u32_e32 v1, vcc_lo, 0, v1, vcc_lo
	s_delay_alu instid0(VALU_DEP_3)
	v_cvt_f32_i32_e32 v2, v2
	global_store_b32 v[0:1], v2, off offset:1280
	s_nop 0
	s_sendmsg sendmsg(MSG_DEALLOC_VGPRS)
	s_endpgm
	.section	.rodata,"a",@progbits
	.p2align	6, 0x0
	.amdhsa_kernel _ZN7rocprim6detail18single_scan_kernelILb0ENS0_19wrapped_scan_configINS_14default_configEsEEN6hipcub22TransformInputIteratorIsNS5_6CastOpIsEEPslEEPfNS5_3MaxEssEEvT1_mT4_T2_T3_
		.amdhsa_group_segment_fixed_size 2816
		.amdhsa_private_segment_fixed_size 0
		.amdhsa_kernarg_size 44
		.amdhsa_user_sgpr_count 15
		.amdhsa_user_sgpr_dispatch_ptr 0
		.amdhsa_user_sgpr_queue_ptr 0
		.amdhsa_user_sgpr_kernarg_segment_ptr 1
		.amdhsa_user_sgpr_dispatch_id 0
		.amdhsa_user_sgpr_private_segment_size 0
		.amdhsa_wavefront_size32 1
		.amdhsa_uses_dynamic_stack 0
		.amdhsa_enable_private_segment 0
		.amdhsa_system_sgpr_workgroup_id_x 1
		.amdhsa_system_sgpr_workgroup_id_y 0
		.amdhsa_system_sgpr_workgroup_id_z 0
		.amdhsa_system_sgpr_workgroup_info 0
		.amdhsa_system_vgpr_workitem_id 0
		.amdhsa_next_free_vgpr 34
		.amdhsa_next_free_sgpr 26
		.amdhsa_reserve_vcc 1
		.amdhsa_float_round_mode_32 0
		.amdhsa_float_round_mode_16_64 0
		.amdhsa_float_denorm_mode_32 3
		.amdhsa_float_denorm_mode_16_64 3
		.amdhsa_dx10_clamp 1
		.amdhsa_ieee_mode 1
		.amdhsa_fp16_overflow 0
		.amdhsa_workgroup_processor_mode 1
		.amdhsa_memory_ordered 1
		.amdhsa_forward_progress 0
		.amdhsa_shared_vgpr_count 0
		.amdhsa_exception_fp_ieee_invalid_op 0
		.amdhsa_exception_fp_denorm_src 0
		.amdhsa_exception_fp_ieee_div_zero 0
		.amdhsa_exception_fp_ieee_overflow 0
		.amdhsa_exception_fp_ieee_underflow 0
		.amdhsa_exception_fp_ieee_inexact 0
		.amdhsa_exception_int_div_zero 0
	.end_amdhsa_kernel
	.section	.text._ZN7rocprim6detail18single_scan_kernelILb0ENS0_19wrapped_scan_configINS_14default_configEsEEN6hipcub22TransformInputIteratorIsNS5_6CastOpIsEEPslEEPfNS5_3MaxEssEEvT1_mT4_T2_T3_,"axG",@progbits,_ZN7rocprim6detail18single_scan_kernelILb0ENS0_19wrapped_scan_configINS_14default_configEsEEN6hipcub22TransformInputIteratorIsNS5_6CastOpIsEEPslEEPfNS5_3MaxEssEEvT1_mT4_T2_T3_,comdat
.Lfunc_end26:
	.size	_ZN7rocprim6detail18single_scan_kernelILb0ENS0_19wrapped_scan_configINS_14default_configEsEEN6hipcub22TransformInputIteratorIsNS5_6CastOpIsEEPslEEPfNS5_3MaxEssEEvT1_mT4_T2_T3_, .Lfunc_end26-_ZN7rocprim6detail18single_scan_kernelILb0ENS0_19wrapped_scan_configINS_14default_configEsEEN6hipcub22TransformInputIteratorIsNS5_6CastOpIsEEPslEEPfNS5_3MaxEssEEvT1_mT4_T2_T3_
                                        ; -- End function
	.section	.AMDGPU.csdata,"",@progbits
; Kernel info:
; codeLenInByte = 3872
; NumSgprs: 28
; NumVgprs: 34
; ScratchSize: 0
; MemoryBound: 0
; FloatMode: 240
; IeeeMode: 1
; LDSByteSize: 2816 bytes/workgroup (compile time only)
; SGPRBlocks: 3
; VGPRBlocks: 4
; NumSGPRsForWavesPerEU: 28
; NumVGPRsForWavesPerEU: 34
; Occupancy: 16
; WaveLimiterHint : 0
; COMPUTE_PGM_RSRC2:SCRATCH_EN: 0
; COMPUTE_PGM_RSRC2:USER_SGPR: 15
; COMPUTE_PGM_RSRC2:TRAP_HANDLER: 0
; COMPUTE_PGM_RSRC2:TGID_X_EN: 1
; COMPUTE_PGM_RSRC2:TGID_Y_EN: 0
; COMPUTE_PGM_RSRC2:TGID_Z_EN: 0
; COMPUTE_PGM_RSRC2:TIDIG_COMP_CNT: 0
	.section	.text._ZN7rocprim6detail31init_lookback_scan_state_kernelINS0_19lookback_scan_stateImLb1ELb1EEEEEvT_jjPNS4_10value_typeE,"axG",@progbits,_ZN7rocprim6detail31init_lookback_scan_state_kernelINS0_19lookback_scan_stateImLb1ELb1EEEEEvT_jjPNS4_10value_typeE,comdat
	.protected	_ZN7rocprim6detail31init_lookback_scan_state_kernelINS0_19lookback_scan_stateImLb1ELb1EEEEEvT_jjPNS4_10value_typeE ; -- Begin function _ZN7rocprim6detail31init_lookback_scan_state_kernelINS0_19lookback_scan_stateImLb1ELb1EEEEEvT_jjPNS4_10value_typeE
	.globl	_ZN7rocprim6detail31init_lookback_scan_state_kernelINS0_19lookback_scan_stateImLb1ELb1EEEEEvT_jjPNS4_10value_typeE
	.p2align	8
	.type	_ZN7rocprim6detail31init_lookback_scan_state_kernelINS0_19lookback_scan_stateImLb1ELb1EEEEEvT_jjPNS4_10value_typeE,@function
_ZN7rocprim6detail31init_lookback_scan_state_kernelINS0_19lookback_scan_stateImLb1ELb1EEEEEvT_jjPNS4_10value_typeE: ; @_ZN7rocprim6detail31init_lookback_scan_state_kernelINS0_19lookback_scan_stateImLb1ELb1EEEEEvT_jjPNS4_10value_typeE
; %bb.0:
	s_clause 0x2
	s_load_b32 s6, s[0:1], 0x24
	s_load_b64 s[4:5], s[0:1], 0x10
	s_load_b128 s[0:3], s[0:1], 0x0
	s_waitcnt lgkmcnt(0)
	s_and_b32 s6, s6, 0xffff
	s_cmp_eq_u64 s[4:5], 0
	v_mad_u64_u32 v[1:2], null, s15, s6, v[0:1]
	s_cbranch_scc1 .LBB27_10
; %bb.1:
	s_cmp_lt_u32 s3, s2
	s_mov_b32 s7, 0
	s_cselect_b32 s6, s3, 0
	s_mov_b32 s8, exec_lo
	s_delay_alu instid0(VALU_DEP_1)
	v_cmpx_eq_u32_e64 s6, v1
	s_cbranch_execz .LBB27_9
; %bb.2:
	s_add_i32 s6, s3, 32
	s_mov_b32 s3, exec_lo
	s_lshl_b64 s[6:7], s[6:7], 4
	v_mov_b32_e32 v6, 0
	s_add_u32 s6, s0, s6
	s_addc_u32 s7, s1, s7
	s_delay_alu instid0(SALU_CYCLE_1) | instskip(SKIP_2) | instid1(VALU_DEP_1)
	v_dual_mov_b32 v2, s6 :: v_dual_mov_b32 v3, s7
	;;#ASMSTART
	global_load_dwordx4 v[2:5], v[2:3] off glc	
s_waitcnt vmcnt(0)
	;;#ASMEND
	v_and_b32_e32 v5, 0xff, v4
	v_cmpx_eq_u64_e32 0, v[5:6]
	s_cbranch_execz .LBB27_8
; %bb.3:
	v_dual_mov_b32 v8, s7 :: v_dual_mov_b32 v7, s6
	s_mov_b32 s7, 1
	s_mov_b32 s6, 0
	.p2align	6
.LBB27_4:                               ; =>This Loop Header: Depth=1
                                        ;     Child Loop BB27_5 Depth 2
	s_max_u32 s9, s7, 1
.LBB27_5:                               ;   Parent Loop BB27_4 Depth=1
                                        ; =>  This Inner Loop Header: Depth=2
	s_delay_alu instid0(SALU_CYCLE_1)
	s_add_i32 s9, s9, -1
	s_sleep 1
	s_cmp_eq_u32 s9, 0
	s_cbranch_scc0 .LBB27_5
; %bb.6:                                ;   in Loop: Header=BB27_4 Depth=1
	;;#ASMSTART
	global_load_dwordx4 v[2:5], v[7:8] off glc	
s_waitcnt vmcnt(0)
	;;#ASMEND
	v_and_b32_e32 v5, 0xff, v4
	s_cmp_lt_u32 s7, 32
	s_cselect_b32 s9, -1, 0
	s_delay_alu instid0(SALU_CYCLE_1) | instskip(NEXT) | instid1(VALU_DEP_1)
	s_cmp_lg_u32 s9, 0
	v_cmp_ne_u64_e32 vcc_lo, 0, v[5:6]
	s_addc_u32 s7, s7, 0
	s_or_b32 s6, vcc_lo, s6
	s_delay_alu instid0(SALU_CYCLE_1)
	s_and_not1_b32 exec_lo, exec_lo, s6
	s_cbranch_execnz .LBB27_4
; %bb.7:
	s_or_b32 exec_lo, exec_lo, s6
.LBB27_8:
	s_delay_alu instid0(SALU_CYCLE_1)
	s_or_b32 exec_lo, exec_lo, s3
	v_mov_b32_e32 v0, 0
	global_store_b64 v0, v[2:3], s[4:5]
.LBB27_9:
	s_or_b32 exec_lo, exec_lo, s8
.LBB27_10:
	s_delay_alu instid0(VALU_DEP_1)
	v_cmp_gt_u32_e32 vcc_lo, s2, v1
	s_and_saveexec_b32 s2, vcc_lo
	s_cbranch_execz .LBB27_12
; %bb.11:
	v_dual_mov_b32 v3, 0 :: v_dual_add_nc_u32 v2, 32, v1
	s_delay_alu instid0(VALU_DEP_1) | instskip(SKIP_2) | instid1(VALU_DEP_3)
	v_lshlrev_b64 v[5:6], 4, v[2:3]
	v_mov_b32_e32 v2, v3
	v_mov_b32_e32 v4, v3
	v_add_co_u32 v7, vcc_lo, s0, v5
	s_delay_alu instid0(VALU_DEP_4)
	v_add_co_ci_u32_e32 v8, vcc_lo, s1, v6, vcc_lo
	v_mov_b32_e32 v5, v3
	global_store_b128 v[7:8], v[2:5], off
.LBB27_12:
	s_or_b32 exec_lo, exec_lo, s2
	s_delay_alu instid0(SALU_CYCLE_1)
	s_mov_b32 s2, exec_lo
	v_cmpx_gt_u32_e32 32, v1
	s_cbranch_execz .LBB27_14
; %bb.13:
	v_dual_mov_b32 v2, 0 :: v_dual_mov_b32 v3, 0xff
	s_delay_alu instid0(VALU_DEP_1) | instskip(SKIP_1) | instid1(VALU_DEP_2)
	v_lshlrev_b64 v[4:5], 4, v[1:2]
	v_mov_b32_e32 v1, v2
	v_add_co_u32 v6, vcc_lo, s0, v4
	s_delay_alu instid0(VALU_DEP_3)
	v_add_co_ci_u32_e32 v7, vcc_lo, s1, v5, vcc_lo
	v_mov_b32_e32 v4, v2
	global_store_b128 v[6:7], v[1:4], off
.LBB27_14:
	s_nop 0
	s_sendmsg sendmsg(MSG_DEALLOC_VGPRS)
	s_endpgm
	.section	.rodata,"a",@progbits
	.p2align	6, 0x0
	.amdhsa_kernel _ZN7rocprim6detail31init_lookback_scan_state_kernelINS0_19lookback_scan_stateImLb1ELb1EEEEEvT_jjPNS4_10value_typeE
		.amdhsa_group_segment_fixed_size 0
		.amdhsa_private_segment_fixed_size 0
		.amdhsa_kernarg_size 280
		.amdhsa_user_sgpr_count 15
		.amdhsa_user_sgpr_dispatch_ptr 0
		.amdhsa_user_sgpr_queue_ptr 0
		.amdhsa_user_sgpr_kernarg_segment_ptr 1
		.amdhsa_user_sgpr_dispatch_id 0
		.amdhsa_user_sgpr_private_segment_size 0
		.amdhsa_wavefront_size32 1
		.amdhsa_uses_dynamic_stack 0
		.amdhsa_enable_private_segment 0
		.amdhsa_system_sgpr_workgroup_id_x 1
		.amdhsa_system_sgpr_workgroup_id_y 0
		.amdhsa_system_sgpr_workgroup_id_z 0
		.amdhsa_system_sgpr_workgroup_info 0
		.amdhsa_system_vgpr_workitem_id 0
		.amdhsa_next_free_vgpr 9
		.amdhsa_next_free_sgpr 16
		.amdhsa_reserve_vcc 1
		.amdhsa_float_round_mode_32 0
		.amdhsa_float_round_mode_16_64 0
		.amdhsa_float_denorm_mode_32 3
		.amdhsa_float_denorm_mode_16_64 3
		.amdhsa_dx10_clamp 1
		.amdhsa_ieee_mode 1
		.amdhsa_fp16_overflow 0
		.amdhsa_workgroup_processor_mode 1
		.amdhsa_memory_ordered 1
		.amdhsa_forward_progress 0
		.amdhsa_shared_vgpr_count 0
		.amdhsa_exception_fp_ieee_invalid_op 0
		.amdhsa_exception_fp_denorm_src 0
		.amdhsa_exception_fp_ieee_div_zero 0
		.amdhsa_exception_fp_ieee_overflow 0
		.amdhsa_exception_fp_ieee_underflow 0
		.amdhsa_exception_fp_ieee_inexact 0
		.amdhsa_exception_int_div_zero 0
	.end_amdhsa_kernel
	.section	.text._ZN7rocprim6detail31init_lookback_scan_state_kernelINS0_19lookback_scan_stateImLb1ELb1EEEEEvT_jjPNS4_10value_typeE,"axG",@progbits,_ZN7rocprim6detail31init_lookback_scan_state_kernelINS0_19lookback_scan_stateImLb1ELb1EEEEEvT_jjPNS4_10value_typeE,comdat
.Lfunc_end27:
	.size	_ZN7rocprim6detail31init_lookback_scan_state_kernelINS0_19lookback_scan_stateImLb1ELb1EEEEEvT_jjPNS4_10value_typeE, .Lfunc_end27-_ZN7rocprim6detail31init_lookback_scan_state_kernelINS0_19lookback_scan_stateImLb1ELb1EEEEEvT_jjPNS4_10value_typeE
                                        ; -- End function
	.section	.AMDGPU.csdata,"",@progbits
; Kernel info:
; codeLenInByte = 496
; NumSgprs: 18
; NumVgprs: 9
; ScratchSize: 0
; MemoryBound: 0
; FloatMode: 240
; IeeeMode: 1
; LDSByteSize: 0 bytes/workgroup (compile time only)
; SGPRBlocks: 2
; VGPRBlocks: 1
; NumSGPRsForWavesPerEU: 18
; NumVGPRsForWavesPerEU: 9
; Occupancy: 16
; WaveLimiterHint : 0
; COMPUTE_PGM_RSRC2:SCRATCH_EN: 0
; COMPUTE_PGM_RSRC2:USER_SGPR: 15
; COMPUTE_PGM_RSRC2:TRAP_HANDLER: 0
; COMPUTE_PGM_RSRC2:TGID_X_EN: 1
; COMPUTE_PGM_RSRC2:TGID_Y_EN: 0
; COMPUTE_PGM_RSRC2:TGID_Z_EN: 0
; COMPUTE_PGM_RSRC2:TIDIG_COMP_CNT: 0
	.section	.text._ZN7rocprim6detail31init_lookback_scan_state_kernelINS0_19lookback_scan_stateImLb0ELb1EEEEEvT_jjPNS4_10value_typeE,"axG",@progbits,_ZN7rocprim6detail31init_lookback_scan_state_kernelINS0_19lookback_scan_stateImLb0ELb1EEEEEvT_jjPNS4_10value_typeE,comdat
	.protected	_ZN7rocprim6detail31init_lookback_scan_state_kernelINS0_19lookback_scan_stateImLb0ELb1EEEEEvT_jjPNS4_10value_typeE ; -- Begin function _ZN7rocprim6detail31init_lookback_scan_state_kernelINS0_19lookback_scan_stateImLb0ELb1EEEEEvT_jjPNS4_10value_typeE
	.globl	_ZN7rocprim6detail31init_lookback_scan_state_kernelINS0_19lookback_scan_stateImLb0ELb1EEEEEvT_jjPNS4_10value_typeE
	.p2align	8
	.type	_ZN7rocprim6detail31init_lookback_scan_state_kernelINS0_19lookback_scan_stateImLb0ELb1EEEEEvT_jjPNS4_10value_typeE,@function
_ZN7rocprim6detail31init_lookback_scan_state_kernelINS0_19lookback_scan_stateImLb0ELb1EEEEEvT_jjPNS4_10value_typeE: ; @_ZN7rocprim6detail31init_lookback_scan_state_kernelINS0_19lookback_scan_stateImLb0ELb1EEEEEvT_jjPNS4_10value_typeE
; %bb.0:
	s_clause 0x2
	s_load_b32 s6, s[0:1], 0x24
	s_load_b64 s[4:5], s[0:1], 0x10
	s_load_b128 s[0:3], s[0:1], 0x0
	s_waitcnt lgkmcnt(0)
	s_and_b32 s6, s6, 0xffff
	s_cmp_eq_u64 s[4:5], 0
	v_mad_u64_u32 v[1:2], null, s15, s6, v[0:1]
	s_cbranch_scc1 .LBB28_8
; %bb.1:
	s_cmp_lt_u32 s3, s2
	s_mov_b32 s7, 0
	s_cselect_b32 s6, s3, 0
	s_mov_b32 s8, exec_lo
	s_delay_alu instid0(VALU_DEP_1)
	v_cmpx_eq_u32_e64 s6, v1
	s_cbranch_execz .LBB28_7
; %bb.2:
	s_add_i32 s6, s3, 32
	s_mov_b32 s3, exec_lo
	s_lshl_b64 s[6:7], s[6:7], 4
	v_mov_b32_e32 v6, 0
	s_add_u32 s6, s0, s6
	s_addc_u32 s7, s1, s7
	s_delay_alu instid0(SALU_CYCLE_1) | instskip(SKIP_2) | instid1(VALU_DEP_1)
	v_dual_mov_b32 v2, s6 :: v_dual_mov_b32 v3, s7
	;;#ASMSTART
	global_load_dwordx4 v[2:5], v[2:3] off glc	
s_waitcnt vmcnt(0)
	;;#ASMEND
	v_and_b32_e32 v5, 0xff, v4
	v_cmpx_eq_u64_e32 0, v[5:6]
	s_cbranch_execz .LBB28_6
; %bb.3:
	v_dual_mov_b32 v8, s7 :: v_dual_mov_b32 v7, s6
	s_mov_b32 s6, 0
.LBB28_4:                               ; =>This Inner Loop Header: Depth=1
	;;#ASMSTART
	global_load_dwordx4 v[2:5], v[7:8] off glc	
s_waitcnt vmcnt(0)
	;;#ASMEND
	v_and_b32_e32 v5, 0xff, v4
	s_delay_alu instid0(VALU_DEP_1) | instskip(SKIP_1) | instid1(SALU_CYCLE_1)
	v_cmp_ne_u64_e32 vcc_lo, 0, v[5:6]
	s_or_b32 s6, vcc_lo, s6
	s_and_not1_b32 exec_lo, exec_lo, s6
	s_cbranch_execnz .LBB28_4
; %bb.5:
	s_or_b32 exec_lo, exec_lo, s6
.LBB28_6:
	s_delay_alu instid0(SALU_CYCLE_1)
	s_or_b32 exec_lo, exec_lo, s3
	v_mov_b32_e32 v0, 0
	global_store_b64 v0, v[2:3], s[4:5]
.LBB28_7:
	s_or_b32 exec_lo, exec_lo, s8
.LBB28_8:
	s_delay_alu instid0(VALU_DEP_1)
	v_cmp_gt_u32_e32 vcc_lo, s2, v1
	s_and_saveexec_b32 s2, vcc_lo
	s_cbranch_execz .LBB28_10
; %bb.9:
	v_dual_mov_b32 v3, 0 :: v_dual_add_nc_u32 v2, 32, v1
	s_delay_alu instid0(VALU_DEP_1) | instskip(SKIP_2) | instid1(VALU_DEP_3)
	v_lshlrev_b64 v[5:6], 4, v[2:3]
	v_mov_b32_e32 v2, v3
	v_mov_b32_e32 v4, v3
	v_add_co_u32 v7, vcc_lo, s0, v5
	s_delay_alu instid0(VALU_DEP_4)
	v_add_co_ci_u32_e32 v8, vcc_lo, s1, v6, vcc_lo
	v_mov_b32_e32 v5, v3
	global_store_b128 v[7:8], v[2:5], off
.LBB28_10:
	s_or_b32 exec_lo, exec_lo, s2
	s_delay_alu instid0(SALU_CYCLE_1)
	s_mov_b32 s2, exec_lo
	v_cmpx_gt_u32_e32 32, v1
	s_cbranch_execz .LBB28_12
; %bb.11:
	v_dual_mov_b32 v2, 0 :: v_dual_mov_b32 v3, 0xff
	s_delay_alu instid0(VALU_DEP_1) | instskip(SKIP_1) | instid1(VALU_DEP_2)
	v_lshlrev_b64 v[4:5], 4, v[1:2]
	v_mov_b32_e32 v1, v2
	v_add_co_u32 v6, vcc_lo, s0, v4
	s_delay_alu instid0(VALU_DEP_3)
	v_add_co_ci_u32_e32 v7, vcc_lo, s1, v5, vcc_lo
	v_mov_b32_e32 v4, v2
	global_store_b128 v[6:7], v[1:4], off
.LBB28_12:
	s_nop 0
	s_sendmsg sendmsg(MSG_DEALLOC_VGPRS)
	s_endpgm
	.section	.rodata,"a",@progbits
	.p2align	6, 0x0
	.amdhsa_kernel _ZN7rocprim6detail31init_lookback_scan_state_kernelINS0_19lookback_scan_stateImLb0ELb1EEEEEvT_jjPNS4_10value_typeE
		.amdhsa_group_segment_fixed_size 0
		.amdhsa_private_segment_fixed_size 0
		.amdhsa_kernarg_size 280
		.amdhsa_user_sgpr_count 15
		.amdhsa_user_sgpr_dispatch_ptr 0
		.amdhsa_user_sgpr_queue_ptr 0
		.amdhsa_user_sgpr_kernarg_segment_ptr 1
		.amdhsa_user_sgpr_dispatch_id 0
		.amdhsa_user_sgpr_private_segment_size 0
		.amdhsa_wavefront_size32 1
		.amdhsa_uses_dynamic_stack 0
		.amdhsa_enable_private_segment 0
		.amdhsa_system_sgpr_workgroup_id_x 1
		.amdhsa_system_sgpr_workgroup_id_y 0
		.amdhsa_system_sgpr_workgroup_id_z 0
		.amdhsa_system_sgpr_workgroup_info 0
		.amdhsa_system_vgpr_workitem_id 0
		.amdhsa_next_free_vgpr 9
		.amdhsa_next_free_sgpr 16
		.amdhsa_reserve_vcc 1
		.amdhsa_float_round_mode_32 0
		.amdhsa_float_round_mode_16_64 0
		.amdhsa_float_denorm_mode_32 3
		.amdhsa_float_denorm_mode_16_64 3
		.amdhsa_dx10_clamp 1
		.amdhsa_ieee_mode 1
		.amdhsa_fp16_overflow 0
		.amdhsa_workgroup_processor_mode 1
		.amdhsa_memory_ordered 1
		.amdhsa_forward_progress 0
		.amdhsa_shared_vgpr_count 0
		.amdhsa_exception_fp_ieee_invalid_op 0
		.amdhsa_exception_fp_denorm_src 0
		.amdhsa_exception_fp_ieee_div_zero 0
		.amdhsa_exception_fp_ieee_overflow 0
		.amdhsa_exception_fp_ieee_underflow 0
		.amdhsa_exception_fp_ieee_inexact 0
		.amdhsa_exception_int_div_zero 0
	.end_amdhsa_kernel
	.section	.text._ZN7rocprim6detail31init_lookback_scan_state_kernelINS0_19lookback_scan_stateImLb0ELb1EEEEEvT_jjPNS4_10value_typeE,"axG",@progbits,_ZN7rocprim6detail31init_lookback_scan_state_kernelINS0_19lookback_scan_stateImLb0ELb1EEEEEvT_jjPNS4_10value_typeE,comdat
.Lfunc_end28:
	.size	_ZN7rocprim6detail31init_lookback_scan_state_kernelINS0_19lookback_scan_stateImLb0ELb1EEEEEvT_jjPNS4_10value_typeE, .Lfunc_end28-_ZN7rocprim6detail31init_lookback_scan_state_kernelINS0_19lookback_scan_stateImLb0ELb1EEEEEvT_jjPNS4_10value_typeE
                                        ; -- End function
	.section	.AMDGPU.csdata,"",@progbits
; Kernel info:
; codeLenInByte = 448
; NumSgprs: 18
; NumVgprs: 9
; ScratchSize: 0
; MemoryBound: 0
; FloatMode: 240
; IeeeMode: 1
; LDSByteSize: 0 bytes/workgroup (compile time only)
; SGPRBlocks: 2
; VGPRBlocks: 1
; NumSGPRsForWavesPerEU: 18
; NumVGPRsForWavesPerEU: 9
; Occupancy: 16
; WaveLimiterHint : 0
; COMPUTE_PGM_RSRC2:SCRATCH_EN: 0
; COMPUTE_PGM_RSRC2:USER_SGPR: 15
; COMPUTE_PGM_RSRC2:TRAP_HANDLER: 0
; COMPUTE_PGM_RSRC2:TGID_X_EN: 1
; COMPUTE_PGM_RSRC2:TGID_Y_EN: 0
; COMPUTE_PGM_RSRC2:TGID_Z_EN: 0
; COMPUTE_PGM_RSRC2:TIDIG_COMP_CNT: 0
	.section	.text._ZN7rocprim6detail20lookback_scan_kernelILNS0_25lookback_scan_determinismE0ELb0ENS0_19wrapped_scan_configINS_14default_configEmEEPmS6_N6hipcub3SumEmmNS0_19lookback_scan_stateImLb1ELb1EEEEEvT2_T3_mT5_T4_T7_jPT6_SH_bb,"axG",@progbits,_ZN7rocprim6detail20lookback_scan_kernelILNS0_25lookback_scan_determinismE0ELb0ENS0_19wrapped_scan_configINS_14default_configEmEEPmS6_N6hipcub3SumEmmNS0_19lookback_scan_stateImLb1ELb1EEEEEvT2_T3_mT5_T4_T7_jPT6_SH_bb,comdat
	.protected	_ZN7rocprim6detail20lookback_scan_kernelILNS0_25lookback_scan_determinismE0ELb0ENS0_19wrapped_scan_configINS_14default_configEmEEPmS6_N6hipcub3SumEmmNS0_19lookback_scan_stateImLb1ELb1EEEEEvT2_T3_mT5_T4_T7_jPT6_SH_bb ; -- Begin function _ZN7rocprim6detail20lookback_scan_kernelILNS0_25lookback_scan_determinismE0ELb0ENS0_19wrapped_scan_configINS_14default_configEmEEPmS6_N6hipcub3SumEmmNS0_19lookback_scan_stateImLb1ELb1EEEEEvT2_T3_mT5_T4_T7_jPT6_SH_bb
	.globl	_ZN7rocprim6detail20lookback_scan_kernelILNS0_25lookback_scan_determinismE0ELb0ENS0_19wrapped_scan_configINS_14default_configEmEEPmS6_N6hipcub3SumEmmNS0_19lookback_scan_stateImLb1ELb1EEEEEvT2_T3_mT5_T4_T7_jPT6_SH_bb
	.p2align	8
	.type	_ZN7rocprim6detail20lookback_scan_kernelILNS0_25lookback_scan_determinismE0ELb0ENS0_19wrapped_scan_configINS_14default_configEmEEPmS6_N6hipcub3SumEmmNS0_19lookback_scan_stateImLb1ELb1EEEEEvT2_T3_mT5_T4_T7_jPT6_SH_bb,@function
_ZN7rocprim6detail20lookback_scan_kernelILNS0_25lookback_scan_determinismE0ELb0ENS0_19wrapped_scan_configINS_14default_configEmEEPmS6_N6hipcub3SumEmmNS0_19lookback_scan_stateImLb1ELb1EEEEEvT2_T3_mT5_T4_T7_jPT6_SH_bb: ; @_ZN7rocprim6detail20lookback_scan_kernelILNS0_25lookback_scan_determinismE0ELb0ENS0_19wrapped_scan_configINS_14default_configEmEEPmS6_N6hipcub3SumEmmNS0_19lookback_scan_stateImLb1ELb1EEEEEvT2_T3_mT5_T4_T7_jPT6_SH_bb
; %bb.0:
	s_endpgm
	.section	.rodata,"a",@progbits
	.p2align	6, 0x0
	.amdhsa_kernel _ZN7rocprim6detail20lookback_scan_kernelILNS0_25lookback_scan_determinismE0ELb0ENS0_19wrapped_scan_configINS_14default_configEmEEPmS6_N6hipcub3SumEmmNS0_19lookback_scan_stateImLb1ELb1EEEEEvT2_T3_mT5_T4_T7_jPT6_SH_bb
		.amdhsa_group_segment_fixed_size 0
		.amdhsa_private_segment_fixed_size 0
		.amdhsa_kernarg_size 76
		.amdhsa_user_sgpr_count 15
		.amdhsa_user_sgpr_dispatch_ptr 0
		.amdhsa_user_sgpr_queue_ptr 0
		.amdhsa_user_sgpr_kernarg_segment_ptr 1
		.amdhsa_user_sgpr_dispatch_id 0
		.amdhsa_user_sgpr_private_segment_size 0
		.amdhsa_wavefront_size32 1
		.amdhsa_uses_dynamic_stack 0
		.amdhsa_enable_private_segment 0
		.amdhsa_system_sgpr_workgroup_id_x 1
		.amdhsa_system_sgpr_workgroup_id_y 0
		.amdhsa_system_sgpr_workgroup_id_z 0
		.amdhsa_system_sgpr_workgroup_info 0
		.amdhsa_system_vgpr_workitem_id 0
		.amdhsa_next_free_vgpr 1
		.amdhsa_next_free_sgpr 1
		.amdhsa_reserve_vcc 0
		.amdhsa_float_round_mode_32 0
		.amdhsa_float_round_mode_16_64 0
		.amdhsa_float_denorm_mode_32 3
		.amdhsa_float_denorm_mode_16_64 3
		.amdhsa_dx10_clamp 1
		.amdhsa_ieee_mode 1
		.amdhsa_fp16_overflow 0
		.amdhsa_workgroup_processor_mode 1
		.amdhsa_memory_ordered 1
		.amdhsa_forward_progress 0
		.amdhsa_shared_vgpr_count 0
		.amdhsa_exception_fp_ieee_invalid_op 0
		.amdhsa_exception_fp_denorm_src 0
		.amdhsa_exception_fp_ieee_div_zero 0
		.amdhsa_exception_fp_ieee_overflow 0
		.amdhsa_exception_fp_ieee_underflow 0
		.amdhsa_exception_fp_ieee_inexact 0
		.amdhsa_exception_int_div_zero 0
	.end_amdhsa_kernel
	.section	.text._ZN7rocprim6detail20lookback_scan_kernelILNS0_25lookback_scan_determinismE0ELb0ENS0_19wrapped_scan_configINS_14default_configEmEEPmS6_N6hipcub3SumEmmNS0_19lookback_scan_stateImLb1ELb1EEEEEvT2_T3_mT5_T4_T7_jPT6_SH_bb,"axG",@progbits,_ZN7rocprim6detail20lookback_scan_kernelILNS0_25lookback_scan_determinismE0ELb0ENS0_19wrapped_scan_configINS_14default_configEmEEPmS6_N6hipcub3SumEmmNS0_19lookback_scan_stateImLb1ELb1EEEEEvT2_T3_mT5_T4_T7_jPT6_SH_bb,comdat
.Lfunc_end29:
	.size	_ZN7rocprim6detail20lookback_scan_kernelILNS0_25lookback_scan_determinismE0ELb0ENS0_19wrapped_scan_configINS_14default_configEmEEPmS6_N6hipcub3SumEmmNS0_19lookback_scan_stateImLb1ELb1EEEEEvT2_T3_mT5_T4_T7_jPT6_SH_bb, .Lfunc_end29-_ZN7rocprim6detail20lookback_scan_kernelILNS0_25lookback_scan_determinismE0ELb0ENS0_19wrapped_scan_configINS_14default_configEmEEPmS6_N6hipcub3SumEmmNS0_19lookback_scan_stateImLb1ELb1EEEEEvT2_T3_mT5_T4_T7_jPT6_SH_bb
                                        ; -- End function
	.section	.AMDGPU.csdata,"",@progbits
; Kernel info:
; codeLenInByte = 4
; NumSgprs: 0
; NumVgprs: 0
; ScratchSize: 0
; MemoryBound: 0
; FloatMode: 240
; IeeeMode: 1
; LDSByteSize: 0 bytes/workgroup (compile time only)
; SGPRBlocks: 0
; VGPRBlocks: 0
; NumSGPRsForWavesPerEU: 1
; NumVGPRsForWavesPerEU: 1
; Occupancy: 16
; WaveLimiterHint : 0
; COMPUTE_PGM_RSRC2:SCRATCH_EN: 0
; COMPUTE_PGM_RSRC2:USER_SGPR: 15
; COMPUTE_PGM_RSRC2:TRAP_HANDLER: 0
; COMPUTE_PGM_RSRC2:TGID_X_EN: 1
; COMPUTE_PGM_RSRC2:TGID_Y_EN: 0
; COMPUTE_PGM_RSRC2:TGID_Z_EN: 0
; COMPUTE_PGM_RSRC2:TIDIG_COMP_CNT: 0
	.section	.text._ZN7rocprim6detail20lookback_scan_kernelILNS0_25lookback_scan_determinismE0ELb0ENS0_19wrapped_scan_configINS_14default_configEmEEPmS6_N6hipcub3SumEmmNS0_19lookback_scan_stateImLb0ELb1EEEEEvT2_T3_mT5_T4_T7_jPT6_SH_bb,"axG",@progbits,_ZN7rocprim6detail20lookback_scan_kernelILNS0_25lookback_scan_determinismE0ELb0ENS0_19wrapped_scan_configINS_14default_configEmEEPmS6_N6hipcub3SumEmmNS0_19lookback_scan_stateImLb0ELb1EEEEEvT2_T3_mT5_T4_T7_jPT6_SH_bb,comdat
	.protected	_ZN7rocprim6detail20lookback_scan_kernelILNS0_25lookback_scan_determinismE0ELb0ENS0_19wrapped_scan_configINS_14default_configEmEEPmS6_N6hipcub3SumEmmNS0_19lookback_scan_stateImLb0ELb1EEEEEvT2_T3_mT5_T4_T7_jPT6_SH_bb ; -- Begin function _ZN7rocprim6detail20lookback_scan_kernelILNS0_25lookback_scan_determinismE0ELb0ENS0_19wrapped_scan_configINS_14default_configEmEEPmS6_N6hipcub3SumEmmNS0_19lookback_scan_stateImLb0ELb1EEEEEvT2_T3_mT5_T4_T7_jPT6_SH_bb
	.globl	_ZN7rocprim6detail20lookback_scan_kernelILNS0_25lookback_scan_determinismE0ELb0ENS0_19wrapped_scan_configINS_14default_configEmEEPmS6_N6hipcub3SumEmmNS0_19lookback_scan_stateImLb0ELb1EEEEEvT2_T3_mT5_T4_T7_jPT6_SH_bb
	.p2align	8
	.type	_ZN7rocprim6detail20lookback_scan_kernelILNS0_25lookback_scan_determinismE0ELb0ENS0_19wrapped_scan_configINS_14default_configEmEEPmS6_N6hipcub3SumEmmNS0_19lookback_scan_stateImLb0ELb1EEEEEvT2_T3_mT5_T4_T7_jPT6_SH_bb,@function
_ZN7rocprim6detail20lookback_scan_kernelILNS0_25lookback_scan_determinismE0ELb0ENS0_19wrapped_scan_configINS_14default_configEmEEPmS6_N6hipcub3SumEmmNS0_19lookback_scan_stateImLb0ELb1EEEEEvT2_T3_mT5_T4_T7_jPT6_SH_bb: ; @_ZN7rocprim6detail20lookback_scan_kernelILNS0_25lookback_scan_determinismE0ELb0ENS0_19wrapped_scan_configINS_14default_configEmEEPmS6_N6hipcub3SumEmmNS0_19lookback_scan_stateImLb0ELb1EEEEEvT2_T3_mT5_T4_T7_jPT6_SH_bb
; %bb.0:
	s_clause 0x2
	s_load_b32 s10, s[0:1], 0x30
	s_load_b64 s[2:3], s[0:1], 0x10
	s_load_b128 s[4:7], s[0:1], 0x0
	s_lshl_b32 s8, s15, 12
	s_mov_b32 s9, 0
	v_lshlrev_b32_e32 v80, 3, v0
	v_lshrrev_b32_e32 v37, 2, v0
	v_or_b32_e32 v79, 0x100, v0
	v_or_b32_e32 v78, 0x200, v0
	;; [unrolled: 1-line block ×13, first 2 shown]
	s_waitcnt lgkmcnt(0)
	s_add_i32 s10, s10, -1
	v_or_b32_e32 v66, 0xe00, v0
	s_lshl_b32 s11, s10, 12
	v_or_b32_e32 v65, 0xf00, v0
	s_sub_u32 s14, s2, s11
	s_subb_u32 s16, s3, 0
	s_cmp_lg_u32 s15, s10
	s_mov_b32 s3, -1
	s_cselect_b32 s17, -1, 0
	s_lshl_b64 s[12:13], s[8:9], 3
	s_delay_alu instid0(SALU_CYCLE_1)
	s_add_u32 s4, s4, s12
	s_addc_u32 s5, s5, s13
	s_and_b32 vcc_lo, exec_lo, s17
	s_cbranch_vccz .LBB30_2
; %bb.1:
	v_add_co_u32 v27, s2, s4, v80
	s_delay_alu instid0(VALU_DEP_1)
	v_add_co_ci_u32_e64 v28, null, s5, 0, s2
	s_clause 0x1
	global_load_b64 v[1:2], v80, s[4:5]
	global_load_b64 v[3:4], v80, s[4:5] offset:2048
	v_add_co_u32 v5, vcc_lo, 0x1000, v27
	v_add_co_ci_u32_e32 v6, vcc_lo, 0, v28, vcc_lo
	v_add_co_u32 v7, vcc_lo, v27, 0x2000
	v_add_co_ci_u32_e32 v8, vcc_lo, 0, v28, vcc_lo
	;; [unrolled: 2-line block ×10, first 2 shown]
	s_clause 0xd
	global_load_b64 v[17:18], v[7:8], off offset:-4096
	global_load_b64 v[7:8], v[7:8], off
	global_load_b64 v[19:20], v[13:14], off offset:-4096
	global_load_b64 v[13:14], v[13:14], off
	global_load_b64 v[5:6], v[5:6], off offset:2048
	global_load_b64 v[9:10], v[9:10], off offset:2048
	;; [unrolled: 1-line block ×4, first 2 shown]
	global_load_b64 v[29:30], v[23:24], off offset:-4096
	global_load_b64 v[21:22], v[21:22], off offset:2048
	global_load_b64 v[23:24], v[23:24], off
	global_load_b64 v[25:26], v[25:26], off offset:2048
	global_load_b64 v[31:32], v[27:28], off
	global_load_b64 v[27:28], v[27:28], off offset:2048
	v_lshrrev_b32_e32 v34, 2, v79
	v_lshrrev_b32_e32 v35, 2, v78
	;; [unrolled: 1-line block ×4, first 2 shown]
	v_and_b32_e32 v33, 56, v37
	v_lshrrev_b32_e32 v39, 2, v75
	v_lshrrev_b32_e32 v40, 2, v74
	;; [unrolled: 1-line block ×11, first 2 shown]
	v_and_b32_e32 v34, 0x78, v34
	v_and_b32_e32 v35, 0xb8, v35
	;; [unrolled: 1-line block ×4, first 2 shown]
	v_add_nc_u32_e32 v33, v33, v80
	v_and_b32_e32 v39, 0x178, v39
	v_and_b32_e32 v40, 0x1b8, v40
	;; [unrolled: 1-line block ×11, first 2 shown]
	v_add_nc_u32_e32 v34, v34, v80
	v_add_nc_u32_e32 v35, v35, v80
	;; [unrolled: 1-line block ×4, first 2 shown]
	s_mov_b32 s3, 0
	v_add_nc_u32_e32 v39, v39, v80
	v_add_nc_u32_e32 v40, v40, v80
	;; [unrolled: 1-line block ×11, first 2 shown]
	s_waitcnt vmcnt(15)
	ds_store_b64 v33, v[1:2]
	s_waitcnt vmcnt(14)
	ds_store_b64 v34, v[3:4] offset:2048
	s_waitcnt vmcnt(13)
	ds_store_b64 v35, v[17:18] offset:4096
	;; [unrolled: 2-line block ×3, first 2 shown]
	ds_store_b64 v38, v[7:8] offset:8192
	s_waitcnt vmcnt(8)
	ds_store_b64 v39, v[9:10] offset:10240
	ds_store_b64 v40, v[19:20] offset:12288
	s_waitcnt vmcnt(7)
	ds_store_b64 v41, v[11:12] offset:14336
	;; [unrolled: 3-line block ×3, first 2 shown]
	s_waitcnt vmcnt(5)
	ds_store_b64 v44, v[29:30] offset:20480
	s_waitcnt vmcnt(4)
	ds_store_b64 v45, v[21:22] offset:22528
	s_waitcnt vmcnt(3)
	ds_store_b64 v46, v[23:24] offset:24576
	s_waitcnt vmcnt(2)
	ds_store_b64 v47, v[25:26] offset:26624
	s_waitcnt vmcnt(1)
	ds_store_b64 v48, v[31:32] offset:28672
	s_waitcnt vmcnt(0)
	ds_store_b64 v49, v[27:28] offset:30720
	s_waitcnt lgkmcnt(0)
	s_barrier
.LBB30_2:
	v_cmp_gt_u32_e64 s2, s14, v0
	s_and_not1_b32 vcc_lo, exec_lo, s3
	s_cbranch_vccnz .LBB30_21
; %bb.3:
	s_load_b64 s[36:37], s[4:5], 0x0
	v_add_co_u32 v35, s3, s4, v80
	s_delay_alu instid0(VALU_DEP_1)
	v_add_co_ci_u32_e64 v36, null, s5, 0, s3
	s_waitcnt lgkmcnt(0)
	s_mov_b32 s38, s36
	s_mov_b32 s39, s37
	;; [unrolled: 1-line block ×30, first 2 shown]
	v_dual_mov_b32 v1, s36 :: v_dual_mov_b32 v2, s37
	v_dual_mov_b32 v3, s38 :: v_dual_mov_b32 v4, s39
	;; [unrolled: 1-line block ×17, first 2 shown]
	s_and_saveexec_b32 s3, s2
	s_cbranch_execnz .LBB30_168
; %bb.4:
	s_or_b32 exec_lo, exec_lo, s3
	s_delay_alu instid0(SALU_CYCLE_1)
	s_mov_b32 s2, exec_lo
	v_cmpx_gt_u32_e64 s14, v79
	s_cbranch_execnz .LBB30_169
.LBB30_5:
	s_or_b32 exec_lo, exec_lo, s2
	s_delay_alu instid0(SALU_CYCLE_1)
	s_mov_b32 s2, exec_lo
	v_cmpx_gt_u32_e64 s14, v78
	s_cbranch_execnz .LBB30_170
.LBB30_6:
	s_or_b32 exec_lo, exec_lo, s2
	s_delay_alu instid0(SALU_CYCLE_1)
	s_mov_b32 s2, exec_lo
	v_cmpx_gt_u32_e64 s14, v77
	s_cbranch_execnz .LBB30_171
.LBB30_7:
	s_or_b32 exec_lo, exec_lo, s2
	s_delay_alu instid0(SALU_CYCLE_1)
	s_mov_b32 s2, exec_lo
	v_cmpx_gt_u32_e64 s14, v76
	s_cbranch_execnz .LBB30_172
.LBB30_8:
	s_or_b32 exec_lo, exec_lo, s2
	s_delay_alu instid0(SALU_CYCLE_1)
	s_mov_b32 s2, exec_lo
	v_cmpx_gt_u32_e64 s14, v75
	s_cbranch_execnz .LBB30_173
.LBB30_9:
	s_or_b32 exec_lo, exec_lo, s2
	s_delay_alu instid0(SALU_CYCLE_1)
	s_mov_b32 s2, exec_lo
	v_cmpx_gt_u32_e64 s14, v74
	s_cbranch_execnz .LBB30_174
.LBB30_10:
	s_or_b32 exec_lo, exec_lo, s2
	s_delay_alu instid0(SALU_CYCLE_1)
	s_mov_b32 s2, exec_lo
	v_cmpx_gt_u32_e64 s14, v73
	s_cbranch_execnz .LBB30_175
.LBB30_11:
	s_or_b32 exec_lo, exec_lo, s2
	s_delay_alu instid0(SALU_CYCLE_1)
	s_mov_b32 s2, exec_lo
	v_cmpx_gt_u32_e64 s14, v72
	s_cbranch_execnz .LBB30_176
.LBB30_12:
	s_or_b32 exec_lo, exec_lo, s2
	s_delay_alu instid0(SALU_CYCLE_1)
	s_mov_b32 s2, exec_lo
	v_cmpx_gt_u32_e64 s14, v71
	s_cbranch_execnz .LBB30_177
.LBB30_13:
	s_or_b32 exec_lo, exec_lo, s2
	s_delay_alu instid0(SALU_CYCLE_1)
	s_mov_b32 s2, exec_lo
	v_cmpx_gt_u32_e64 s14, v70
	s_cbranch_execnz .LBB30_178
.LBB30_14:
	s_or_b32 exec_lo, exec_lo, s2
	s_delay_alu instid0(SALU_CYCLE_1)
	s_mov_b32 s2, exec_lo
	v_cmpx_gt_u32_e64 s14, v69
	s_cbranch_execnz .LBB30_179
.LBB30_15:
	s_or_b32 exec_lo, exec_lo, s2
	s_delay_alu instid0(SALU_CYCLE_1)
	s_mov_b32 s2, exec_lo
	v_cmpx_gt_u32_e64 s14, v68
	s_cbranch_execnz .LBB30_180
.LBB30_16:
	s_or_b32 exec_lo, exec_lo, s2
	s_delay_alu instid0(SALU_CYCLE_1)
	s_mov_b32 s2, exec_lo
	v_cmpx_gt_u32_e64 s14, v67
	s_cbranch_execnz .LBB30_181
.LBB30_17:
	s_or_b32 exec_lo, exec_lo, s2
	s_delay_alu instid0(SALU_CYCLE_1)
	s_mov_b32 s2, exec_lo
	v_cmpx_gt_u32_e64 s14, v66
	s_cbranch_execnz .LBB30_182
.LBB30_18:
	s_or_b32 exec_lo, exec_lo, s2
	s_delay_alu instid0(SALU_CYCLE_1)
	s_mov_b32 s2, exec_lo
	v_cmpx_gt_u32_e64 s14, v65
	s_cbranch_execz .LBB30_20
.LBB30_19:
	v_add_co_u32 v1, vcc_lo, 0x7000, v35
	v_add_co_ci_u32_e32 v2, vcc_lo, 0, v36, vcc_lo
	global_load_b64 v[31:32], v[1:2], off offset:2048
.LBB30_20:
	s_or_b32 exec_lo, exec_lo, s2
	v_lshrrev_b32_e32 v1, 2, v79
	v_lshrrev_b32_e32 v2, 2, v78
	;; [unrolled: 1-line block ×3, first 2 shown]
	v_and_b32_e32 v36, 56, v37
	v_lshrrev_b32_e32 v37, 2, v76
	v_and_b32_e32 v1, 0x78, v1
	v_and_b32_e32 v2, 0xf8, v2
	;; [unrolled: 1-line block ×3, first 2 shown]
	v_lshrrev_b32_e32 v38, 2, v75
	v_add_nc_u32_e32 v36, v36, v80
	v_add_nc_u32_e32 v1, v1, v80
	v_lshrrev_b32_e32 v39, 2, v74
	v_add_nc_u32_e32 v2, v2, v80
	v_lshrrev_b32_e32 v40, 2, v73
	v_add_nc_u32_e32 v35, v35, v80
	v_and_b32_e32 v37, 0x1f8, v37
	v_and_b32_e32 v38, 0x1f8, v38
	s_waitcnt vmcnt(0)
	ds_store_b64 v36, v[33:34]
	ds_store_b64 v1, v[3:4] offset:2048
	ds_store_b64 v2, v[5:6] offset:4096
	;; [unrolled: 1-line block ×3, first 2 shown]
	v_lshrrev_b32_e32 v5, 2, v72
	v_and_b32_e32 v3, 0x1f8, v39
	v_lshrrev_b32_e32 v6, 2, v71
	v_lshrrev_b32_e32 v7, 2, v70
	v_and_b32_e32 v4, 0x1f8, v40
	v_add_nc_u32_e32 v1, v37, v80
	v_add_nc_u32_e32 v2, v38, v80
	v_and_b32_e32 v5, 0x3f8, v5
	v_add_nc_u32_e32 v3, v3, v80
	v_and_b32_e32 v6, 0x3f8, v6
	v_and_b32_e32 v7, 0x3f8, v7
	v_add_nc_u32_e32 v4, v4, v80
	ds_store_b64 v1, v[9:10] offset:8192
	ds_store_b64 v2, v[11:12] offset:10240
	;; [unrolled: 1-line block ×4, first 2 shown]
	v_lshrrev_b32_e32 v4, 2, v69
	v_add_nc_u32_e32 v1, v5, v80
	v_lshrrev_b32_e32 v5, 2, v68
	v_add_nc_u32_e32 v2, v6, v80
	v_add_nc_u32_e32 v3, v7, v80
	v_lshrrev_b32_e32 v6, 2, v67
	v_lshrrev_b32_e32 v7, 2, v66
	;; [unrolled: 1-line block ×3, first 2 shown]
	v_and_b32_e32 v4, 0x3f8, v4
	v_and_b32_e32 v5, 0x3f8, v5
	;; [unrolled: 1-line block ×5, first 2 shown]
	v_add_nc_u32_e32 v4, v4, v80
	v_add_nc_u32_e32 v5, v5, v80
	;; [unrolled: 1-line block ×5, first 2 shown]
	ds_store_b64 v1, v[17:18] offset:16384
	ds_store_b64 v2, v[19:20] offset:18432
	;; [unrolled: 1-line block ×8, first 2 shown]
	s_waitcnt lgkmcnt(0)
	s_barrier
.LBB30_21:
	v_lshlrev_b32_e32 v1, 4, v0
	v_lshrrev_b32_e32 v82, 1, v0
	buffer_gl0_inv
	s_load_b64 s[4:5], s[0:1], 0x28
	v_lshrrev_b32_e32 v81, 5, v0
	v_cmp_gt_u32_e32 vcc_lo, 32, v0
	v_add_lshl_u32 v1, v82, v1, 3
	s_cmp_lg_u32 s15, 0
	ds_load_2addr_b64 v[57:60], v1 offset1:1
	ds_load_2addr_b64 v[61:64], v1 offset0:2 offset1:3
	ds_load_2addr_b64 v[53:56], v1 offset0:4 offset1:5
	;; [unrolled: 1-line block ×7, first 2 shown]
	s_waitcnt lgkmcnt(0)
	s_barrier
	buffer_gl0_inv
	s_cbranch_scc0 .LBB30_74
; %bb.22:
	v_add_co_u32 v1, s2, v59, v57
	s_delay_alu instid0(VALU_DEP_1) | instskip(SKIP_1) | instid1(VALU_DEP_3)
	v_add_co_ci_u32_e64 v2, s2, v60, v58, s2
	v_add_lshl_u32 v3, v81, v0, 3
	v_add_co_u32 v1, s2, v1, v61
	s_delay_alu instid0(VALU_DEP_1) | instskip(NEXT) | instid1(VALU_DEP_2)
	v_add_co_ci_u32_e64 v2, s2, v2, v62, s2
	v_add_co_u32 v1, s2, v1, v63
	s_delay_alu instid0(VALU_DEP_1) | instskip(NEXT) | instid1(VALU_DEP_2)
	v_add_co_ci_u32_e64 v2, s2, v2, v64, s2
	;; [unrolled: 3-line block ×13, first 2 shown]
	v_add_co_u32 v17, s2, v1, v35
	s_delay_alu instid0(VALU_DEP_1)
	v_add_co_ci_u32_e64 v18, s2, v2, v36, s2
	ds_store_b64 v3, v[17:18]
	s_waitcnt lgkmcnt(0)
	s_barrier
	buffer_gl0_inv
	s_and_saveexec_b32 s3, vcc_lo
	s_cbranch_execz .LBB30_32
; %bb.23:
	v_lshlrev_b32_e32 v1, 1, v0
	v_mbcnt_lo_u32_b32 v24, -1, 0
	s_mov_b32 s8, exec_lo
	s_delay_alu instid0(VALU_DEP_2) | instskip(NEXT) | instid1(VALU_DEP_2)
	v_and_b32_e32 v1, 0x1f8, v1
	v_and_b32_e32 v25, 15, v24
	s_delay_alu instid0(VALU_DEP_2)
	v_lshl_or_b32 v23, v0, 6, v1
	ds_load_2addr_b64 v[1:4], v23 offset1:1
	ds_load_2addr_b64 v[5:8], v23 offset0:2 offset1:3
	ds_load_2addr_b64 v[9:12], v23 offset0:4 offset1:5
	;; [unrolled: 1-line block ×3, first 2 shown]
	s_waitcnt lgkmcnt(3)
	v_add_co_u32 v19, s2, v3, v1
	s_delay_alu instid0(VALU_DEP_1) | instskip(SKIP_1) | instid1(VALU_DEP_2)
	v_add_co_ci_u32_e64 v20, s2, v4, v2, s2
	s_waitcnt lgkmcnt(2)
	v_add_co_u32 v19, s2, v19, v5
	s_delay_alu instid0(VALU_DEP_1) | instskip(NEXT) | instid1(VALU_DEP_2)
	v_add_co_ci_u32_e64 v20, s2, v20, v6, s2
	v_add_co_u32 v19, s2, v19, v7
	s_delay_alu instid0(VALU_DEP_1) | instskip(SKIP_1) | instid1(VALU_DEP_2)
	v_add_co_ci_u32_e64 v20, s2, v20, v8, s2
	s_waitcnt lgkmcnt(1)
	v_add_co_u32 v19, s2, v19, v9
	s_delay_alu instid0(VALU_DEP_1) | instskip(NEXT) | instid1(VALU_DEP_2)
	v_add_co_ci_u32_e64 v20, s2, v20, v10, s2
	;; [unrolled: 7-line block ×3, first 2 shown]
	v_add_co_u32 v19, s2, v19, v15
	s_delay_alu instid0(VALU_DEP_1) | instskip(NEXT) | instid1(VALU_DEP_2)
	v_add_co_ci_u32_e64 v20, s2, v20, v16, s2
	v_mov_b32_dpp v27, v19 row_shr:1 row_mask:0xf bank_mask:0xf
	s_delay_alu instid0(VALU_DEP_2)
	v_mov_b32_e32 v22, v20
	v_mov_b32_dpp v26, v20 row_shr:1 row_mask:0xf bank_mask:0xf
	v_mov_b32_e32 v21, v19
	v_cmpx_ne_u32_e32 0, v25
; %bb.24:
	v_add_co_u32 v19, s2, v19, v27
	s_delay_alu instid0(VALU_DEP_1) | instskip(NEXT) | instid1(VALU_DEP_2)
	v_add_co_ci_u32_e64 v20, s2, 0, v20, s2
	v_add_co_u32 v21, s2, 0, v19
	s_delay_alu instid0(VALU_DEP_1) | instskip(NEXT) | instid1(VALU_DEP_1)
	v_add_co_ci_u32_e64 v22, s2, v26, v20, s2
	v_mov_b32_e32 v20, v22
; %bb.25:
	s_or_b32 exec_lo, exec_lo, s8
	v_mov_b32_dpp v27, v19 row_shr:2 row_mask:0xf bank_mask:0xf
	s_delay_alu instid0(VALU_DEP_2)
	v_mov_b32_dpp v26, v20 row_shr:2 row_mask:0xf bank_mask:0xf
	s_mov_b32 s8, exec_lo
	v_cmpx_lt_u32_e32 1, v25
; %bb.26:
	s_delay_alu instid0(VALU_DEP_3) | instskip(NEXT) | instid1(VALU_DEP_1)
	v_add_co_u32 v19, s2, v21, v27
	v_add_co_ci_u32_e64 v20, s2, 0, v22, s2
	s_delay_alu instid0(VALU_DEP_2) | instskip(NEXT) | instid1(VALU_DEP_1)
	v_add_co_u32 v21, s2, 0, v19
	v_add_co_ci_u32_e64 v22, s2, v26, v20, s2
	s_delay_alu instid0(VALU_DEP_1)
	v_mov_b32_e32 v20, v22
; %bb.27:
	s_or_b32 exec_lo, exec_lo, s8
	v_mov_b32_dpp v27, v19 row_shr:4 row_mask:0xf bank_mask:0xf
	s_delay_alu instid0(VALU_DEP_2)
	v_mov_b32_dpp v26, v20 row_shr:4 row_mask:0xf bank_mask:0xf
	s_mov_b32 s8, exec_lo
	v_cmpx_lt_u32_e32 3, v25
; %bb.28:
	s_delay_alu instid0(VALU_DEP_3) | instskip(NEXT) | instid1(VALU_DEP_1)
	v_add_co_u32 v19, s2, v21, v27
	v_add_co_ci_u32_e64 v20, s2, 0, v22, s2
	s_delay_alu instid0(VALU_DEP_2) | instskip(NEXT) | instid1(VALU_DEP_1)
	v_add_co_u32 v21, s2, 0, v19
	v_add_co_ci_u32_e64 v22, s2, v26, v20, s2
	s_delay_alu instid0(VALU_DEP_1)
	;; [unrolled: 16-line block ×3, first 2 shown]
	v_mov_b32_e32 v20, v22
; %bb.31:
	s_or_b32 exec_lo, exec_lo, s8
	ds_swizzle_b32 v25, v19 offset:swizzle(BROADCAST,32,15)
	ds_swizzle_b32 v26, v20 offset:swizzle(BROADCAST,32,15)
	v_add_nc_u32_e32 v27, -1, v24
	v_and_b32_e32 v28, 16, v24
	s_delay_alu instid0(VALU_DEP_2) | instskip(NEXT) | instid1(VALU_DEP_1)
	v_cmp_gt_i32_e64 s2, 0, v27
	v_cndmask_b32_e64 v24, v27, v24, s2
	s_delay_alu instid0(VALU_DEP_1) | instskip(SKIP_2) | instid1(VALU_DEP_1)
	v_lshlrev_b32_e32 v24, 2, v24
	s_waitcnt lgkmcnt(1)
	v_add_co_u32 v21, s2, v21, v25
	v_add_co_ci_u32_e64 v22, s2, 0, v22, s2
	v_cmp_eq_u32_e64 s2, 0, v28
	s_delay_alu instid0(VALU_DEP_1) | instskip(SKIP_1) | instid1(VALU_DEP_3)
	v_cndmask_b32_e64 v19, v21, v19, s2
	s_waitcnt lgkmcnt(0)
	v_add_nc_u32_e32 v21, v26, v22
	ds_bpermute_b32 v19, v24, v19
	v_cndmask_b32_e64 v20, v21, v20, s2
	ds_bpermute_b32 v20, v24, v20
	s_waitcnt lgkmcnt(1)
	v_add_co_u32 v1, s2, v1, v19
	s_delay_alu instid0(VALU_DEP_1) | instskip(NEXT) | instid1(VALU_DEP_2)
	v_add_co_ci_u32_e64 v2, s2, 0, v2, s2
	v_add_co_u32 v1, s2, v1, 0
	s_waitcnt lgkmcnt(0)
	s_delay_alu instid0(VALU_DEP_2) | instskip(SKIP_1) | instid1(VALU_DEP_1)
	v_add_co_ci_u32_e64 v2, s2, v2, v20, s2
	v_cmp_eq_u32_e64 s2, 0, v0
	v_cndmask_b32_e64 v1, v1, v17, s2
	s_delay_alu instid0(VALU_DEP_3) | instskip(NEXT) | instid1(VALU_DEP_2)
	v_cndmask_b32_e64 v2, v2, v18, s2
	v_add_co_u32 v3, s2, v1, v3
	s_delay_alu instid0(VALU_DEP_1) | instskip(NEXT) | instid1(VALU_DEP_2)
	v_add_co_ci_u32_e64 v4, s2, v2, v4, s2
	v_add_co_u32 v5, s2, v3, v5
	s_delay_alu instid0(VALU_DEP_1) | instskip(NEXT) | instid1(VALU_DEP_2)
	v_add_co_ci_u32_e64 v6, s2, v4, v6, s2
	;; [unrolled: 3-line block ×6, first 2 shown]
	v_add_co_u32 v15, s2, v13, v15
	s_delay_alu instid0(VALU_DEP_1)
	v_add_co_ci_u32_e64 v16, s2, v14, v16, s2
	ds_store_2addr_b64 v23, v[1:2], v[3:4] offset1:1
	ds_store_2addr_b64 v23, v[5:6], v[7:8] offset0:2 offset1:3
	ds_store_2addr_b64 v23, v[9:10], v[11:12] offset0:4 offset1:5
	ds_store_2addr_b64 v23, v[13:14], v[15:16] offset0:6 offset1:7
.LBB30_32:
	s_or_b32 exec_lo, exec_lo, s3
	v_mov_b32_e32 v7, 0
	v_cmp_eq_u32_e64 s2, 0, v0
	v_mov_b32_e32 v8, 0
	s_mov_b32 s8, exec_lo
	s_waitcnt lgkmcnt(0)
	s_barrier
	buffer_gl0_inv
	v_cmpx_ne_u32_e32 0, v0
	s_cbranch_execz .LBB30_34
; %bb.33:
	v_add_nc_u32_e32 v1, -1, v0
	s_delay_alu instid0(VALU_DEP_1) | instskip(NEXT) | instid1(VALU_DEP_1)
	v_lshrrev_b32_e32 v2, 5, v1
	v_add_lshl_u32 v1, v2, v1, 3
	ds_load_b64 v[7:8], v1
.LBB30_34:
	s_or_b32 exec_lo, exec_lo, s8
	s_and_saveexec_b32 s10, vcc_lo
	s_cbranch_execz .LBB30_73
; %bb.35:
	v_mov_b32_e32 v4, 0
	v_mbcnt_lo_u32_b32 v12, -1, 0
	ds_load_b64 v[1:2], v4 offset:2096
	v_cmp_eq_u32_e64 s3, 0, v12
	s_delay_alu instid0(VALU_DEP_1)
	s_and_saveexec_b32 s11, s3
	s_cbranch_execz .LBB30_37
; %bb.36:
	s_add_i32 s8, s15, 32
	s_delay_alu instid0(SALU_CYCLE_1) | instskip(NEXT) | instid1(SALU_CYCLE_1)
	s_lshl_b64 s[8:9], s[8:9], 4
	s_add_u32 s8, s4, s8
	s_addc_u32 s9, s5, s9
	v_mov_b32_e32 v5, s8
	v_dual_mov_b32 v3, 1 :: v_dual_mov_b32 v6, s9
	s_waitcnt lgkmcnt(0)
	;;#ASMSTART
	global_store_dwordx4 v[5:6], v[1:4] off	
s_waitcnt vmcnt(0)
	;;#ASMEND
.LBB30_37:
	s_or_b32 exec_lo, exec_lo, s11
	v_xad_u32 v9, v12, -1, s15
	s_mov_b32 s8, exec_lo
	s_delay_alu instid0(VALU_DEP_1) | instskip(NEXT) | instid1(VALU_DEP_1)
	v_add_nc_u32_e32 v3, 32, v9
	v_lshlrev_b64 v[3:4], 4, v[3:4]
	s_delay_alu instid0(VALU_DEP_1) | instskip(NEXT) | instid1(VALU_DEP_2)
	v_add_co_u32 v10, vcc_lo, s4, v3
	v_add_co_ci_u32_e32 v11, vcc_lo, s5, v4, vcc_lo
	;;#ASMSTART
	global_load_dwordx4 v[3:6], v[10:11] off glc	
s_waitcnt vmcnt(0)
	;;#ASMEND
	v_and_b32_e32 v6, 0xff, v5
	s_delay_alu instid0(VALU_DEP_1)
	v_cmpx_eq_u16_e32 0, v6
	s_cbranch_execz .LBB30_41
; %bb.38:
	s_mov_b32 s9, 0
.LBB30_39:                              ; =>This Inner Loop Header: Depth=1
	;;#ASMSTART
	global_load_dwordx4 v[3:6], v[10:11] off glc	
s_waitcnt vmcnt(0)
	;;#ASMEND
	v_and_b32_e32 v6, 0xff, v5
	s_delay_alu instid0(VALU_DEP_1) | instskip(SKIP_1) | instid1(SALU_CYCLE_1)
	v_cmp_ne_u16_e32 vcc_lo, 0, v6
	s_or_b32 s9, vcc_lo, s9
	s_and_not1_b32 exec_lo, exec_lo, s9
	s_cbranch_execnz .LBB30_39
; %bb.40:
	s_or_b32 exec_lo, exec_lo, s9
.LBB30_41:
	s_delay_alu instid0(SALU_CYCLE_1)
	s_or_b32 exec_lo, exec_lo, s8
	v_cmp_ne_u32_e32 vcc_lo, 31, v12
	v_and_b32_e32 v10, 0xff, v5
	v_lshlrev_b32_e64 v16, v12, -1
	v_add_nc_u32_e32 v17, 1, v12
	s_mov_b32 s8, exec_lo
	v_add_co_ci_u32_e32 v6, vcc_lo, 0, v12, vcc_lo
	v_cmp_eq_u16_e32 vcc_lo, 2, v10
	s_delay_alu instid0(VALU_DEP_2) | instskip(SKIP_4) | instid1(VALU_DEP_1)
	v_dual_mov_b32 v10, v3 :: v_dual_lshlrev_b32 v15, 2, v6
	v_and_or_b32 v6, vcc_lo, v16, 0x80000000
	ds_bpermute_b32 v13, v15, v3
	ds_bpermute_b32 v11, v15, v4
	v_ctz_i32_b32_e32 v6, v6
	v_cmpx_le_u32_e64 v17, v6
	s_cbranch_execz .LBB30_43
; %bb.42:
	s_waitcnt lgkmcnt(1)
	v_add_co_u32 v10, vcc_lo, v3, v13
	v_add_co_ci_u32_e32 v4, vcc_lo, 0, v4, vcc_lo
	s_delay_alu instid0(VALU_DEP_2) | instskip(SKIP_1) | instid1(VALU_DEP_2)
	v_add_co_u32 v3, vcc_lo, 0, v10
	s_waitcnt lgkmcnt(0)
	v_add_co_ci_u32_e32 v4, vcc_lo, v11, v4, vcc_lo
.LBB30_43:
	s_or_b32 exec_lo, exec_lo, s8
	v_cmp_gt_u32_e32 vcc_lo, 30, v12
	v_add_nc_u32_e32 v19, 2, v12
	s_mov_b32 s8, exec_lo
	s_waitcnt lgkmcnt(0)
	v_cndmask_b32_e64 v11, 0, 1, vcc_lo
	s_delay_alu instid0(VALU_DEP_1) | instskip(NEXT) | instid1(VALU_DEP_1)
	v_lshlrev_b32_e32 v11, 1, v11
	v_add_lshl_u32 v18, v11, v12, 2
	ds_bpermute_b32 v13, v18, v10
	ds_bpermute_b32 v11, v18, v4
	v_cmpx_le_u32_e64 v19, v6
	s_cbranch_execz .LBB30_45
; %bb.44:
	s_waitcnt lgkmcnt(1)
	v_add_co_u32 v10, vcc_lo, v3, v13
	v_add_co_ci_u32_e32 v4, vcc_lo, 0, v4, vcc_lo
	s_delay_alu instid0(VALU_DEP_2) | instskip(SKIP_1) | instid1(VALU_DEP_2)
	v_add_co_u32 v3, vcc_lo, 0, v10
	s_waitcnt lgkmcnt(0)
	v_add_co_ci_u32_e32 v4, vcc_lo, v11, v4, vcc_lo
.LBB30_45:
	s_or_b32 exec_lo, exec_lo, s8
	v_cmp_gt_u32_e32 vcc_lo, 28, v12
	v_add_nc_u32_e32 v21, 4, v12
	s_mov_b32 s8, exec_lo
	s_waitcnt lgkmcnt(0)
	v_cndmask_b32_e64 v11, 0, 1, vcc_lo
	s_delay_alu instid0(VALU_DEP_1) | instskip(NEXT) | instid1(VALU_DEP_1)
	v_lshlrev_b32_e32 v11, 2, v11
	v_add_lshl_u32 v20, v11, v12, 2
	ds_bpermute_b32 v13, v20, v10
	ds_bpermute_b32 v11, v20, v4
	v_cmpx_le_u32_e64 v21, v6
	s_cbranch_execz .LBB30_47
; %bb.46:
	s_waitcnt lgkmcnt(1)
	v_add_co_u32 v10, vcc_lo, v3, v13
	v_add_co_ci_u32_e32 v4, vcc_lo, 0, v4, vcc_lo
	s_delay_alu instid0(VALU_DEP_2) | instskip(SKIP_1) | instid1(VALU_DEP_2)
	v_add_co_u32 v3, vcc_lo, 0, v10
	s_waitcnt lgkmcnt(0)
	v_add_co_ci_u32_e32 v4, vcc_lo, v11, v4, vcc_lo
.LBB30_47:
	s_or_b32 exec_lo, exec_lo, s8
	v_cmp_gt_u32_e32 vcc_lo, 24, v12
	v_add_nc_u32_e32 v23, 8, v12
	s_mov_b32 s8, exec_lo
	s_waitcnt lgkmcnt(0)
	v_cndmask_b32_e64 v11, 0, 1, vcc_lo
	s_delay_alu instid0(VALU_DEP_1) | instskip(NEXT) | instid1(VALU_DEP_1)
	v_lshlrev_b32_e32 v11, 3, v11
	v_add_lshl_u32 v22, v11, v12, 2
	ds_bpermute_b32 v13, v22, v10
	ds_bpermute_b32 v11, v22, v4
	v_cmpx_le_u32_e64 v23, v6
	s_cbranch_execz .LBB30_49
; %bb.48:
	s_waitcnt lgkmcnt(1)
	v_add_co_u32 v10, vcc_lo, v3, v13
	v_add_co_ci_u32_e32 v4, vcc_lo, 0, v4, vcc_lo
	s_delay_alu instid0(VALU_DEP_2) | instskip(SKIP_1) | instid1(VALU_DEP_2)
	v_add_co_u32 v3, vcc_lo, 0, v10
	s_waitcnt lgkmcnt(0)
	v_add_co_ci_u32_e32 v4, vcc_lo, v11, v4, vcc_lo
.LBB30_49:
	s_or_b32 exec_lo, exec_lo, s8
	v_cmp_gt_u32_e32 vcc_lo, 16, v12
	v_add_nc_u32_e32 v25, 16, v12
	s_mov_b32 s8, exec_lo
	s_waitcnt lgkmcnt(0)
	v_cndmask_b32_e64 v11, 0, 1, vcc_lo
	s_delay_alu instid0(VALU_DEP_1) | instskip(NEXT) | instid1(VALU_DEP_1)
	v_lshlrev_b32_e32 v11, 4, v11
	v_add_lshl_u32 v24, v11, v12, 2
	ds_bpermute_b32 v11, v24, v10
	ds_bpermute_b32 v10, v24, v4
	v_cmpx_le_u32_e64 v25, v6
	s_cbranch_execz .LBB30_51
; %bb.50:
	s_waitcnt lgkmcnt(1)
	v_add_co_u32 v3, vcc_lo, v3, v11
	v_add_co_ci_u32_e32 v4, vcc_lo, 0, v4, vcc_lo
	s_delay_alu instid0(VALU_DEP_2) | instskip(SKIP_1) | instid1(VALU_DEP_2)
	v_add_co_u32 v3, vcc_lo, v3, 0
	s_waitcnt lgkmcnt(0)
	v_add_co_ci_u32_e32 v4, vcc_lo, v4, v10, vcc_lo
.LBB30_51:
	s_or_b32 exec_lo, exec_lo, s8
	s_waitcnt lgkmcnt(0)
	v_mov_b32_e32 v10, 0
	s_branch .LBB30_53
.LBB30_52:                              ;   in Loop: Header=BB30_53 Depth=1
	s_or_b32 exec_lo, exec_lo, s8
	v_add_co_u32 v3, vcc_lo, v3, v11
	v_subrev_nc_u32_e32 v9, 32, v9
	v_add_co_ci_u32_e32 v4, vcc_lo, v4, v12, vcc_lo
.LBB30_53:                              ; =>This Loop Header: Depth=1
                                        ;     Child Loop BB30_56 Depth 2
	s_delay_alu instid0(VALU_DEP_1) | instskip(NEXT) | instid1(VALU_DEP_4)
	v_dual_mov_b32 v12, v4 :: v_dual_and_b32 v5, 0xff, v5
	v_mov_b32_e32 v11, v3
	s_delay_alu instid0(VALU_DEP_2) | instskip(SKIP_2) | instid1(VALU_DEP_1)
	v_cmp_ne_u16_e32 vcc_lo, 2, v5
	v_cndmask_b32_e64 v5, 0, 1, vcc_lo
	;;#ASMSTART
	;;#ASMEND
	v_cmp_ne_u32_e32 vcc_lo, 0, v5
	s_cmp_lg_u32 vcc_lo, exec_lo
	s_cbranch_scc1 .LBB30_68
; %bb.54:                               ;   in Loop: Header=BB30_53 Depth=1
	v_lshlrev_b64 v[3:4], 4, v[9:10]
	s_mov_b32 s8, exec_lo
	s_waitcnt lgkmcnt(0)
	s_delay_alu instid0(VALU_DEP_1) | instskip(NEXT) | instid1(VALU_DEP_2)
	v_add_co_u32 v13, vcc_lo, s4, v3
	v_add_co_ci_u32_e32 v14, vcc_lo, s5, v4, vcc_lo
	;;#ASMSTART
	global_load_dwordx4 v[3:6], v[13:14] off glc	
s_waitcnt vmcnt(0)
	;;#ASMEND
	v_and_b32_e32 v6, 0xff, v5
	s_delay_alu instid0(VALU_DEP_1)
	v_cmpx_eq_u16_e32 0, v6
	s_cbranch_execz .LBB30_58
; %bb.55:                               ;   in Loop: Header=BB30_53 Depth=1
	s_mov_b32 s9, 0
.LBB30_56:                              ;   Parent Loop BB30_53 Depth=1
                                        ; =>  This Inner Loop Header: Depth=2
	;;#ASMSTART
	global_load_dwordx4 v[3:6], v[13:14] off glc	
s_waitcnt vmcnt(0)
	;;#ASMEND
	v_and_b32_e32 v6, 0xff, v5
	s_delay_alu instid0(VALU_DEP_1) | instskip(SKIP_1) | instid1(SALU_CYCLE_1)
	v_cmp_ne_u16_e32 vcc_lo, 0, v6
	s_or_b32 s9, vcc_lo, s9
	s_and_not1_b32 exec_lo, exec_lo, s9
	s_cbranch_execnz .LBB30_56
; %bb.57:                               ;   in Loop: Header=BB30_53 Depth=1
	s_or_b32 exec_lo, exec_lo, s9
.LBB30_58:                              ;   in Loop: Header=BB30_53 Depth=1
	s_delay_alu instid0(SALU_CYCLE_1)
	s_or_b32 exec_lo, exec_lo, s8
	v_dual_mov_b32 v13, v3 :: v_dual_and_b32 v6, 0xff, v5
	ds_bpermute_b32 v26, v15, v3
	ds_bpermute_b32 v14, v15, v4
	s_mov_b32 s8, exec_lo
	v_cmp_eq_u16_e32 vcc_lo, 2, v6
	v_and_or_b32 v6, vcc_lo, v16, 0x80000000
	s_delay_alu instid0(VALU_DEP_1) | instskip(NEXT) | instid1(VALU_DEP_1)
	v_ctz_i32_b32_e32 v6, v6
	v_cmpx_le_u32_e64 v17, v6
	s_cbranch_execz .LBB30_60
; %bb.59:                               ;   in Loop: Header=BB30_53 Depth=1
	s_waitcnt lgkmcnt(1)
	v_add_co_u32 v13, vcc_lo, v3, v26
	v_add_co_ci_u32_e32 v4, vcc_lo, 0, v4, vcc_lo
	s_delay_alu instid0(VALU_DEP_2) | instskip(SKIP_1) | instid1(VALU_DEP_2)
	v_add_co_u32 v3, vcc_lo, 0, v13
	s_waitcnt lgkmcnt(0)
	v_add_co_ci_u32_e32 v4, vcc_lo, v14, v4, vcc_lo
.LBB30_60:                              ;   in Loop: Header=BB30_53 Depth=1
	s_or_b32 exec_lo, exec_lo, s8
	s_waitcnt lgkmcnt(1)
	ds_bpermute_b32 v26, v18, v13
	s_waitcnt lgkmcnt(1)
	ds_bpermute_b32 v14, v18, v4
	s_mov_b32 s8, exec_lo
	v_cmpx_le_u32_e64 v19, v6
	s_cbranch_execz .LBB30_62
; %bb.61:                               ;   in Loop: Header=BB30_53 Depth=1
	s_waitcnt lgkmcnt(1)
	v_add_co_u32 v13, vcc_lo, v3, v26
	v_add_co_ci_u32_e32 v4, vcc_lo, 0, v4, vcc_lo
	s_delay_alu instid0(VALU_DEP_2) | instskip(SKIP_1) | instid1(VALU_DEP_2)
	v_add_co_u32 v3, vcc_lo, 0, v13
	s_waitcnt lgkmcnt(0)
	v_add_co_ci_u32_e32 v4, vcc_lo, v14, v4, vcc_lo
.LBB30_62:                              ;   in Loop: Header=BB30_53 Depth=1
	s_or_b32 exec_lo, exec_lo, s8
	s_waitcnt lgkmcnt(1)
	ds_bpermute_b32 v26, v20, v13
	s_waitcnt lgkmcnt(1)
	ds_bpermute_b32 v14, v20, v4
	s_mov_b32 s8, exec_lo
	;; [unrolled: 17-line block ×3, first 2 shown]
	v_cmpx_le_u32_e64 v23, v6
	s_cbranch_execz .LBB30_66
; %bb.65:                               ;   in Loop: Header=BB30_53 Depth=1
	s_waitcnt lgkmcnt(1)
	v_add_co_u32 v13, vcc_lo, v3, v26
	v_add_co_ci_u32_e32 v4, vcc_lo, 0, v4, vcc_lo
	s_delay_alu instid0(VALU_DEP_2) | instskip(SKIP_1) | instid1(VALU_DEP_2)
	v_add_co_u32 v3, vcc_lo, 0, v13
	s_waitcnt lgkmcnt(0)
	v_add_co_ci_u32_e32 v4, vcc_lo, v14, v4, vcc_lo
.LBB30_66:                              ;   in Loop: Header=BB30_53 Depth=1
	s_or_b32 exec_lo, exec_lo, s8
	s_waitcnt lgkmcnt(0)
	ds_bpermute_b32 v14, v24, v13
	ds_bpermute_b32 v13, v24, v4
	s_mov_b32 s8, exec_lo
	v_cmpx_le_u32_e64 v25, v6
	s_cbranch_execz .LBB30_52
; %bb.67:                               ;   in Loop: Header=BB30_53 Depth=1
	s_waitcnt lgkmcnt(1)
	v_add_co_u32 v3, vcc_lo, v3, v14
	v_add_co_ci_u32_e32 v4, vcc_lo, 0, v4, vcc_lo
	s_delay_alu instid0(VALU_DEP_2) | instskip(SKIP_1) | instid1(VALU_DEP_2)
	v_add_co_u32 v3, vcc_lo, v3, 0
	s_waitcnt lgkmcnt(0)
	v_add_co_ci_u32_e32 v4, vcc_lo, v4, v13, vcc_lo
	s_branch .LBB30_52
.LBB30_68:                              ;   in Loop: Header=BB30_53 Depth=1
                                        ; implicit-def: $vgpr3_vgpr4
	s_cbranch_execz .LBB30_53
; %bb.69:
	s_and_saveexec_b32 s8, s3
	s_cbranch_execz .LBB30_71
; %bb.70:
	s_add_i32 s18, s15, 32
	s_mov_b32 s19, 0
	v_add_co_u32 v1, vcc_lo, v11, v1
	s_lshl_b64 s[18:19], s[18:19], 4
	v_add_co_ci_u32_e32 v2, vcc_lo, v12, v2, vcc_lo
	s_add_u32 s18, s4, s18
	s_addc_u32 s19, s5, s19
	v_dual_mov_b32 v3, 2 :: v_dual_mov_b32 v4, 0
	v_dual_mov_b32 v5, s18 :: v_dual_mov_b32 v6, s19
	;;#ASMSTART
	global_store_dwordx4 v[5:6], v[1:4] off	
s_waitcnt vmcnt(0)
	;;#ASMEND
.LBB30_71:
	s_or_b32 exec_lo, exec_lo, s8
	s_delay_alu instid0(SALU_CYCLE_1)
	s_and_b32 exec_lo, exec_lo, s2
	s_cbranch_execz .LBB30_73
; %bb.72:
	v_mov_b32_e32 v1, 0
	ds_store_b64 v1, v[11:12]
.LBB30_73:
	s_or_b32 exec_lo, exec_lo, s10
	v_mov_b32_e32 v1, 0
	s_waitcnt lgkmcnt(0)
	s_barrier
	buffer_gl0_inv
	v_add_co_u32 v3, vcc_lo, v7, v57
	ds_load_b64 v[1:2], v1
	v_add_co_ci_u32_e32 v4, vcc_lo, v8, v58, vcc_lo
	s_waitcnt lgkmcnt(0)
	v_add_co_u32 v1, vcc_lo, v3, v1
	s_delay_alu instid0(VALU_DEP_2) | instskip(NEXT) | instid1(VALU_DEP_2)
	v_add_co_ci_u32_e32 v2, vcc_lo, v4, v2, vcc_lo
	v_add_co_u32 v3, vcc_lo, v1, v59
	s_delay_alu instid0(VALU_DEP_2) | instskip(NEXT) | instid1(VALU_DEP_2)
	v_add_co_ci_u32_e32 v4, vcc_lo, v2, v60, vcc_lo
	v_add_co_u32 v5, vcc_lo, v3, v61
	s_delay_alu instid0(VALU_DEP_2) | instskip(NEXT) | instid1(VALU_DEP_2)
	v_add_co_ci_u32_e32 v6, vcc_lo, v4, v62, vcc_lo
	v_add_co_u32 v7, vcc_lo, v5, v63
	s_delay_alu instid0(VALU_DEP_2) | instskip(NEXT) | instid1(VALU_DEP_2)
	v_add_co_ci_u32_e32 v8, vcc_lo, v6, v64, vcc_lo
	v_add_co_u32 v9, vcc_lo, v7, v53
	s_delay_alu instid0(VALU_DEP_2) | instskip(NEXT) | instid1(VALU_DEP_2)
	v_add_co_ci_u32_e32 v10, vcc_lo, v8, v54, vcc_lo
	v_add_co_u32 v11, vcc_lo, v9, v55
	s_delay_alu instid0(VALU_DEP_2) | instskip(NEXT) | instid1(VALU_DEP_2)
	v_add_co_ci_u32_e32 v12, vcc_lo, v10, v56, vcc_lo
	v_add_co_u32 v13, vcc_lo, v11, v49
	s_delay_alu instid0(VALU_DEP_2) | instskip(NEXT) | instid1(VALU_DEP_2)
	v_add_co_ci_u32_e32 v14, vcc_lo, v12, v50, vcc_lo
	v_add_co_u32 v15, vcc_lo, v13, v51
	s_delay_alu instid0(VALU_DEP_2) | instskip(NEXT) | instid1(VALU_DEP_2)
	v_add_co_ci_u32_e32 v16, vcc_lo, v14, v52, vcc_lo
	v_add_co_u32 v17, vcc_lo, v15, v45
	s_delay_alu instid0(VALU_DEP_2) | instskip(NEXT) | instid1(VALU_DEP_2)
	v_add_co_ci_u32_e32 v18, vcc_lo, v16, v46, vcc_lo
	v_add_co_u32 v19, vcc_lo, v17, v47
	s_delay_alu instid0(VALU_DEP_2) | instskip(NEXT) | instid1(VALU_DEP_2)
	v_add_co_ci_u32_e32 v20, vcc_lo, v18, v48, vcc_lo
	v_add_co_u32 v21, vcc_lo, v19, v41
	s_delay_alu instid0(VALU_DEP_2) | instskip(NEXT) | instid1(VALU_DEP_2)
	v_add_co_ci_u32_e32 v22, vcc_lo, v20, v42, vcc_lo
	v_add_co_u32 v23, vcc_lo, v21, v43
	s_delay_alu instid0(VALU_DEP_2) | instskip(NEXT) | instid1(VALU_DEP_2)
	v_add_co_ci_u32_e32 v24, vcc_lo, v22, v44, vcc_lo
	v_add_co_u32 v25, vcc_lo, v23, v37
	s_delay_alu instid0(VALU_DEP_2) | instskip(NEXT) | instid1(VALU_DEP_2)
	v_add_co_ci_u32_e32 v26, vcc_lo, v24, v38, vcc_lo
	v_add_co_u32 v27, vcc_lo, v25, v39
	s_delay_alu instid0(VALU_DEP_2) | instskip(NEXT) | instid1(VALU_DEP_2)
	v_add_co_ci_u32_e32 v28, vcc_lo, v26, v40, vcc_lo
	v_add_co_u32 v29, vcc_lo, v27, v33
	s_delay_alu instid0(VALU_DEP_2) | instskip(NEXT) | instid1(VALU_DEP_2)
	v_add_co_ci_u32_e32 v30, vcc_lo, v28, v34, vcc_lo
	v_add_co_u32 v31, vcc_lo, v29, v35
	s_delay_alu instid0(VALU_DEP_2)
	v_add_co_ci_u32_e32 v32, vcc_lo, v30, v36, vcc_lo
	s_load_b128 s[8:11], s[0:1], 0x38
	s_branch .LBB30_92
.LBB30_74:
                                        ; implicit-def: $vgpr1_vgpr2_vgpr3_vgpr4_vgpr5_vgpr6_vgpr7_vgpr8_vgpr9_vgpr10_vgpr11_vgpr12_vgpr13_vgpr14_vgpr15_vgpr16_vgpr17_vgpr18_vgpr19_vgpr20_vgpr21_vgpr22_vgpr23_vgpr24_vgpr25_vgpr26_vgpr27_vgpr28_vgpr29_vgpr30_vgpr31_vgpr32
	s_load_b128 s[8:11], s[0:1], 0x38
	s_cbranch_execz .LBB30_92
; %bb.75:
	s_load_b32 s2, s[0:1], 0x48
	v_cmp_eq_u32_e32 vcc_lo, 0, v0
	s_waitcnt lgkmcnt(0)
	s_bitcmp1_b32 s2, 0
	v_cmp_ne_u32_e64 s2, 0, v0
	s_cselect_b32 s3, -1, 0
	s_delay_alu instid0(SALU_CYCLE_1) | instskip(NEXT) | instid1(SALU_CYCLE_1)
	s_and_b32 s3, vcc_lo, s3
	s_and_saveexec_b32 s15, s3
	s_cbranch_execz .LBB30_77
; %bb.76:
	s_load_b64 s[8:9], s[8:9], 0x0
	s_waitcnt lgkmcnt(0)
	v_add_co_u32 v57, s3, s8, v57
	s_delay_alu instid0(VALU_DEP_1)
	v_add_co_ci_u32_e64 v58, s3, s9, v58, s3
.LBB30_77:
	s_or_b32 exec_lo, exec_lo, s15
	s_delay_alu instid0(VALU_DEP_2) | instskip(NEXT) | instid1(VALU_DEP_1)
	v_add_co_u32 v1, s3, v59, v57
	v_add_co_ci_u32_e64 v2, s3, v60, v58, s3
	v_add_lshl_u32 v3, v81, v0, 3
	s_delay_alu instid0(VALU_DEP_3) | instskip(NEXT) | instid1(VALU_DEP_1)
	v_add_co_u32 v1, s3, v1, v61
	v_add_co_ci_u32_e64 v2, s3, v2, v62, s3
	s_mov_b32 s8, exec_lo
	s_delay_alu instid0(VALU_DEP_2) | instskip(NEXT) | instid1(VALU_DEP_1)
	v_add_co_u32 v1, s3, v1, v63
	v_add_co_ci_u32_e64 v2, s3, v2, v64, s3
	s_delay_alu instid0(VALU_DEP_2) | instskip(NEXT) | instid1(VALU_DEP_1)
	v_add_co_u32 v1, s3, v1, v53
	v_add_co_ci_u32_e64 v2, s3, v2, v54, s3
	;; [unrolled: 3-line block ×13, first 2 shown]
	ds_store_b64 v3, v[17:18]
	s_waitcnt lgkmcnt(0)
	s_barrier
	buffer_gl0_inv
	v_cmpx_gt_u32_e32 32, v0
	s_cbranch_execz .LBB30_87
; %bb.78:
	v_lshlrev_b32_e32 v1, 1, v0
	v_mbcnt_lo_u32_b32 v24, -1, 0
	s_mov_b32 s9, exec_lo
	s_delay_alu instid0(VALU_DEP_2) | instskip(NEXT) | instid1(VALU_DEP_2)
	v_and_b32_e32 v1, 0x1f8, v1
	v_and_b32_e32 v25, 15, v24
	s_delay_alu instid0(VALU_DEP_2)
	v_lshl_or_b32 v23, v0, 6, v1
	ds_load_2addr_b64 v[1:4], v23 offset1:1
	ds_load_2addr_b64 v[5:8], v23 offset0:2 offset1:3
	ds_load_2addr_b64 v[9:12], v23 offset0:4 offset1:5
	;; [unrolled: 1-line block ×3, first 2 shown]
	s_waitcnt lgkmcnt(3)
	v_add_co_u32 v19, s3, v3, v1
	s_delay_alu instid0(VALU_DEP_1) | instskip(SKIP_1) | instid1(VALU_DEP_2)
	v_add_co_ci_u32_e64 v20, s3, v4, v2, s3
	s_waitcnt lgkmcnt(2)
	v_add_co_u32 v19, s3, v19, v5
	s_delay_alu instid0(VALU_DEP_1) | instskip(NEXT) | instid1(VALU_DEP_2)
	v_add_co_ci_u32_e64 v20, s3, v20, v6, s3
	v_add_co_u32 v19, s3, v19, v7
	s_delay_alu instid0(VALU_DEP_1) | instskip(SKIP_1) | instid1(VALU_DEP_2)
	v_add_co_ci_u32_e64 v20, s3, v20, v8, s3
	s_waitcnt lgkmcnt(1)
	v_add_co_u32 v19, s3, v19, v9
	s_delay_alu instid0(VALU_DEP_1) | instskip(NEXT) | instid1(VALU_DEP_2)
	v_add_co_ci_u32_e64 v20, s3, v20, v10, s3
	v_add_co_u32 v19, s3, v19, v11
	s_delay_alu instid0(VALU_DEP_1) | instskip(SKIP_1) | instid1(VALU_DEP_2)
	v_add_co_ci_u32_e64 v20, s3, v20, v12, s3
	s_waitcnt lgkmcnt(0)
	v_add_co_u32 v19, s3, v19, v13
	s_delay_alu instid0(VALU_DEP_1) | instskip(NEXT) | instid1(VALU_DEP_2)
	v_add_co_ci_u32_e64 v20, s3, v20, v14, s3
	v_add_co_u32 v19, s3, v19, v15
	s_delay_alu instid0(VALU_DEP_1) | instskip(NEXT) | instid1(VALU_DEP_2)
	v_add_co_ci_u32_e64 v20, s3, v20, v16, s3
	v_mov_b32_dpp v27, v19 row_shr:1 row_mask:0xf bank_mask:0xf
	s_delay_alu instid0(VALU_DEP_2)
	v_mov_b32_e32 v22, v20
	v_mov_b32_dpp v26, v20 row_shr:1 row_mask:0xf bank_mask:0xf
	v_mov_b32_e32 v21, v19
	v_cmpx_ne_u32_e32 0, v25
; %bb.79:
	v_add_co_u32 v19, s3, v19, v27
	s_delay_alu instid0(VALU_DEP_1) | instskip(NEXT) | instid1(VALU_DEP_2)
	v_add_co_ci_u32_e64 v20, s3, 0, v20, s3
	v_add_co_u32 v21, s3, 0, v19
	s_delay_alu instid0(VALU_DEP_1) | instskip(NEXT) | instid1(VALU_DEP_1)
	v_add_co_ci_u32_e64 v22, s3, v26, v20, s3
	v_mov_b32_e32 v20, v22
; %bb.80:
	s_or_b32 exec_lo, exec_lo, s9
	v_mov_b32_dpp v27, v19 row_shr:2 row_mask:0xf bank_mask:0xf
	s_delay_alu instid0(VALU_DEP_2)
	v_mov_b32_dpp v26, v20 row_shr:2 row_mask:0xf bank_mask:0xf
	s_mov_b32 s9, exec_lo
	v_cmpx_lt_u32_e32 1, v25
; %bb.81:
	s_delay_alu instid0(VALU_DEP_3) | instskip(NEXT) | instid1(VALU_DEP_1)
	v_add_co_u32 v19, s3, v21, v27
	v_add_co_ci_u32_e64 v20, s3, 0, v22, s3
	s_delay_alu instid0(VALU_DEP_2) | instskip(NEXT) | instid1(VALU_DEP_1)
	v_add_co_u32 v21, s3, 0, v19
	v_add_co_ci_u32_e64 v22, s3, v26, v20, s3
	s_delay_alu instid0(VALU_DEP_1)
	v_mov_b32_e32 v20, v22
; %bb.82:
	s_or_b32 exec_lo, exec_lo, s9
	v_mov_b32_dpp v27, v19 row_shr:4 row_mask:0xf bank_mask:0xf
	s_delay_alu instid0(VALU_DEP_2)
	v_mov_b32_dpp v26, v20 row_shr:4 row_mask:0xf bank_mask:0xf
	s_mov_b32 s9, exec_lo
	v_cmpx_lt_u32_e32 3, v25
; %bb.83:
	s_delay_alu instid0(VALU_DEP_3) | instskip(NEXT) | instid1(VALU_DEP_1)
	v_add_co_u32 v19, s3, v21, v27
	v_add_co_ci_u32_e64 v20, s3, 0, v22, s3
	s_delay_alu instid0(VALU_DEP_2) | instskip(NEXT) | instid1(VALU_DEP_1)
	v_add_co_u32 v21, s3, 0, v19
	v_add_co_ci_u32_e64 v22, s3, v26, v20, s3
	s_delay_alu instid0(VALU_DEP_1)
	;; [unrolled: 16-line block ×3, first 2 shown]
	v_mov_b32_e32 v20, v22
; %bb.86:
	s_or_b32 exec_lo, exec_lo, s9
	ds_swizzle_b32 v25, v19 offset:swizzle(BROADCAST,32,15)
	ds_swizzle_b32 v26, v20 offset:swizzle(BROADCAST,32,15)
	v_add_nc_u32_e32 v27, -1, v24
	v_and_b32_e32 v28, 16, v24
	s_delay_alu instid0(VALU_DEP_2) | instskip(NEXT) | instid1(VALU_DEP_1)
	v_cmp_gt_i32_e64 s3, 0, v27
	v_cndmask_b32_e64 v24, v27, v24, s3
	s_delay_alu instid0(VALU_DEP_1) | instskip(SKIP_2) | instid1(VALU_DEP_1)
	v_lshlrev_b32_e32 v24, 2, v24
	s_waitcnt lgkmcnt(1)
	v_add_co_u32 v21, s3, v21, v25
	v_add_co_ci_u32_e64 v22, s3, 0, v22, s3
	v_cmp_eq_u32_e64 s3, 0, v28
	s_delay_alu instid0(VALU_DEP_1) | instskip(SKIP_1) | instid1(VALU_DEP_3)
	v_cndmask_b32_e64 v19, v21, v19, s3
	s_waitcnt lgkmcnt(0)
	v_add_nc_u32_e32 v21, v26, v22
	ds_bpermute_b32 v19, v24, v19
	v_cndmask_b32_e64 v20, v21, v20, s3
	ds_bpermute_b32 v20, v24, v20
	s_waitcnt lgkmcnt(1)
	v_add_co_u32 v1, s3, v1, v19
	s_delay_alu instid0(VALU_DEP_1) | instskip(NEXT) | instid1(VALU_DEP_2)
	v_add_co_ci_u32_e64 v2, s3, 0, v2, s3
	v_add_co_u32 v1, s3, v1, 0
	s_waitcnt lgkmcnt(0)
	s_delay_alu instid0(VALU_DEP_2) | instskip(NEXT) | instid1(VALU_DEP_1)
	v_add_co_ci_u32_e64 v2, s3, v2, v20, s3
	v_dual_cndmask_b32 v1, v1, v17 :: v_dual_cndmask_b32 v2, v2, v18
	s_delay_alu instid0(VALU_DEP_1) | instskip(NEXT) | instid1(VALU_DEP_1)
	v_add_co_u32 v3, s3, v1, v3
	v_add_co_ci_u32_e64 v4, s3, v2, v4, s3
	s_delay_alu instid0(VALU_DEP_2) | instskip(NEXT) | instid1(VALU_DEP_1)
	v_add_co_u32 v5, s3, v3, v5
	v_add_co_ci_u32_e64 v6, s3, v4, v6, s3
	s_delay_alu instid0(VALU_DEP_2) | instskip(NEXT) | instid1(VALU_DEP_1)
	;; [unrolled: 3-line block ×6, first 2 shown]
	v_add_co_u32 v15, s3, v13, v15
	v_add_co_ci_u32_e64 v16, s3, v14, v16, s3
	ds_store_2addr_b64 v23, v[1:2], v[3:4] offset1:1
	ds_store_2addr_b64 v23, v[5:6], v[7:8] offset0:2 offset1:3
	ds_store_2addr_b64 v23, v[9:10], v[11:12] offset0:4 offset1:5
	;; [unrolled: 1-line block ×3, first 2 shown]
.LBB30_87:
	s_or_b32 exec_lo, exec_lo, s8
	v_mov_b32_e32 v1, 0
	v_mov_b32_e32 v2, 0
	s_waitcnt lgkmcnt(0)
	s_barrier
	buffer_gl0_inv
	s_and_saveexec_b32 s3, s2
	s_cbranch_execz .LBB30_89
; %bb.88:
	v_add_nc_u32_e32 v1, -1, v0
	s_delay_alu instid0(VALU_DEP_1) | instskip(NEXT) | instid1(VALU_DEP_1)
	v_lshrrev_b32_e32 v2, 5, v1
	v_add_lshl_u32 v1, v2, v1, 3
	ds_load_b64 v[1:2], v1
.LBB30_89:
	s_or_b32 exec_lo, exec_lo, s3
	s_waitcnt lgkmcnt(0)
	v_add_co_u32 v1, s2, v1, v57
	s_delay_alu instid0(VALU_DEP_1) | instskip(NEXT) | instid1(VALU_DEP_2)
	v_add_co_ci_u32_e64 v2, s2, v2, v58, s2
	v_add_co_u32 v3, s2, v1, v59
	s_delay_alu instid0(VALU_DEP_1) | instskip(NEXT) | instid1(VALU_DEP_2)
	v_add_co_ci_u32_e64 v4, s2, v2, v60, s2
	v_add_co_u32 v5, s2, v3, v61
	s_delay_alu instid0(VALU_DEP_1) | instskip(NEXT) | instid1(VALU_DEP_2)
	v_add_co_ci_u32_e64 v6, s2, v4, v62, s2
	v_add_co_u32 v7, s2, v5, v63
	s_delay_alu instid0(VALU_DEP_1) | instskip(NEXT) | instid1(VALU_DEP_2)
	v_add_co_ci_u32_e64 v8, s2, v6, v64, s2
	v_add_co_u32 v9, s2, v7, v53
	s_delay_alu instid0(VALU_DEP_1) | instskip(NEXT) | instid1(VALU_DEP_2)
	v_add_co_ci_u32_e64 v10, s2, v8, v54, s2
	v_add_co_u32 v11, s2, v9, v55
	s_delay_alu instid0(VALU_DEP_1) | instskip(NEXT) | instid1(VALU_DEP_2)
	v_add_co_ci_u32_e64 v12, s2, v10, v56, s2
	v_add_co_u32 v13, s2, v11, v49
	s_delay_alu instid0(VALU_DEP_1) | instskip(NEXT) | instid1(VALU_DEP_2)
	v_add_co_ci_u32_e64 v14, s2, v12, v50, s2
	v_add_co_u32 v15, s2, v13, v51
	s_delay_alu instid0(VALU_DEP_1) | instskip(NEXT) | instid1(VALU_DEP_2)
	v_add_co_ci_u32_e64 v16, s2, v14, v52, s2
	v_add_co_u32 v17, s2, v15, v45
	s_delay_alu instid0(VALU_DEP_1) | instskip(NEXT) | instid1(VALU_DEP_2)
	v_add_co_ci_u32_e64 v18, s2, v16, v46, s2
	v_add_co_u32 v19, s2, v17, v47
	s_delay_alu instid0(VALU_DEP_1) | instskip(NEXT) | instid1(VALU_DEP_2)
	v_add_co_ci_u32_e64 v20, s2, v18, v48, s2
	v_add_co_u32 v21, s2, v19, v41
	s_delay_alu instid0(VALU_DEP_1) | instskip(NEXT) | instid1(VALU_DEP_2)
	v_add_co_ci_u32_e64 v22, s2, v20, v42, s2
	v_add_co_u32 v23, s2, v21, v43
	s_delay_alu instid0(VALU_DEP_1) | instskip(NEXT) | instid1(VALU_DEP_2)
	v_add_co_ci_u32_e64 v24, s2, v22, v44, s2
	v_add_co_u32 v25, s2, v23, v37
	s_delay_alu instid0(VALU_DEP_1) | instskip(NEXT) | instid1(VALU_DEP_2)
	v_add_co_ci_u32_e64 v26, s2, v24, v38, s2
	v_add_co_u32 v27, s2, v25, v39
	s_delay_alu instid0(VALU_DEP_1) | instskip(NEXT) | instid1(VALU_DEP_2)
	v_add_co_ci_u32_e64 v28, s2, v26, v40, s2
	v_add_co_u32 v29, s2, v27, v33
	s_delay_alu instid0(VALU_DEP_1) | instskip(NEXT) | instid1(VALU_DEP_2)
	v_add_co_ci_u32_e64 v30, s2, v28, v34, s2
	v_add_co_u32 v31, s2, v29, v35
	s_delay_alu instid0(VALU_DEP_1)
	v_add_co_ci_u32_e64 v32, s2, v30, v36, s2
	s_and_saveexec_b32 s2, vcc_lo
	s_cbranch_execz .LBB30_91
; %bb.90:
	v_dual_mov_b32 v36, 0 :: v_dual_mov_b32 v35, 2
	s_add_u32 s4, s4, 0x200
	s_addc_u32 s5, s5, 0
	s_delay_alu instid0(SALU_CYCLE_1)
	v_dual_mov_b32 v38, s5 :: v_dual_mov_b32 v37, s4
	ds_load_b64 v[33:34], v36 offset:2096
	s_waitcnt lgkmcnt(0)
	;;#ASMSTART
	global_store_dwordx4 v[37:38], v[33:36] off	
s_waitcnt vmcnt(0)
	;;#ASMEND
.LBB30_91:
	s_or_b32 exec_lo, exec_lo, s2
.LBB30_92:
	v_lshlrev_b32_e32 v33, 7, v0
	s_add_u32 s2, s6, s12
	s_addc_u32 s3, s7, s13
	s_and_b32 vcc_lo, exec_lo, s17
	s_mov_b32 s4, -1
	s_waitcnt lgkmcnt(0)
	s_barrier
	buffer_gl0_inv
	s_cbranch_vccz .LBB30_94
; %bb.93:
	v_lshl_add_u32 v34, v82, 3, v33
	v_lshrrev_b32_e32 v35, 5, v78
	v_lshrrev_b32_e32 v36, 5, v77
	v_add_lshl_u32 v37, v81, v0, 3
	v_lshrrev_b32_e32 v51, 5, v71
	ds_store_2addr_b64 v34, v[1:2], v[3:4] offset1:1
	ds_store_2addr_b64 v34, v[5:6], v[7:8] offset0:2 offset1:3
	ds_store_2addr_b64 v34, v[9:10], v[11:12] offset0:4 offset1:5
	;; [unrolled: 1-line block ×7, first 2 shown]
	v_lshrrev_b32_e32 v34, 5, v79
	v_add_lshl_u32 v39, v35, v0, 3
	v_add_lshl_u32 v40, v36, v0, 3
	s_waitcnt lgkmcnt(0)
	s_barrier
	v_add_lshl_u32 v38, v34, v0, 3
	buffer_gl0_inv
	v_lshrrev_b32_e32 v52, 5, v70
	ds_load_b64 v[34:35], v37
	ds_load_b64 v[36:37], v38 offset:2048
	ds_load_b64 v[38:39], v39 offset:4096
	;; [unrolled: 1-line block ×3, first 2 shown]
	v_lshrrev_b32_e32 v42, 5, v76
	v_lshrrev_b32_e32 v50, 5, v72
	;; [unrolled: 1-line block ×5, first 2 shown]
	v_add_lshl_u32 v53, v51, v0, 3
	v_lshrrev_b32_e32 v51, 5, v69
	v_add_lshl_u32 v54, v52, v0, 3
	v_lshrrev_b32_e32 v52, 5, v68
	v_lshrrev_b32_e32 v55, 5, v67
	;; [unrolled: 1-line block ×4, first 2 shown]
	v_add_lshl_u32 v42, v42, v0, 3
	v_add_lshl_u32 v50, v50, v0, 3
	;; [unrolled: 1-line block ×10, first 2 shown]
	ds_load_b64 v[42:43], v42 offset:8192
	ds_load_b64 v[44:45], v46 offset:10240
	;; [unrolled: 1-line block ×12, first 2 shown]
	v_add_co_u32 v64, s5, s2, v80
	s_delay_alu instid0(VALU_DEP_1)
	v_add_co_ci_u32_e64 v95, null, s3, 0, s5
	s_waitcnt lgkmcnt(14)
	global_store_b64 v80, v[36:37], s[2:3] offset:2048
	v_add_co_u32 v36, vcc_lo, 0x1000, v64
	v_add_co_ci_u32_e32 v37, vcc_lo, 0, v95, vcc_lo
	v_add_co_u32 v85, vcc_lo, v64, 0x2000
	v_add_co_ci_u32_e32 v86, vcc_lo, 0, v95, vcc_lo
	;; [unrolled: 2-line block ×6, first 2 shown]
	s_waitcnt lgkmcnt(13)
	global_store_b64 v[85:86], v[38:39], off offset:-4096
	s_waitcnt lgkmcnt(11)
	global_store_b64 v[85:86], v[42:43], off
	s_waitcnt lgkmcnt(9)
	global_store_b64 v[91:92], v[46:47], off offset:-4096
	s_waitcnt lgkmcnt(7)
	s_clause 0x3
	global_store_b64 v[91:92], v[50:51], off
	global_store_b64 v[36:37], v[40:41], off offset:2048
	global_store_b64 v[87:88], v[44:45], off offset:2048
	;; [unrolled: 1-line block ×3, first 2 shown]
	s_waitcnt lgkmcnt(6)
	global_store_b64 v[93:94], v[52:53], off offset:2048
	v_add_co_u32 v36, vcc_lo, v64, 0x6000
	v_add_co_ci_u32_e32 v37, vcc_lo, 0, v95, vcc_lo
	v_add_co_u32 v38, vcc_lo, 0x5000, v64
	v_add_co_ci_u32_e32 v39, vcc_lo, 0, v95, vcc_lo
	;; [unrolled: 2-line block ×4, first 2 shown]
	s_mov_b32 s4, 0
	s_waitcnt lgkmcnt(5)
	s_clause 0x1
	global_store_b64 v[36:37], v[54:55], off offset:-4096
	global_store_b64 v80, v[34:35], s[2:3]
	s_waitcnt lgkmcnt(3)
	s_clause 0x1
	global_store_b64 v[36:37], v[58:59], off
	global_store_b64 v[38:39], v[56:57], off offset:2048
	s_waitcnt lgkmcnt(2)
	global_store_b64 v[40:41], v[60:61], off offset:2048
	s_waitcnt lgkmcnt(1)
	global_store_b64 v[42:43], v[62:63], off
	s_waitcnt lgkmcnt(0)
	global_store_b64 v[42:43], v[83:84], off offset:2048
.LBB30_94:
	s_and_not1_b32 vcc_lo, exec_lo, s4
	s_cbranch_vccnz .LBB30_167
; %bb.95:
	v_lshl_add_u32 v33, v82, 3, v33
	v_add_co_u32 v34, s2, s2, v80
	s_delay_alu instid0(VALU_DEP_1)
	v_add_co_ci_u32_e64 v35, null, s3, 0, s2
	ds_store_2addr_b64 v33, v[1:2], v[3:4] offset1:1
	ds_store_2addr_b64 v33, v[5:6], v[7:8] offset0:2 offset1:3
	ds_store_2addr_b64 v33, v[9:10], v[11:12] offset0:4 offset1:5
	;; [unrolled: 1-line block ×7, first 2 shown]
	v_lshrrev_b32_e32 v1, 5, v79
	v_lshrrev_b32_e32 v2, 5, v78
	;; [unrolled: 1-line block ×3, first 2 shown]
	v_add_lshl_u32 v4, v81, v0, 3
	v_lshrrev_b32_e32 v10, 5, v76
	v_add_lshl_u32 v1, v1, v0, 3
	v_lshrrev_b32_e32 v11, 5, v75
	;; [unrolled: 2-line block ×4, first 2 shown]
	s_waitcnt lgkmcnt(0)
	s_waitcnt_vscnt null, 0x0
	s_barrier
	buffer_gl0_inv
	ds_load_b64 v[4:5], v4
	ds_load_b64 v[2:3], v1 offset:2048
	ds_load_b64 v[6:7], v6 offset:4096
	;; [unrolled: 1-line block ×3, first 2 shown]
	v_add_lshl_u32 v1, v10, v0, 3
	v_lshrrev_b32_e32 v18, 5, v72
	v_add_lshl_u32 v14, v11, v0, 3
	v_lshrrev_b32_e32 v19, 5, v71
	v_lshrrev_b32_e32 v20, 5, v70
	v_add_lshl_u32 v15, v12, v0, 3
	v_add_lshl_u32 v16, v13, v0, 3
	ds_load_b64 v[10:11], v1 offset:8192
	ds_load_b64 v[12:13], v14 offset:10240
	;; [unrolled: 1-line block ×4, first 2 shown]
	v_add_lshl_u32 v1, v18, v0, 3
	v_lshrrev_b32_e32 v18, 5, v69
	v_add_lshl_u32 v21, v19, v0, 3
	v_add_lshl_u32 v22, v20, v0, 3
	v_lshrrev_b32_e32 v19, 5, v68
	v_lshrrev_b32_e32 v20, 5, v67
	;; [unrolled: 1-line block ×4, first 2 shown]
	v_add_lshl_u32 v25, v18, v0, 3
	v_add_lshl_u32 v26, v19, v0, 3
	;; [unrolled: 1-line block ×5, first 2 shown]
	ds_load_b64 v[18:19], v1 offset:16384
	ds_load_b64 v[20:21], v21 offset:18432
	;; [unrolled: 1-line block ×8, first 2 shown]
	v_mov_b32_e32 v1, 0
	s_mov_b32 s2, exec_lo
	v_cmpx_gt_u32_e64 s14, v0
	s_cbranch_execnz .LBB30_183
; %bb.96:
	s_or_b32 exec_lo, exec_lo, s2
	s_delay_alu instid0(SALU_CYCLE_1)
	s_mov_b32 s2, exec_lo
	v_cmpx_gt_u32_e64 s14, v79
	s_cbranch_execnz .LBB30_184
.LBB30_97:
	s_or_b32 exec_lo, exec_lo, s2
	s_delay_alu instid0(SALU_CYCLE_1)
	s_mov_b32 s2, exec_lo
	v_cmpx_gt_u32_e64 s14, v78
	s_cbranch_execnz .LBB30_185
.LBB30_98:
	s_or_b32 exec_lo, exec_lo, s2
	s_delay_alu instid0(SALU_CYCLE_1)
	s_mov_b32 s2, exec_lo
	v_cmpx_gt_u32_e64 s14, v77
	s_cbranch_execnz .LBB30_186
.LBB30_99:
	s_or_b32 exec_lo, exec_lo, s2
	s_delay_alu instid0(SALU_CYCLE_1)
	s_mov_b32 s2, exec_lo
	v_cmpx_gt_u32_e64 s14, v76
	s_cbranch_execnz .LBB30_187
.LBB30_100:
	s_or_b32 exec_lo, exec_lo, s2
	s_delay_alu instid0(SALU_CYCLE_1)
	s_mov_b32 s2, exec_lo
	v_cmpx_gt_u32_e64 s14, v75
	s_cbranch_execnz .LBB30_188
.LBB30_101:
	s_or_b32 exec_lo, exec_lo, s2
	s_delay_alu instid0(SALU_CYCLE_1)
	s_mov_b32 s2, exec_lo
	v_cmpx_gt_u32_e64 s14, v74
	s_cbranch_execnz .LBB30_189
.LBB30_102:
	s_or_b32 exec_lo, exec_lo, s2
	s_delay_alu instid0(SALU_CYCLE_1)
	s_mov_b32 s2, exec_lo
	v_cmpx_gt_u32_e64 s14, v73
	s_cbranch_execnz .LBB30_190
.LBB30_103:
	s_or_b32 exec_lo, exec_lo, s2
	s_delay_alu instid0(SALU_CYCLE_1)
	s_mov_b32 s2, exec_lo
	v_cmpx_gt_u32_e64 s14, v72
	s_cbranch_execnz .LBB30_191
.LBB30_104:
	s_or_b32 exec_lo, exec_lo, s2
	s_delay_alu instid0(SALU_CYCLE_1)
	s_mov_b32 s2, exec_lo
	v_cmpx_gt_u32_e64 s14, v71
	s_cbranch_execnz .LBB30_192
.LBB30_105:
	s_or_b32 exec_lo, exec_lo, s2
	s_delay_alu instid0(SALU_CYCLE_1)
	s_mov_b32 s2, exec_lo
	v_cmpx_gt_u32_e64 s14, v70
	s_cbranch_execnz .LBB30_193
.LBB30_106:
	s_or_b32 exec_lo, exec_lo, s2
	s_delay_alu instid0(SALU_CYCLE_1)
	s_mov_b32 s2, exec_lo
	v_cmpx_gt_u32_e64 s14, v69
	s_cbranch_execnz .LBB30_194
.LBB30_107:
	s_or_b32 exec_lo, exec_lo, s2
	s_delay_alu instid0(SALU_CYCLE_1)
	s_mov_b32 s2, exec_lo
	v_cmpx_gt_u32_e64 s14, v68
	s_cbranch_execnz .LBB30_195
.LBB30_108:
	s_or_b32 exec_lo, exec_lo, s2
	s_delay_alu instid0(SALU_CYCLE_1)
	s_mov_b32 s2, exec_lo
	v_cmpx_gt_u32_e64 s14, v67
	s_cbranch_execnz .LBB30_196
.LBB30_109:
	s_or_b32 exec_lo, exec_lo, s2
	s_delay_alu instid0(SALU_CYCLE_1)
	s_mov_b32 s2, exec_lo
	v_cmpx_gt_u32_e64 s14, v66
	s_cbranch_execnz .LBB30_197
.LBB30_110:
	s_or_b32 exec_lo, exec_lo, s2
	s_delay_alu instid0(SALU_CYCLE_1)
	s_mov_b32 s2, exec_lo
	v_cmpx_gt_u32_e64 s14, v65
	s_cbranch_execz .LBB30_112
.LBB30_111:
	v_add_co_u32 v34, vcc_lo, 0x7000, v34
	v_add_co_ci_u32_e32 v35, vcc_lo, 0, v35, vcc_lo
	s_waitcnt lgkmcnt(0)
	global_store_b64 v[34:35], v[32:33], off offset:2048
.LBB30_112:
	s_or_b32 exec_lo, exec_lo, s2
	s_load_b32 s0, s[0:1], 0x48
	s_waitcnt lgkmcnt(0)
	s_bfe_u32 s0, s0, 0x10008
	s_delay_alu instid0(SALU_CYCLE_1)
	s_cmp_eq_u32 s0, 0
	s_cbranch_scc1 .LBB30_167
; %bb.113:
	s_add_u32 s0, s14, -1
	s_addc_u32 s1, s16, -1
	s_delay_alu instid0(SALU_CYCLE_1)
	s_lshr_b64 s[2:3], s[0:1], 4
	s_mov_b32 s1, exec_lo
	v_cmpx_eq_u64_e64 s[2:3], v[0:1]
	s_cbranch_execz .LBB30_167
; %bb.114:
	s_and_b32 s0, s0, 15
	s_mov_b32 s1, 0
	s_delay_alu instid0(SALU_CYCLE_1) | instskip(NEXT) | instid1(VALU_DEP_1)
	v_cmp_lt_i64_e64 s2, s[0:1], 8
	s_and_b32 vcc_lo, exec_lo, s2
	s_mov_b32 s2, -1
	s_cbranch_vccnz .LBB30_141
; %bb.115:
	v_cmp_lt_i64_e64 s2, s[0:1], 12
	s_delay_alu instid0(VALU_DEP_1)
	s_and_b32 vcc_lo, exec_lo, s2
	s_mov_b32 s2, -1
	s_cbranch_vccnz .LBB30_128
; %bb.116:
	v_cmp_lt_i64_e64 s2, s[0:1], 14
	s_delay_alu instid0(VALU_DEP_1)
	s_and_b32 vcc_lo, exec_lo, s2
	s_mov_b32 s2, -1
	s_cbranch_vccnz .LBB30_122
; %bb.117:
	v_cmp_gt_i64_e64 s2, s[0:1], 14
	s_delay_alu instid0(VALU_DEP_1)
	s_and_b32 vcc_lo, exec_lo, s2
	s_mov_b32 s2, -1
	s_cbranch_vccz .LBB30_119
; %bb.118:
	v_mov_b32_e32 v0, 0
	s_mov_b32 s2, 0
	global_store_b64 v0, v[32:33], s[10:11]
.LBB30_119:
	s_and_not1_b32 vcc_lo, exec_lo, s2
	s_cbranch_vccnz .LBB30_121
; %bb.120:
	v_mov_b32_e32 v0, 0
	global_store_b64 v0, v[30:31], s[10:11]
.LBB30_121:
	s_mov_b32 s2, 0
.LBB30_122:
	s_delay_alu instid0(SALU_CYCLE_1)
	s_and_not1_b32 vcc_lo, exec_lo, s2
	s_cbranch_vccnz .LBB30_127
; %bb.123:
	v_cmp_gt_i64_e64 s2, s[0:1], 12
	s_delay_alu instid0(VALU_DEP_1)
	s_and_b32 vcc_lo, exec_lo, s2
	s_mov_b32 s2, -1
	s_cbranch_vccz .LBB30_125
; %bb.124:
	v_mov_b32_e32 v0, 0
	s_mov_b32 s2, 0
	global_store_b64 v0, v[28:29], s[10:11]
.LBB30_125:
	s_and_not1_b32 vcc_lo, exec_lo, s2
	s_cbranch_vccnz .LBB30_127
; %bb.126:
	v_mov_b32_e32 v0, 0
	global_store_b64 v0, v[26:27], s[10:11]
.LBB30_127:
	s_mov_b32 s2, 0
.LBB30_128:
	s_delay_alu instid0(SALU_CYCLE_1)
	s_and_not1_b32 vcc_lo, exec_lo, s2
	s_cbranch_vccnz .LBB30_140
; %bb.129:
	v_cmp_lt_i64_e64 s2, s[0:1], 10
	s_delay_alu instid0(VALU_DEP_1)
	s_and_b32 vcc_lo, exec_lo, s2
	s_mov_b32 s2, -1
	s_cbranch_vccnz .LBB30_135
; %bb.130:
	v_cmp_gt_i64_e64 s2, s[0:1], 10
	s_delay_alu instid0(VALU_DEP_1)
	s_and_b32 vcc_lo, exec_lo, s2
	s_mov_b32 s2, -1
	s_cbranch_vccz .LBB30_132
; %bb.131:
	v_mov_b32_e32 v0, 0
	s_mov_b32 s2, 0
	global_store_b64 v0, v[24:25], s[10:11]
.LBB30_132:
	s_and_not1_b32 vcc_lo, exec_lo, s2
	s_cbranch_vccnz .LBB30_134
; %bb.133:
	v_mov_b32_e32 v0, 0
	global_store_b64 v0, v[22:23], s[10:11]
.LBB30_134:
	s_mov_b32 s2, 0
.LBB30_135:
	s_delay_alu instid0(SALU_CYCLE_1)
	s_and_not1_b32 vcc_lo, exec_lo, s2
	s_cbranch_vccnz .LBB30_140
; %bb.136:
	v_cmp_gt_i64_e64 s2, s[0:1], 8
	s_delay_alu instid0(VALU_DEP_1)
	s_and_b32 vcc_lo, exec_lo, s2
	s_mov_b32 s2, -1
	s_cbranch_vccz .LBB30_138
; %bb.137:
	v_mov_b32_e32 v0, 0
	s_mov_b32 s2, 0
	global_store_b64 v0, v[20:21], s[10:11]
.LBB30_138:
	s_and_not1_b32 vcc_lo, exec_lo, s2
	s_cbranch_vccnz .LBB30_140
; %bb.139:
	v_mov_b32_e32 v0, 0
	global_store_b64 v0, v[18:19], s[10:11]
.LBB30_140:
	s_mov_b32 s2, 0
.LBB30_141:
	s_delay_alu instid0(SALU_CYCLE_1)
	s_and_not1_b32 vcc_lo, exec_lo, s2
	s_cbranch_vccnz .LBB30_167
; %bb.142:
	v_cmp_lt_i64_e64 s2, s[0:1], 4
	s_delay_alu instid0(VALU_DEP_1)
	s_and_b32 vcc_lo, exec_lo, s2
	s_mov_b32 s2, -1
	s_cbranch_vccnz .LBB30_155
; %bb.143:
	v_cmp_lt_i64_e64 s2, s[0:1], 6
	s_delay_alu instid0(VALU_DEP_1)
	s_and_b32 vcc_lo, exec_lo, s2
	s_mov_b32 s2, -1
	s_cbranch_vccnz .LBB30_149
; %bb.144:
	v_cmp_gt_i64_e64 s2, s[0:1], 6
	s_delay_alu instid0(VALU_DEP_1)
	s_and_b32 vcc_lo, exec_lo, s2
	s_mov_b32 s2, -1
	s_cbranch_vccz .LBB30_146
; %bb.145:
	v_mov_b32_e32 v0, 0
	s_mov_b32 s2, 0
	global_store_b64 v0, v[16:17], s[10:11]
.LBB30_146:
	s_and_not1_b32 vcc_lo, exec_lo, s2
	s_cbranch_vccnz .LBB30_148
; %bb.147:
	v_mov_b32_e32 v0, 0
	global_store_b64 v0, v[14:15], s[10:11]
.LBB30_148:
	s_mov_b32 s2, 0
.LBB30_149:
	s_delay_alu instid0(SALU_CYCLE_1)
	s_and_not1_b32 vcc_lo, exec_lo, s2
	s_cbranch_vccnz .LBB30_154
; %bb.150:
	v_cmp_gt_i64_e64 s2, s[0:1], 4
	s_delay_alu instid0(VALU_DEP_1)
	s_and_b32 vcc_lo, exec_lo, s2
	s_mov_b32 s2, -1
	s_cbranch_vccz .LBB30_152
; %bb.151:
	v_mov_b32_e32 v0, 0
	s_mov_b32 s2, 0
	global_store_b64 v0, v[12:13], s[10:11]
.LBB30_152:
	s_and_not1_b32 vcc_lo, exec_lo, s2
	s_cbranch_vccnz .LBB30_154
; %bb.153:
	v_mov_b32_e32 v0, 0
	global_store_b64 v0, v[10:11], s[10:11]
.LBB30_154:
	s_mov_b32 s2, 0
.LBB30_155:
	s_delay_alu instid0(SALU_CYCLE_1)
	s_and_not1_b32 vcc_lo, exec_lo, s2
	s_cbranch_vccnz .LBB30_167
; %bb.156:
	v_cmp_lt_i64_e64 s2, s[0:1], 2
	s_delay_alu instid0(VALU_DEP_1)
	s_and_b32 vcc_lo, exec_lo, s2
	s_mov_b32 s2, -1
	s_cbranch_vccnz .LBB30_162
; %bb.157:
	v_cmp_gt_i64_e64 s2, s[0:1], 2
	s_delay_alu instid0(VALU_DEP_1)
	s_and_b32 vcc_lo, exec_lo, s2
	s_mov_b32 s2, -1
	s_cbranch_vccz .LBB30_159
; %bb.158:
	v_mov_b32_e32 v0, 0
	s_mov_b32 s2, 0
	global_store_b64 v0, v[8:9], s[10:11]
.LBB30_159:
	s_and_not1_b32 vcc_lo, exec_lo, s2
	s_cbranch_vccnz .LBB30_161
; %bb.160:
	v_mov_b32_e32 v0, 0
	global_store_b64 v0, v[6:7], s[10:11]
.LBB30_161:
	s_mov_b32 s2, 0
.LBB30_162:
	s_delay_alu instid0(SALU_CYCLE_1)
	s_and_not1_b32 vcc_lo, exec_lo, s2
	s_cbranch_vccnz .LBB30_167
; %bb.163:
	s_cmp_eq_u64 s[0:1], 1
	s_mov_b32 s0, -1
	s_cbranch_scc1 .LBB30_165
; %bb.164:
	v_mov_b32_e32 v0, 0
	s_mov_b32 s0, 0
	global_store_b64 v0, v[4:5], s[10:11]
.LBB30_165:
	s_and_not1_b32 vcc_lo, exec_lo, s0
	s_cbranch_vccnz .LBB30_167
; %bb.166:
	v_mov_b32_e32 v0, 0
	global_store_b64 v0, v[2:3], s[10:11]
.LBB30_167:
	s_nop 0
	s_sendmsg sendmsg(MSG_DEALLOC_VGPRS)
	s_endpgm
.LBB30_168:
	global_load_b64 v[33:34], v[35:36], off
	v_dual_mov_b32 v1, s36 :: v_dual_mov_b32 v2, s37
	v_dual_mov_b32 v3, s38 :: v_dual_mov_b32 v4, s39
	v_dual_mov_b32 v5, s40 :: v_dual_mov_b32 v6, s41
	v_dual_mov_b32 v7, s42 :: v_dual_mov_b32 v8, s43
	v_dual_mov_b32 v9, s44 :: v_dual_mov_b32 v10, s45
	v_dual_mov_b32 v11, s46 :: v_dual_mov_b32 v12, s47
	v_dual_mov_b32 v13, s48 :: v_dual_mov_b32 v14, s49
	v_dual_mov_b32 v15, s50 :: v_dual_mov_b32 v16, s51
	v_dual_mov_b32 v17, s52 :: v_dual_mov_b32 v18, s53
	v_dual_mov_b32 v19, s54 :: v_dual_mov_b32 v20, s55
	v_dual_mov_b32 v21, s56 :: v_dual_mov_b32 v22, s57
	v_dual_mov_b32 v23, s58 :: v_dual_mov_b32 v24, s59
	v_dual_mov_b32 v25, s60 :: v_dual_mov_b32 v26, s61
	v_dual_mov_b32 v27, s62 :: v_dual_mov_b32 v28, s63
	v_dual_mov_b32 v29, s64 :: v_dual_mov_b32 v30, s65
	v_dual_mov_b32 v31, s66 :: v_dual_mov_b32 v32, s67
	s_or_b32 exec_lo, exec_lo, s3
	s_delay_alu instid0(SALU_CYCLE_1)
	s_mov_b32 s2, exec_lo
	v_cmpx_gt_u32_e64 s14, v79
	s_cbranch_execz .LBB30_5
.LBB30_169:
	global_load_b64 v[3:4], v[35:36], off offset:2048
	s_or_b32 exec_lo, exec_lo, s2
	s_delay_alu instid0(SALU_CYCLE_1)
	s_mov_b32 s2, exec_lo
	v_cmpx_gt_u32_e64 s14, v78
	s_cbranch_execz .LBB30_6
.LBB30_170:
	v_add_co_u32 v1, vcc_lo, 0x1000, v35
	v_add_co_ci_u32_e32 v2, vcc_lo, 0, v36, vcc_lo
	global_load_b64 v[5:6], v[1:2], off
	s_or_b32 exec_lo, exec_lo, s2
	s_delay_alu instid0(SALU_CYCLE_1)
	s_mov_b32 s2, exec_lo
	v_cmpx_gt_u32_e64 s14, v77
	s_cbranch_execz .LBB30_7
.LBB30_171:
	v_add_co_u32 v1, vcc_lo, 0x1000, v35
	v_add_co_ci_u32_e32 v2, vcc_lo, 0, v36, vcc_lo
	global_load_b64 v[7:8], v[1:2], off offset:2048
	s_or_b32 exec_lo, exec_lo, s2
	s_delay_alu instid0(SALU_CYCLE_1)
	s_mov_b32 s2, exec_lo
	v_cmpx_gt_u32_e64 s14, v76
	s_cbranch_execz .LBB30_8
.LBB30_172:
	v_add_co_u32 v1, vcc_lo, 0x2000, v35
	v_add_co_ci_u32_e32 v2, vcc_lo, 0, v36, vcc_lo
	global_load_b64 v[9:10], v[1:2], off
	s_or_b32 exec_lo, exec_lo, s2
	s_delay_alu instid0(SALU_CYCLE_1)
	s_mov_b32 s2, exec_lo
	v_cmpx_gt_u32_e64 s14, v75
	s_cbranch_execz .LBB30_9
.LBB30_173:
	v_add_co_u32 v1, vcc_lo, 0x2000, v35
	v_add_co_ci_u32_e32 v2, vcc_lo, 0, v36, vcc_lo
	global_load_b64 v[11:12], v[1:2], off offset:2048
	s_or_b32 exec_lo, exec_lo, s2
	s_delay_alu instid0(SALU_CYCLE_1)
	s_mov_b32 s2, exec_lo
	v_cmpx_gt_u32_e64 s14, v74
	s_cbranch_execz .LBB30_10
.LBB30_174:
	v_add_co_u32 v1, vcc_lo, 0x3000, v35
	v_add_co_ci_u32_e32 v2, vcc_lo, 0, v36, vcc_lo
	global_load_b64 v[13:14], v[1:2], off
	s_or_b32 exec_lo, exec_lo, s2
	s_delay_alu instid0(SALU_CYCLE_1)
	s_mov_b32 s2, exec_lo
	v_cmpx_gt_u32_e64 s14, v73
	s_cbranch_execz .LBB30_11
.LBB30_175:
	v_add_co_u32 v1, vcc_lo, 0x3000, v35
	v_add_co_ci_u32_e32 v2, vcc_lo, 0, v36, vcc_lo
	global_load_b64 v[15:16], v[1:2], off offset:2048
	s_or_b32 exec_lo, exec_lo, s2
	s_delay_alu instid0(SALU_CYCLE_1)
	s_mov_b32 s2, exec_lo
	v_cmpx_gt_u32_e64 s14, v72
	s_cbranch_execz .LBB30_12
.LBB30_176:
	v_add_co_u32 v1, vcc_lo, 0x4000, v35
	v_add_co_ci_u32_e32 v2, vcc_lo, 0, v36, vcc_lo
	global_load_b64 v[17:18], v[1:2], off
	s_or_b32 exec_lo, exec_lo, s2
	s_delay_alu instid0(SALU_CYCLE_1)
	s_mov_b32 s2, exec_lo
	v_cmpx_gt_u32_e64 s14, v71
	s_cbranch_execz .LBB30_13
.LBB30_177:
	v_add_co_u32 v1, vcc_lo, 0x4000, v35
	v_add_co_ci_u32_e32 v2, vcc_lo, 0, v36, vcc_lo
	global_load_b64 v[19:20], v[1:2], off offset:2048
	s_or_b32 exec_lo, exec_lo, s2
	s_delay_alu instid0(SALU_CYCLE_1)
	s_mov_b32 s2, exec_lo
	v_cmpx_gt_u32_e64 s14, v70
	s_cbranch_execz .LBB30_14
.LBB30_178:
	v_add_co_u32 v1, vcc_lo, 0x5000, v35
	v_add_co_ci_u32_e32 v2, vcc_lo, 0, v36, vcc_lo
	global_load_b64 v[21:22], v[1:2], off
	s_or_b32 exec_lo, exec_lo, s2
	s_delay_alu instid0(SALU_CYCLE_1)
	s_mov_b32 s2, exec_lo
	v_cmpx_gt_u32_e64 s14, v69
	s_cbranch_execz .LBB30_15
.LBB30_179:
	v_add_co_u32 v1, vcc_lo, 0x5000, v35
	v_add_co_ci_u32_e32 v2, vcc_lo, 0, v36, vcc_lo
	global_load_b64 v[23:24], v[1:2], off offset:2048
	s_or_b32 exec_lo, exec_lo, s2
	s_delay_alu instid0(SALU_CYCLE_1)
	s_mov_b32 s2, exec_lo
	v_cmpx_gt_u32_e64 s14, v68
	s_cbranch_execz .LBB30_16
.LBB30_180:
	v_add_co_u32 v1, vcc_lo, 0x6000, v35
	v_add_co_ci_u32_e32 v2, vcc_lo, 0, v36, vcc_lo
	global_load_b64 v[25:26], v[1:2], off
	s_or_b32 exec_lo, exec_lo, s2
	s_delay_alu instid0(SALU_CYCLE_1)
	s_mov_b32 s2, exec_lo
	v_cmpx_gt_u32_e64 s14, v67
	s_cbranch_execz .LBB30_17
.LBB30_181:
	v_add_co_u32 v1, vcc_lo, 0x6000, v35
	v_add_co_ci_u32_e32 v2, vcc_lo, 0, v36, vcc_lo
	global_load_b64 v[27:28], v[1:2], off offset:2048
	s_or_b32 exec_lo, exec_lo, s2
	s_delay_alu instid0(SALU_CYCLE_1)
	s_mov_b32 s2, exec_lo
	v_cmpx_gt_u32_e64 s14, v66
	s_cbranch_execz .LBB30_18
.LBB30_182:
	v_add_co_u32 v1, vcc_lo, 0x7000, v35
	v_add_co_ci_u32_e32 v2, vcc_lo, 0, v36, vcc_lo
	global_load_b64 v[29:30], v[1:2], off
	s_or_b32 exec_lo, exec_lo, s2
	s_delay_alu instid0(SALU_CYCLE_1)
	s_mov_b32 s2, exec_lo
	v_cmpx_gt_u32_e64 s14, v65
	s_cbranch_execnz .LBB30_19
	s_branch .LBB30_20
.LBB30_183:
	s_waitcnt lgkmcnt(15)
	global_store_b64 v[34:35], v[4:5], off
	s_or_b32 exec_lo, exec_lo, s2
	s_delay_alu instid0(SALU_CYCLE_1)
	s_mov_b32 s2, exec_lo
	v_cmpx_gt_u32_e64 s14, v79
	s_cbranch_execz .LBB30_97
.LBB30_184:
	s_waitcnt lgkmcnt(14)
	global_store_b64 v[34:35], v[2:3], off offset:2048
	s_or_b32 exec_lo, exec_lo, s2
	s_delay_alu instid0(SALU_CYCLE_1)
	s_mov_b32 s2, exec_lo
	v_cmpx_gt_u32_e64 s14, v78
	s_cbranch_execz .LBB30_98
.LBB30_185:
	v_add_co_u32 v36, vcc_lo, 0x1000, v34
	v_add_co_ci_u32_e32 v37, vcc_lo, 0, v35, vcc_lo
	s_waitcnt lgkmcnt(13)
	global_store_b64 v[36:37], v[6:7], off
	s_or_b32 exec_lo, exec_lo, s2
	s_delay_alu instid0(SALU_CYCLE_1)
	s_mov_b32 s2, exec_lo
	v_cmpx_gt_u32_e64 s14, v77
	s_cbranch_execz .LBB30_99
.LBB30_186:
	v_add_co_u32 v36, vcc_lo, 0x1000, v34
	v_add_co_ci_u32_e32 v37, vcc_lo, 0, v35, vcc_lo
	s_waitcnt lgkmcnt(12)
	global_store_b64 v[36:37], v[8:9], off offset:2048
	s_or_b32 exec_lo, exec_lo, s2
	s_delay_alu instid0(SALU_CYCLE_1)
	s_mov_b32 s2, exec_lo
	v_cmpx_gt_u32_e64 s14, v76
	s_cbranch_execz .LBB30_100
.LBB30_187:
	v_add_co_u32 v36, vcc_lo, 0x2000, v34
	v_add_co_ci_u32_e32 v37, vcc_lo, 0, v35, vcc_lo
	s_waitcnt lgkmcnt(11)
	global_store_b64 v[36:37], v[10:11], off
	s_or_b32 exec_lo, exec_lo, s2
	s_delay_alu instid0(SALU_CYCLE_1)
	s_mov_b32 s2, exec_lo
	v_cmpx_gt_u32_e64 s14, v75
	s_cbranch_execz .LBB30_101
.LBB30_188:
	v_add_co_u32 v36, vcc_lo, 0x2000, v34
	v_add_co_ci_u32_e32 v37, vcc_lo, 0, v35, vcc_lo
	s_waitcnt lgkmcnt(10)
	global_store_b64 v[36:37], v[12:13], off offset:2048
	s_or_b32 exec_lo, exec_lo, s2
	s_delay_alu instid0(SALU_CYCLE_1)
	s_mov_b32 s2, exec_lo
	v_cmpx_gt_u32_e64 s14, v74
	s_cbranch_execz .LBB30_102
.LBB30_189:
	v_add_co_u32 v36, vcc_lo, 0x3000, v34
	v_add_co_ci_u32_e32 v37, vcc_lo, 0, v35, vcc_lo
	s_waitcnt lgkmcnt(9)
	global_store_b64 v[36:37], v[14:15], off
	s_or_b32 exec_lo, exec_lo, s2
	s_delay_alu instid0(SALU_CYCLE_1)
	s_mov_b32 s2, exec_lo
	v_cmpx_gt_u32_e64 s14, v73
	s_cbranch_execz .LBB30_103
.LBB30_190:
	v_add_co_u32 v36, vcc_lo, 0x3000, v34
	v_add_co_ci_u32_e32 v37, vcc_lo, 0, v35, vcc_lo
	s_waitcnt lgkmcnt(8)
	global_store_b64 v[36:37], v[16:17], off offset:2048
	s_or_b32 exec_lo, exec_lo, s2
	s_delay_alu instid0(SALU_CYCLE_1)
	s_mov_b32 s2, exec_lo
	v_cmpx_gt_u32_e64 s14, v72
	s_cbranch_execz .LBB30_104
.LBB30_191:
	v_add_co_u32 v36, vcc_lo, 0x4000, v34
	v_add_co_ci_u32_e32 v37, vcc_lo, 0, v35, vcc_lo
	s_waitcnt lgkmcnt(7)
	global_store_b64 v[36:37], v[18:19], off
	s_or_b32 exec_lo, exec_lo, s2
	s_delay_alu instid0(SALU_CYCLE_1)
	s_mov_b32 s2, exec_lo
	v_cmpx_gt_u32_e64 s14, v71
	s_cbranch_execz .LBB30_105
.LBB30_192:
	v_add_co_u32 v36, vcc_lo, 0x4000, v34
	v_add_co_ci_u32_e32 v37, vcc_lo, 0, v35, vcc_lo
	s_waitcnt lgkmcnt(6)
	global_store_b64 v[36:37], v[20:21], off offset:2048
	s_or_b32 exec_lo, exec_lo, s2
	s_delay_alu instid0(SALU_CYCLE_1)
	s_mov_b32 s2, exec_lo
	v_cmpx_gt_u32_e64 s14, v70
	s_cbranch_execz .LBB30_106
.LBB30_193:
	v_add_co_u32 v36, vcc_lo, 0x5000, v34
	v_add_co_ci_u32_e32 v37, vcc_lo, 0, v35, vcc_lo
	s_waitcnt lgkmcnt(5)
	global_store_b64 v[36:37], v[22:23], off
	s_or_b32 exec_lo, exec_lo, s2
	s_delay_alu instid0(SALU_CYCLE_1)
	s_mov_b32 s2, exec_lo
	v_cmpx_gt_u32_e64 s14, v69
	s_cbranch_execz .LBB30_107
.LBB30_194:
	v_add_co_u32 v36, vcc_lo, 0x5000, v34
	v_add_co_ci_u32_e32 v37, vcc_lo, 0, v35, vcc_lo
	s_waitcnt lgkmcnt(4)
	global_store_b64 v[36:37], v[24:25], off offset:2048
	s_or_b32 exec_lo, exec_lo, s2
	s_delay_alu instid0(SALU_CYCLE_1)
	s_mov_b32 s2, exec_lo
	v_cmpx_gt_u32_e64 s14, v68
	s_cbranch_execz .LBB30_108
.LBB30_195:
	v_add_co_u32 v36, vcc_lo, 0x6000, v34
	v_add_co_ci_u32_e32 v37, vcc_lo, 0, v35, vcc_lo
	s_waitcnt lgkmcnt(3)
	global_store_b64 v[36:37], v[26:27], off
	s_or_b32 exec_lo, exec_lo, s2
	s_delay_alu instid0(SALU_CYCLE_1)
	s_mov_b32 s2, exec_lo
	v_cmpx_gt_u32_e64 s14, v67
	s_cbranch_execz .LBB30_109
.LBB30_196:
	v_add_co_u32 v36, vcc_lo, 0x6000, v34
	v_add_co_ci_u32_e32 v37, vcc_lo, 0, v35, vcc_lo
	s_waitcnt lgkmcnt(2)
	global_store_b64 v[36:37], v[28:29], off offset:2048
	s_or_b32 exec_lo, exec_lo, s2
	s_delay_alu instid0(SALU_CYCLE_1)
	s_mov_b32 s2, exec_lo
	v_cmpx_gt_u32_e64 s14, v66
	s_cbranch_execz .LBB30_110
.LBB30_197:
	v_add_co_u32 v36, vcc_lo, 0x7000, v34
	v_add_co_ci_u32_e32 v37, vcc_lo, 0, v35, vcc_lo
	s_waitcnt lgkmcnt(1)
	global_store_b64 v[36:37], v[30:31], off
	s_or_b32 exec_lo, exec_lo, s2
	s_delay_alu instid0(SALU_CYCLE_1)
	s_mov_b32 s2, exec_lo
	v_cmpx_gt_u32_e64 s14, v65
	s_cbranch_execnz .LBB30_111
	s_branch .LBB30_112
	.section	.rodata,"a",@progbits
	.p2align	6, 0x0
	.amdhsa_kernel _ZN7rocprim6detail20lookback_scan_kernelILNS0_25lookback_scan_determinismE0ELb0ENS0_19wrapped_scan_configINS_14default_configEmEEPmS6_N6hipcub3SumEmmNS0_19lookback_scan_stateImLb0ELb1EEEEEvT2_T3_mT5_T4_T7_jPT6_SH_bb
		.amdhsa_group_segment_fixed_size 33792
		.amdhsa_private_segment_fixed_size 0
		.amdhsa_kernarg_size 76
		.amdhsa_user_sgpr_count 15
		.amdhsa_user_sgpr_dispatch_ptr 0
		.amdhsa_user_sgpr_queue_ptr 0
		.amdhsa_user_sgpr_kernarg_segment_ptr 1
		.amdhsa_user_sgpr_dispatch_id 0
		.amdhsa_user_sgpr_private_segment_size 0
		.amdhsa_wavefront_size32 1
		.amdhsa_uses_dynamic_stack 0
		.amdhsa_enable_private_segment 0
		.amdhsa_system_sgpr_workgroup_id_x 1
		.amdhsa_system_sgpr_workgroup_id_y 0
		.amdhsa_system_sgpr_workgroup_id_z 0
		.amdhsa_system_sgpr_workgroup_info 0
		.amdhsa_system_vgpr_workitem_id 0
		.amdhsa_next_free_vgpr 96
		.amdhsa_next_free_sgpr 68
		.amdhsa_reserve_vcc 1
		.amdhsa_float_round_mode_32 0
		.amdhsa_float_round_mode_16_64 0
		.amdhsa_float_denorm_mode_32 3
		.amdhsa_float_denorm_mode_16_64 3
		.amdhsa_dx10_clamp 1
		.amdhsa_ieee_mode 1
		.amdhsa_fp16_overflow 0
		.amdhsa_workgroup_processor_mode 1
		.amdhsa_memory_ordered 1
		.amdhsa_forward_progress 0
		.amdhsa_shared_vgpr_count 0
		.amdhsa_exception_fp_ieee_invalid_op 0
		.amdhsa_exception_fp_denorm_src 0
		.amdhsa_exception_fp_ieee_div_zero 0
		.amdhsa_exception_fp_ieee_overflow 0
		.amdhsa_exception_fp_ieee_underflow 0
		.amdhsa_exception_fp_ieee_inexact 0
		.amdhsa_exception_int_div_zero 0
	.end_amdhsa_kernel
	.section	.text._ZN7rocprim6detail20lookback_scan_kernelILNS0_25lookback_scan_determinismE0ELb0ENS0_19wrapped_scan_configINS_14default_configEmEEPmS6_N6hipcub3SumEmmNS0_19lookback_scan_stateImLb0ELb1EEEEEvT2_T3_mT5_T4_T7_jPT6_SH_bb,"axG",@progbits,_ZN7rocprim6detail20lookback_scan_kernelILNS0_25lookback_scan_determinismE0ELb0ENS0_19wrapped_scan_configINS_14default_configEmEEPmS6_N6hipcub3SumEmmNS0_19lookback_scan_stateImLb0ELb1EEEEEvT2_T3_mT5_T4_T7_jPT6_SH_bb,comdat
.Lfunc_end30:
	.size	_ZN7rocprim6detail20lookback_scan_kernelILNS0_25lookback_scan_determinismE0ELb0ENS0_19wrapped_scan_configINS_14default_configEmEEPmS6_N6hipcub3SumEmmNS0_19lookback_scan_stateImLb0ELb1EEEEEvT2_T3_mT5_T4_T7_jPT6_SH_bb, .Lfunc_end30-_ZN7rocprim6detail20lookback_scan_kernelILNS0_25lookback_scan_determinismE0ELb0ENS0_19wrapped_scan_configINS_14default_configEmEEPmS6_N6hipcub3SumEmmNS0_19lookback_scan_stateImLb0ELb1EEEEEvT2_T3_mT5_T4_T7_jPT6_SH_bb
                                        ; -- End function
	.section	.AMDGPU.csdata,"",@progbits
; Kernel info:
; codeLenInByte = 11436
; NumSgprs: 70
; NumVgprs: 96
; ScratchSize: 0
; MemoryBound: 1
; FloatMode: 240
; IeeeMode: 1
; LDSByteSize: 33792 bytes/workgroup (compile time only)
; SGPRBlocks: 8
; VGPRBlocks: 11
; NumSGPRsForWavesPerEU: 70
; NumVGPRsForWavesPerEU: 96
; Occupancy: 6
; WaveLimiterHint : 1
; COMPUTE_PGM_RSRC2:SCRATCH_EN: 0
; COMPUTE_PGM_RSRC2:USER_SGPR: 15
; COMPUTE_PGM_RSRC2:TRAP_HANDLER: 0
; COMPUTE_PGM_RSRC2:TGID_X_EN: 1
; COMPUTE_PGM_RSRC2:TGID_Y_EN: 0
; COMPUTE_PGM_RSRC2:TGID_Z_EN: 0
; COMPUTE_PGM_RSRC2:TIDIG_COMP_CNT: 0
	.section	.text._ZN7rocprim6detail16transform_kernelINS0_24wrapped_transform_configINS_14default_configEmEEmPmS5_NS_8identityImEEEEvT1_mT2_T3_,"axG",@progbits,_ZN7rocprim6detail16transform_kernelINS0_24wrapped_transform_configINS_14default_configEmEEmPmS5_NS_8identityImEEEEvT1_mT2_T3_,comdat
	.protected	_ZN7rocprim6detail16transform_kernelINS0_24wrapped_transform_configINS_14default_configEmEEmPmS5_NS_8identityImEEEEvT1_mT2_T3_ ; -- Begin function _ZN7rocprim6detail16transform_kernelINS0_24wrapped_transform_configINS_14default_configEmEEmPmS5_NS_8identityImEEEEvT1_mT2_T3_
	.globl	_ZN7rocprim6detail16transform_kernelINS0_24wrapped_transform_configINS_14default_configEmEEmPmS5_NS_8identityImEEEEvT1_mT2_T3_
	.p2align	8
	.type	_ZN7rocprim6detail16transform_kernelINS0_24wrapped_transform_configINS_14default_configEmEEmPmS5_NS_8identityImEEEEvT1_mT2_T3_,@function
_ZN7rocprim6detail16transform_kernelINS0_24wrapped_transform_configINS_14default_configEmEEmPmS5_NS_8identityImEEEEvT1_mT2_T3_: ; @_ZN7rocprim6detail16transform_kernelINS0_24wrapped_transform_configINS_14default_configEmEEmPmS5_NS_8identityImEEEEvT1_mT2_T3_
; %bb.0:
	s_clause 0x2
	s_load_b32 s3, s[0:1], 0x20
	s_load_b128 s[4:7], s[0:1], 0x0
	s_load_b64 s[0:1], s[0:1], 0x10
	v_lshlrev_b32_e32 v2, 3, v0
	s_lshl_b32 s2, s15, 9
	s_waitcnt lgkmcnt(0)
	s_add_i32 s7, s3, -1
	s_mov_b32 s3, 0
	s_cmp_lg_u32 s15, s7
	s_mov_b32 s7, -1
	s_cbranch_scc0 .LBB31_2
; %bb.1:
	s_lshl_b64 s[8:9], s[2:3], 3
	s_mov_b32 s7, s3
	s_add_u32 s10, s4, s8
	s_addc_u32 s11, s5, s9
	s_add_u32 s8, s0, s8
	global_load_b64 v[3:4], v2, s[10:11]
	s_addc_u32 s9, s1, s9
	s_waitcnt vmcnt(0)
	global_store_b64 v2, v[3:4], s[8:9]
.LBB31_2:
	s_and_not1_b32 vcc_lo, exec_lo, s7
	s_cbranch_vccnz .LBB31_7
; %bb.3:
	s_sub_i32 s6, s6, s2
	s_delay_alu instid0(SALU_CYCLE_1)
	v_cmp_gt_u32_e32 vcc_lo, s6, v0
                                        ; implicit-def: $vgpr0_vgpr1
	s_and_saveexec_b32 s6, vcc_lo
	s_cbranch_execz .LBB31_5
; %bb.4:
	s_lshl_b64 s[8:9], s[2:3], 3
	s_delay_alu instid0(SALU_CYCLE_1)
	s_add_u32 s4, s4, s8
	s_addc_u32 s5, s5, s9
	global_load_b64 v[0:1], v2, s[4:5]
.LBB31_5:
	s_or_b32 exec_lo, exec_lo, s6
	s_and_saveexec_b32 s4, vcc_lo
	s_cbranch_execz .LBB31_7
; %bb.6:
	s_lshl_b64 s[2:3], s[2:3], 3
	s_delay_alu instid0(SALU_CYCLE_1)
	s_add_u32 s0, s0, s2
	s_addc_u32 s1, s1, s3
	s_waitcnt vmcnt(0)
	global_store_b64 v2, v[0:1], s[0:1]
.LBB31_7:
	s_nop 0
	s_sendmsg sendmsg(MSG_DEALLOC_VGPRS)
	s_endpgm
	.section	.rodata,"a",@progbits
	.p2align	6, 0x0
	.amdhsa_kernel _ZN7rocprim6detail16transform_kernelINS0_24wrapped_transform_configINS_14default_configEmEEmPmS5_NS_8identityImEEEEvT1_mT2_T3_
		.amdhsa_group_segment_fixed_size 0
		.amdhsa_private_segment_fixed_size 0
		.amdhsa_kernarg_size 288
		.amdhsa_user_sgpr_count 15
		.amdhsa_user_sgpr_dispatch_ptr 0
		.amdhsa_user_sgpr_queue_ptr 0
		.amdhsa_user_sgpr_kernarg_segment_ptr 1
		.amdhsa_user_sgpr_dispatch_id 0
		.amdhsa_user_sgpr_private_segment_size 0
		.amdhsa_wavefront_size32 1
		.amdhsa_uses_dynamic_stack 0
		.amdhsa_enable_private_segment 0
		.amdhsa_system_sgpr_workgroup_id_x 1
		.amdhsa_system_sgpr_workgroup_id_y 0
		.amdhsa_system_sgpr_workgroup_id_z 0
		.amdhsa_system_sgpr_workgroup_info 0
		.amdhsa_system_vgpr_workitem_id 0
		.amdhsa_next_free_vgpr 5
		.amdhsa_next_free_sgpr 16
		.amdhsa_reserve_vcc 1
		.amdhsa_float_round_mode_32 0
		.amdhsa_float_round_mode_16_64 0
		.amdhsa_float_denorm_mode_32 3
		.amdhsa_float_denorm_mode_16_64 3
		.amdhsa_dx10_clamp 1
		.amdhsa_ieee_mode 1
		.amdhsa_fp16_overflow 0
		.amdhsa_workgroup_processor_mode 1
		.amdhsa_memory_ordered 1
		.amdhsa_forward_progress 0
		.amdhsa_shared_vgpr_count 0
		.amdhsa_exception_fp_ieee_invalid_op 0
		.amdhsa_exception_fp_denorm_src 0
		.amdhsa_exception_fp_ieee_div_zero 0
		.amdhsa_exception_fp_ieee_overflow 0
		.amdhsa_exception_fp_ieee_underflow 0
		.amdhsa_exception_fp_ieee_inexact 0
		.amdhsa_exception_int_div_zero 0
	.end_amdhsa_kernel
	.section	.text._ZN7rocprim6detail16transform_kernelINS0_24wrapped_transform_configINS_14default_configEmEEmPmS5_NS_8identityImEEEEvT1_mT2_T3_,"axG",@progbits,_ZN7rocprim6detail16transform_kernelINS0_24wrapped_transform_configINS_14default_configEmEEmPmS5_NS_8identityImEEEEvT1_mT2_T3_,comdat
.Lfunc_end31:
	.size	_ZN7rocprim6detail16transform_kernelINS0_24wrapped_transform_configINS_14default_configEmEEmPmS5_NS_8identityImEEEEvT1_mT2_T3_, .Lfunc_end31-_ZN7rocprim6detail16transform_kernelINS0_24wrapped_transform_configINS_14default_configEmEEmPmS5_NS_8identityImEEEEvT1_mT2_T3_
                                        ; -- End function
	.section	.AMDGPU.csdata,"",@progbits
; Kernel info:
; codeLenInByte = 208
; NumSgprs: 18
; NumVgprs: 5
; ScratchSize: 0
; MemoryBound: 0
; FloatMode: 240
; IeeeMode: 1
; LDSByteSize: 0 bytes/workgroup (compile time only)
; SGPRBlocks: 2
; VGPRBlocks: 0
; NumSGPRsForWavesPerEU: 18
; NumVGPRsForWavesPerEU: 5
; Occupancy: 16
; WaveLimiterHint : 0
; COMPUTE_PGM_RSRC2:SCRATCH_EN: 0
; COMPUTE_PGM_RSRC2:USER_SGPR: 15
; COMPUTE_PGM_RSRC2:TRAP_HANDLER: 0
; COMPUTE_PGM_RSRC2:TGID_X_EN: 1
; COMPUTE_PGM_RSRC2:TGID_Y_EN: 0
; COMPUTE_PGM_RSRC2:TGID_Z_EN: 0
; COMPUTE_PGM_RSRC2:TIDIG_COMP_CNT: 0
	.section	.text._ZN7rocprim6detail18single_scan_kernelILb0ENS0_19wrapped_scan_configINS_14default_configEmEEPmS5_N6hipcub3SumEmmEEvT1_mT4_T2_T3_,"axG",@progbits,_ZN7rocprim6detail18single_scan_kernelILb0ENS0_19wrapped_scan_configINS_14default_configEmEEPmS5_N6hipcub3SumEmmEEvT1_mT4_T2_T3_,comdat
	.protected	_ZN7rocprim6detail18single_scan_kernelILb0ENS0_19wrapped_scan_configINS_14default_configEmEEPmS5_N6hipcub3SumEmmEEvT1_mT4_T2_T3_ ; -- Begin function _ZN7rocprim6detail18single_scan_kernelILb0ENS0_19wrapped_scan_configINS_14default_configEmEEPmS5_N6hipcub3SumEmmEEvT1_mT4_T2_T3_
	.globl	_ZN7rocprim6detail18single_scan_kernelILb0ENS0_19wrapped_scan_configINS_14default_configEmEEPmS5_N6hipcub3SumEmmEEvT1_mT4_T2_T3_
	.p2align	8
	.type	_ZN7rocprim6detail18single_scan_kernelILb0ENS0_19wrapped_scan_configINS_14default_configEmEEPmS5_N6hipcub3SumEmmEEvT1_mT4_T2_T3_,@function
_ZN7rocprim6detail18single_scan_kernelILb0ENS0_19wrapped_scan_configINS_14default_configEmEEPmS5_N6hipcub3SumEmmEEvT1_mT4_T2_T3_: ; @_ZN7rocprim6detail18single_scan_kernelILb0ENS0_19wrapped_scan_configINS_14default_configEmEEPmS5_N6hipcub3SumEmmEEvT1_mT4_T2_T3_
; %bb.0:
	s_load_b128 s[16:19], s[0:1], 0x0
	s_waitcnt lgkmcnt(0)
	s_load_b64 s[36:37], s[16:17], 0x0
	v_cmp_gt_u32_e32 vcc_lo, s18, v0
	s_waitcnt lgkmcnt(0)
	s_mov_b32 s38, s36
	s_mov_b32 s39, s37
	;; [unrolled: 1-line block ×30, first 2 shown]
	v_lshlrev_b32_e32 v55, 3, v0
	v_dual_mov_b32 v1, s36 :: v_dual_mov_b32 v4, s39
	v_dual_mov_b32 v2, s37 :: v_dual_mov_b32 v33, s36
	s_delay_alu instid0(VALU_DEP_3) | instskip(NEXT) | instid1(VALU_DEP_1)
	v_add_co_u32 v35, s2, s16, v55
	v_add_co_ci_u32_e64 v36, null, s17, 0, s2
	v_dual_mov_b32 v3, s38 :: v_dual_mov_b32 v6, s41
	v_dual_mov_b32 v5, s40 :: v_dual_mov_b32 v8, s43
	;; [unrolled: 1-line block ×15, first 2 shown]
	s_and_saveexec_b32 s2, vcc_lo
	s_cbranch_execz .LBB32_2
; %bb.1:
	global_load_b64 v[33:34], v[35:36], off
	v_dual_mov_b32 v1, s36 :: v_dual_mov_b32 v2, s37
	v_dual_mov_b32 v3, s38 :: v_dual_mov_b32 v4, s39
	;; [unrolled: 1-line block ×16, first 2 shown]
.LBB32_2:
	s_or_b32 exec_lo, exec_lo, s2
	v_or_b32_e32 v1, 0x100, v0
	s_delay_alu instid0(VALU_DEP_1) | instskip(NEXT) | instid1(VALU_DEP_1)
	v_cmp_gt_u32_e64 s2, s18, v1
	s_and_saveexec_b32 s3, s2
	s_cbranch_execz .LBB32_4
; %bb.3:
	global_load_b64 v[3:4], v[35:36], off offset:2048
.LBB32_4:
	s_or_b32 exec_lo, exec_lo, s3
	v_or_b32_e32 v2, 0x200, v0
	s_delay_alu instid0(VALU_DEP_1) | instskip(NEXT) | instid1(VALU_DEP_1)
	v_cmp_gt_u32_e64 s3, s18, v2
	s_and_saveexec_b32 s5, s3
	s_cbranch_execz .LBB32_6
; %bb.5:
	v_add_co_u32 v5, s4, 0x1000, v35
	s_delay_alu instid0(VALU_DEP_1)
	v_add_co_ci_u32_e64 v6, s4, 0, v36, s4
	global_load_b64 v[5:6], v[5:6], off
.LBB32_6:
	s_or_b32 exec_lo, exec_lo, s5
	v_or_b32_e32 v37, 0x300, v0
	s_delay_alu instid0(VALU_DEP_1) | instskip(NEXT) | instid1(VALU_DEP_1)
	v_cmp_gt_u32_e64 s4, s18, v37
	s_and_saveexec_b32 s6, s4
	s_cbranch_execz .LBB32_8
; %bb.7:
	v_add_co_u32 v7, s5, 0x1000, v35
	s_delay_alu instid0(VALU_DEP_1)
	v_add_co_ci_u32_e64 v8, s5, 0, v36, s5
	global_load_b64 v[7:8], v[7:8], off offset:2048
.LBB32_8:
	s_or_b32 exec_lo, exec_lo, s6
	v_or_b32_e32 v38, 0x400, v0
	s_delay_alu instid0(VALU_DEP_1) | instskip(NEXT) | instid1(VALU_DEP_1)
	v_cmp_gt_u32_e64 s5, s18, v38
	s_and_saveexec_b32 s7, s5
	s_cbranch_execz .LBB32_10
; %bb.9:
	v_add_co_u32 v9, s6, 0x2000, v35
	s_delay_alu instid0(VALU_DEP_1)
	v_add_co_ci_u32_e64 v10, s6, 0, v36, s6
	global_load_b64 v[9:10], v[9:10], off
.LBB32_10:
	s_or_b32 exec_lo, exec_lo, s7
	v_or_b32_e32 v39, 0x500, v0
	s_delay_alu instid0(VALU_DEP_1) | instskip(NEXT) | instid1(VALU_DEP_1)
	v_cmp_gt_u32_e64 s6, s18, v39
	s_and_saveexec_b32 s8, s6
	s_cbranch_execz .LBB32_12
; %bb.11:
	v_add_co_u32 v11, s7, 0x2000, v35
	s_delay_alu instid0(VALU_DEP_1)
	v_add_co_ci_u32_e64 v12, s7, 0, v36, s7
	global_load_b64 v[11:12], v[11:12], off offset:2048
.LBB32_12:
	;; [unrolled: 24-line block ×7, first 2 shown]
	s_or_b32 exec_lo, exec_lo, s18
	v_lshrrev_b32_e32 v1, 2, v1
	v_lshrrev_b32_e32 v2, 2, v2
	;; [unrolled: 1-line block ×5, first 2 shown]
	v_and_b32_e32 v1, 0x78, v1
	v_lshrrev_b32_e32 v38, 2, v39
	v_and_b32_e32 v2, 0xf8, v2
	v_and_b32_e32 v35, 56, v35
	s_mov_b32 s18, exec_lo
	v_add_nc_u32_e32 v57, v1, v55
	v_and_b32_e32 v1, 0xf8, v36
	v_add_nc_u32_e32 v58, v2, v55
	v_and_b32_e32 v2, 0x1f8, v38
	v_add_nc_u32_e32 v56, v35, v55
	s_waitcnt vmcnt(0)
	ds_store_b64 v56, v[33:34]
	ds_store_b64 v57, v[3:4] offset:2048
	v_add_nc_u32_e32 v59, v1, v55
	v_lshrrev_b32_e32 v1, 2, v40
	v_add_nc_u32_e32 v61, v2, v55
	v_lshrrev_b32_e32 v2, 2, v41
	v_lshrrev_b32_e32 v3, 2, v42
	;; [unrolled: 1-line block ×3, first 2 shown]
	v_and_b32_e32 v1, 0x1f8, v1
	v_and_b32_e32 v35, 0x1f8, v37
	ds_store_b64 v58, v[5:6] offset:4096
	v_and_b32_e32 v3, 0x3f8, v3
	v_and_b32_e32 v4, 0x3f8, v4
	v_add_nc_u32_e32 v62, v1, v55
	v_and_b32_e32 v1, 0x1f8, v2
	v_lshrrev_b32_e32 v2, 2, v44
	v_add_nc_u32_e32 v64, v3, v55
	v_lshrrev_b32_e32 v3, 2, v47
	v_add_nc_u32_e32 v65, v4, v55
	v_add_nc_u32_e32 v63, v1, v55
	v_and_b32_e32 v1, 0x3f8, v2
	v_lshrrev_b32_e32 v2, 2, v45
	v_and_b32_e32 v3, 0x3f8, v3
	v_lshrrev_b32_e32 v4, 2, v48
	v_add_nc_u32_e32 v60, v35, v55
	v_add_nc_u32_e32 v66, v1, v55
	v_and_b32_e32 v1, 0x3f8, v2
	v_lshrrev_b32_e32 v2, 2, v46
	v_add_nc_u32_e32 v69, v3, v55
	v_lshrrev_b32_e32 v3, 1, v0
	v_and_b32_e32 v4, 0x3f8, v4
	v_add_nc_u32_e32 v67, v1, v55
	v_and_b32_e32 v1, 0x3f8, v2
	v_lshrrev_b32_e32 v2, 2, v49
	ds_store_b64 v59, v[7:8] offset:6144
	ds_store_b64 v60, v[9:10] offset:8192
	v_add_nc_u32_e32 v70, v4, v55
	ds_store_b64 v61, v[11:12] offset:10240
	v_add_nc_u32_e32 v68, v1, v55
	v_and_b32_e32 v1, 0x3f8, v2
	v_lshlrev_b32_e32 v2, 4, v0
	ds_store_b64 v62, v[13:14] offset:12288
	ds_store_b64 v63, v[15:16] offset:14336
	;; [unrolled: 1-line block ×4, first 2 shown]
	v_add_nc_u32_e32 v71, v1, v55
	v_add_lshl_u32 v72, v3, v2, 3
	ds_store_b64 v66, v[21:22] offset:20480
	ds_store_b64 v67, v[23:24] offset:22528
	;; [unrolled: 1-line block ×6, first 2 shown]
	s_waitcnt lgkmcnt(0)
	s_barrier
	buffer_gl0_inv
	ds_load_2addr_b64 v[1:4], v72 offset1:1
	ds_load_2addr_b64 v[5:8], v72 offset0:2 offset1:3
	ds_load_2addr_b64 v[9:12], v72 offset0:4 offset1:5
	;; [unrolled: 1-line block ×6, first 2 shown]
	s_waitcnt lgkmcnt(6)
	v_add_co_u32 v13, s17, v3, v1
	s_delay_alu instid0(VALU_DEP_1) | instskip(SKIP_1) | instid1(VALU_DEP_2)
	v_add_co_ci_u32_e64 v14, s17, v4, v2, s17
	s_waitcnt lgkmcnt(5)
	v_add_co_u32 v13, s17, v13, v5
	s_delay_alu instid0(VALU_DEP_1) | instskip(NEXT) | instid1(VALU_DEP_2)
	v_add_co_ci_u32_e64 v14, s17, v14, v6, s17
	v_add_co_u32 v13, s17, v13, v7
	s_delay_alu instid0(VALU_DEP_1) | instskip(SKIP_1) | instid1(VALU_DEP_2)
	v_add_co_ci_u32_e64 v14, s17, v14, v8, s17
	s_waitcnt lgkmcnt(4)
	v_add_co_u32 v13, s17, v13, v9
	s_delay_alu instid0(VALU_DEP_1) | instskip(NEXT) | instid1(VALU_DEP_2)
	v_add_co_ci_u32_e64 v14, s17, v14, v10, s17
	;; [unrolled: 7-line block ×4, first 2 shown]
	v_add_co_u32 v33, s17, v13, v27
	s_delay_alu instid0(VALU_DEP_1) | instskip(SKIP_3) | instid1(VALU_DEP_1)
	v_add_co_ci_u32_e64 v34, s17, v14, v28, s17
	ds_load_2addr_b64 v[13:16], v72 offset0:14 offset1:15
	s_waitcnt lgkmcnt(2)
	v_add_co_u32 v33, s17, v33, v29
	v_add_co_ci_u32_e64 v34, s17, v34, v30, s17
	s_waitcnt lgkmcnt(0)
	s_delay_alu instid0(VALU_DEP_2) | instskip(NEXT) | instid1(VALU_DEP_1)
	v_add_co_u32 v33, s17, v33, v31
	v_add_co_ci_u32_e64 v34, s17, v34, v32, s17
	s_barrier
	s_delay_alu instid0(VALU_DEP_2) | instskip(NEXT) | instid1(VALU_DEP_1)
	v_add_co_u32 v33, s17, v33, v17
	v_add_co_ci_u32_e64 v34, s17, v34, v18, s17
	buffer_gl0_inv
	v_add_co_u32 v33, s17, v33, v19
	s_delay_alu instid0(VALU_DEP_1) | instskip(NEXT) | instid1(VALU_DEP_2)
	v_add_co_ci_u32_e64 v34, s17, v34, v20, s17
	v_add_co_u32 v33, s17, v33, v13
	s_delay_alu instid0(VALU_DEP_1) | instskip(NEXT) | instid1(VALU_DEP_2)
	v_add_co_ci_u32_e64 v34, s17, v34, v14, s17
	v_add_co_u32 v49, s17, v33, v15
	s_delay_alu instid0(VALU_DEP_1)
	v_add_co_ci_u32_e64 v50, s17, v34, v16, s17
	ds_store_b64 v56, v[49:50]
	s_waitcnt lgkmcnt(0)
	s_barrier
	buffer_gl0_inv
	v_cmpx_gt_u32_e32 32, v0
	s_cbranch_execz .LBB32_42
; %bb.33:
	v_lshlrev_b32_e32 v33, 1, v0
	v_mbcnt_lo_u32_b32 v74, -1, 0
	s_mov_b32 s19, exec_lo
	s_delay_alu instid0(VALU_DEP_2) | instskip(NEXT) | instid1(VALU_DEP_2)
	v_and_b32_e32 v33, 0x1f8, v33
	v_and_b32_e32 v75, 15, v74
	s_delay_alu instid0(VALU_DEP_2)
	v_lshl_or_b32 v73, v0, 6, v33
	ds_load_2addr_b64 v[33:36], v73 offset1:1
	ds_load_2addr_b64 v[37:40], v73 offset0:2 offset1:3
	ds_load_2addr_b64 v[41:44], v73 offset0:4 offset1:5
	;; [unrolled: 1-line block ×3, first 2 shown]
	s_waitcnt lgkmcnt(3)
	v_add_co_u32 v51, s17, v35, v33
	s_delay_alu instid0(VALU_DEP_1) | instskip(SKIP_1) | instid1(VALU_DEP_2)
	v_add_co_ci_u32_e64 v52, s17, v36, v34, s17
	s_waitcnt lgkmcnt(2)
	v_add_co_u32 v51, s17, v51, v37
	s_delay_alu instid0(VALU_DEP_1) | instskip(NEXT) | instid1(VALU_DEP_2)
	v_add_co_ci_u32_e64 v52, s17, v52, v38, s17
	v_add_co_u32 v51, s17, v51, v39
	s_delay_alu instid0(VALU_DEP_1) | instskip(SKIP_1) | instid1(VALU_DEP_2)
	v_add_co_ci_u32_e64 v52, s17, v52, v40, s17
	s_waitcnt lgkmcnt(1)
	v_add_co_u32 v51, s17, v51, v41
	s_delay_alu instid0(VALU_DEP_1) | instskip(NEXT) | instid1(VALU_DEP_2)
	v_add_co_ci_u32_e64 v52, s17, v52, v42, s17
	;; [unrolled: 7-line block ×3, first 2 shown]
	v_add_co_u32 v51, s17, v51, v47
	s_delay_alu instid0(VALU_DEP_1) | instskip(NEXT) | instid1(VALU_DEP_2)
	v_add_co_ci_u32_e64 v52, s17, v52, v48, s17
	v_mov_b32_dpp v77, v51 row_shr:1 row_mask:0xf bank_mask:0xf
	s_delay_alu instid0(VALU_DEP_2)
	v_mov_b32_e32 v54, v52
	v_mov_b32_dpp v76, v52 row_shr:1 row_mask:0xf bank_mask:0xf
	v_mov_b32_e32 v53, v51
	v_cmpx_ne_u32_e32 0, v75
; %bb.34:
	v_add_co_u32 v51, s17, v51, v77
	s_delay_alu instid0(VALU_DEP_1) | instskip(NEXT) | instid1(VALU_DEP_2)
	v_add_co_ci_u32_e64 v52, s17, 0, v52, s17
	v_add_co_u32 v53, s17, 0, v51
	s_delay_alu instid0(VALU_DEP_1) | instskip(NEXT) | instid1(VALU_DEP_1)
	v_add_co_ci_u32_e64 v54, s17, v76, v52, s17
	v_mov_b32_e32 v52, v54
; %bb.35:
	s_or_b32 exec_lo, exec_lo, s19
	v_mov_b32_dpp v77, v51 row_shr:2 row_mask:0xf bank_mask:0xf
	s_delay_alu instid0(VALU_DEP_2)
	v_mov_b32_dpp v76, v52 row_shr:2 row_mask:0xf bank_mask:0xf
	s_mov_b32 s19, exec_lo
	v_cmpx_lt_u32_e32 1, v75
; %bb.36:
	s_delay_alu instid0(VALU_DEP_3) | instskip(NEXT) | instid1(VALU_DEP_1)
	v_add_co_u32 v51, s17, v53, v77
	v_add_co_ci_u32_e64 v52, s17, 0, v54, s17
	s_delay_alu instid0(VALU_DEP_2) | instskip(NEXT) | instid1(VALU_DEP_1)
	v_add_co_u32 v53, s17, 0, v51
	v_add_co_ci_u32_e64 v54, s17, v76, v52, s17
	s_delay_alu instid0(VALU_DEP_1)
	v_mov_b32_e32 v52, v54
; %bb.37:
	s_or_b32 exec_lo, exec_lo, s19
	v_mov_b32_dpp v77, v51 row_shr:4 row_mask:0xf bank_mask:0xf
	s_delay_alu instid0(VALU_DEP_2)
	v_mov_b32_dpp v76, v52 row_shr:4 row_mask:0xf bank_mask:0xf
	s_mov_b32 s19, exec_lo
	v_cmpx_lt_u32_e32 3, v75
; %bb.38:
	s_delay_alu instid0(VALU_DEP_3) | instskip(NEXT) | instid1(VALU_DEP_1)
	v_add_co_u32 v51, s17, v53, v77
	v_add_co_ci_u32_e64 v52, s17, 0, v54, s17
	s_delay_alu instid0(VALU_DEP_2) | instskip(NEXT) | instid1(VALU_DEP_1)
	v_add_co_u32 v53, s17, 0, v51
	v_add_co_ci_u32_e64 v54, s17, v76, v52, s17
	s_delay_alu instid0(VALU_DEP_1)
	;; [unrolled: 16-line block ×3, first 2 shown]
	v_mov_b32_e32 v52, v54
; %bb.41:
	s_or_b32 exec_lo, exec_lo, s19
	ds_swizzle_b32 v75, v51 offset:swizzle(BROADCAST,32,15)
	ds_swizzle_b32 v76, v52 offset:swizzle(BROADCAST,32,15)
	v_add_nc_u32_e32 v77, -1, v74
	v_and_b32_e32 v78, 16, v74
	s_delay_alu instid0(VALU_DEP_2) | instskip(NEXT) | instid1(VALU_DEP_1)
	v_cmp_gt_i32_e64 s17, 0, v77
	v_cndmask_b32_e64 v74, v77, v74, s17
	s_delay_alu instid0(VALU_DEP_1) | instskip(SKIP_2) | instid1(VALU_DEP_1)
	v_lshlrev_b32_e32 v74, 2, v74
	s_waitcnt lgkmcnt(1)
	v_add_co_u32 v53, s17, v53, v75
	v_add_co_ci_u32_e64 v54, s17, 0, v54, s17
	v_cmp_eq_u32_e64 s17, 0, v78
	s_delay_alu instid0(VALU_DEP_1) | instskip(SKIP_1) | instid1(VALU_DEP_3)
	v_cndmask_b32_e64 v51, v53, v51, s17
	s_waitcnt lgkmcnt(0)
	v_add_nc_u32_e32 v53, v76, v54
	ds_bpermute_b32 v51, v74, v51
	v_cndmask_b32_e64 v52, v53, v52, s17
	ds_bpermute_b32 v52, v74, v52
	s_waitcnt lgkmcnt(1)
	v_add_co_u32 v33, s17, v33, v51
	s_delay_alu instid0(VALU_DEP_1) | instskip(NEXT) | instid1(VALU_DEP_2)
	v_add_co_ci_u32_e64 v34, s17, 0, v34, s17
	v_add_co_u32 v33, s17, v33, 0
	s_waitcnt lgkmcnt(0)
	s_delay_alu instid0(VALU_DEP_2) | instskip(SKIP_1) | instid1(VALU_DEP_1)
	v_add_co_ci_u32_e64 v34, s17, v34, v52, s17
	v_cmp_eq_u32_e64 s17, 0, v0
	v_cndmask_b32_e64 v33, v33, v49, s17
	s_delay_alu instid0(VALU_DEP_3) | instskip(NEXT) | instid1(VALU_DEP_2)
	v_cndmask_b32_e64 v34, v34, v50, s17
	v_add_co_u32 v35, s17, v33, v35
	s_delay_alu instid0(VALU_DEP_1) | instskip(NEXT) | instid1(VALU_DEP_2)
	v_add_co_ci_u32_e64 v36, s17, v34, v36, s17
	v_add_co_u32 v37, s17, v35, v37
	s_delay_alu instid0(VALU_DEP_1) | instskip(NEXT) | instid1(VALU_DEP_2)
	v_add_co_ci_u32_e64 v38, s17, v36, v38, s17
	;; [unrolled: 3-line block ×6, first 2 shown]
	v_add_co_u32 v47, s17, v45, v47
	s_delay_alu instid0(VALU_DEP_1)
	v_add_co_ci_u32_e64 v48, s17, v46, v48, s17
	ds_store_2addr_b64 v73, v[33:34], v[35:36] offset1:1
	ds_store_2addr_b64 v73, v[37:38], v[39:40] offset0:2 offset1:3
	ds_store_2addr_b64 v73, v[41:42], v[43:44] offset0:4 offset1:5
	;; [unrolled: 1-line block ×3, first 2 shown]
.LBB32_42:
	s_or_b32 exec_lo, exec_lo, s18
	v_mov_b32_e32 v33, 0
	v_mov_b32_e32 v34, 0
	s_mov_b32 s18, exec_lo
	s_waitcnt lgkmcnt(0)
	s_barrier
	buffer_gl0_inv
	v_cmpx_ne_u32_e32 0, v0
	s_cbranch_execz .LBB32_44
; %bb.43:
	v_add_nc_u32_e32 v0, -1, v0
	s_delay_alu instid0(VALU_DEP_1) | instskip(NEXT) | instid1(VALU_DEP_1)
	v_lshrrev_b32_e32 v33, 5, v0
	v_add_lshl_u32 v0, v33, v0, 3
	ds_load_b64 v[33:34], v0
.LBB32_44:
	s_or_b32 exec_lo, exec_lo, s18
	s_waitcnt lgkmcnt(0)
	v_add_co_u32 v0, s17, v33, v1
	s_delay_alu instid0(VALU_DEP_1) | instskip(SKIP_1) | instid1(VALU_DEP_2)
	v_add_co_ci_u32_e64 v1, s17, v34, v2, s17
	s_load_b64 s[18:19], s[0:1], 0x18
	v_add_co_u32 v2, s17, v0, v3
	s_delay_alu instid0(VALU_DEP_1) | instskip(SKIP_1) | instid1(VALU_DEP_2)
	v_add_co_ci_u32_e64 v3, s17, v1, v4, s17
	s_waitcnt lgkmcnt(0)
	v_add_co_u32 v4, s17, v2, v5
	s_delay_alu instid0(VALU_DEP_1) | instskip(SKIP_1) | instid1(VALU_DEP_2)
	v_add_co_ci_u32_e64 v5, s17, v3, v6, s17
	s_barrier
	v_add_co_u32 v6, s17, v4, v7
	s_delay_alu instid0(VALU_DEP_1) | instskip(SKIP_2) | instid1(VALU_DEP_1)
	v_add_co_ci_u32_e64 v7, s17, v5, v8, s17
	buffer_gl0_inv
	v_add_co_u32 v8, s17, v6, v9
	v_add_co_ci_u32_e64 v9, s17, v7, v10, s17
	ds_store_2addr_b64 v72, v[0:1], v[2:3] offset1:1
	ds_store_2addr_b64 v72, v[4:5], v[6:7] offset0:2 offset1:3
	v_add_co_u32 v10, s17, v8, v11
	s_delay_alu instid0(VALU_DEP_1) | instskip(NEXT) | instid1(VALU_DEP_2)
	v_add_co_ci_u32_e64 v11, s17, v9, v12, s17
	v_add_co_u32 v21, s17, v10, v21
	s_delay_alu instid0(VALU_DEP_1) | instskip(NEXT) | instid1(VALU_DEP_2)
	v_add_co_ci_u32_e64 v22, s17, v11, v22, s17
	;; [unrolled: 3-line block ×10, first 2 shown]
	v_add_co_u32 v0, s0, v12, v15
	s_delay_alu instid0(VALU_DEP_1)
	v_add_co_ci_u32_e64 v1, s0, v13, v16, s0
	ds_store_2addr_b64 v72, v[8:9], v[10:11] offset0:4 offset1:5
	ds_store_2addr_b64 v72, v[21:22], v[23:24] offset0:6 offset1:7
	;; [unrolled: 1-line block ×6, first 2 shown]
	s_waitcnt lgkmcnt(0)
	s_barrier
	buffer_gl0_inv
	ds_load_b64 v[30:31], v57 offset:2048
	ds_load_b64 v[28:29], v58 offset:4096
	;; [unrolled: 1-line block ×15, first 2 shown]
	v_add_co_u32 v2, s0, s18, v55
	s_delay_alu instid0(VALU_DEP_1)
	v_add_co_ci_u32_e64 v3, null, s19, 0, s0
	s_and_saveexec_b32 s0, vcc_lo
	s_cbranch_execnz .LBB32_61
; %bb.45:
	s_or_b32 exec_lo, exec_lo, s0
	s_and_saveexec_b32 s0, s2
	s_cbranch_execnz .LBB32_62
.LBB32_46:
	s_or_b32 exec_lo, exec_lo, s0
	s_and_saveexec_b32 s0, s3
	s_cbranch_execnz .LBB32_63
.LBB32_47:
	s_or_b32 exec_lo, exec_lo, s0
	s_and_saveexec_b32 s0, s4
	s_cbranch_execnz .LBB32_64
.LBB32_48:
	s_or_b32 exec_lo, exec_lo, s0
	s_and_saveexec_b32 s0, s5
	s_cbranch_execnz .LBB32_65
.LBB32_49:
	s_or_b32 exec_lo, exec_lo, s0
	s_and_saveexec_b32 s0, s6
	s_cbranch_execnz .LBB32_66
.LBB32_50:
	s_or_b32 exec_lo, exec_lo, s0
	s_and_saveexec_b32 s0, s7
	s_cbranch_execnz .LBB32_67
.LBB32_51:
	s_or_b32 exec_lo, exec_lo, s0
	s_and_saveexec_b32 s0, s8
	s_cbranch_execnz .LBB32_68
.LBB32_52:
	s_or_b32 exec_lo, exec_lo, s0
	s_and_saveexec_b32 s0, s9
	s_cbranch_execnz .LBB32_69
.LBB32_53:
	s_or_b32 exec_lo, exec_lo, s0
	s_and_saveexec_b32 s0, s10
	s_cbranch_execnz .LBB32_70
.LBB32_54:
	s_or_b32 exec_lo, exec_lo, s0
	s_and_saveexec_b32 s0, s11
	s_cbranch_execnz .LBB32_71
.LBB32_55:
	s_or_b32 exec_lo, exec_lo, s0
	s_and_saveexec_b32 s0, s12
	s_cbranch_execnz .LBB32_72
.LBB32_56:
	s_or_b32 exec_lo, exec_lo, s0
	s_and_saveexec_b32 s0, s13
	s_cbranch_execnz .LBB32_73
.LBB32_57:
	s_or_b32 exec_lo, exec_lo, s0
	s_and_saveexec_b32 s0, s14
	s_cbranch_execnz .LBB32_74
.LBB32_58:
	s_or_b32 exec_lo, exec_lo, s0
	s_and_saveexec_b32 s0, s15
	s_cbranch_execnz .LBB32_75
.LBB32_59:
	s_or_b32 exec_lo, exec_lo, s0
	s_and_saveexec_b32 s0, s16
	s_cbranch_execnz .LBB32_76
.LBB32_60:
	s_nop 0
	s_sendmsg sendmsg(MSG_DEALLOC_VGPRS)
	s_endpgm
.LBB32_61:
	ds_load_b64 v[32:33], v56
	s_waitcnt lgkmcnt(0)
	global_store_b64 v[2:3], v[32:33], off
	s_or_b32 exec_lo, exec_lo, s0
	s_and_saveexec_b32 s0, s2
	s_cbranch_execz .LBB32_46
.LBB32_62:
	s_waitcnt lgkmcnt(14)
	global_store_b64 v[2:3], v[30:31], off offset:2048
	s_or_b32 exec_lo, exec_lo, s0
	s_and_saveexec_b32 s0, s3
	s_cbranch_execz .LBB32_47
.LBB32_63:
	s_waitcnt lgkmcnt(14)
	v_add_co_u32 v30, vcc_lo, 0x1000, v2
	v_add_co_ci_u32_e32 v31, vcc_lo, 0, v3, vcc_lo
	s_waitcnt lgkmcnt(13)
	global_store_b64 v[30:31], v[28:29], off
	s_or_b32 exec_lo, exec_lo, s0
	s_and_saveexec_b32 s0, s4
	s_cbranch_execz .LBB32_48
.LBB32_64:
	s_waitcnt lgkmcnt(13)
	v_add_co_u32 v28, vcc_lo, 0x1000, v2
	v_add_co_ci_u32_e32 v29, vcc_lo, 0, v3, vcc_lo
	s_waitcnt lgkmcnt(12)
	global_store_b64 v[28:29], v[26:27], off offset:2048
	s_or_b32 exec_lo, exec_lo, s0
	s_and_saveexec_b32 s0, s5
	s_cbranch_execz .LBB32_49
.LBB32_65:
	s_waitcnt lgkmcnt(12)
	v_add_co_u32 v26, vcc_lo, 0x2000, v2
	v_add_co_ci_u32_e32 v27, vcc_lo, 0, v3, vcc_lo
	s_waitcnt lgkmcnt(11)
	global_store_b64 v[26:27], v[24:25], off
	s_or_b32 exec_lo, exec_lo, s0
	s_and_saveexec_b32 s0, s6
	s_cbranch_execz .LBB32_50
.LBB32_66:
	s_waitcnt lgkmcnt(11)
	v_add_co_u32 v24, vcc_lo, 0x2000, v2
	v_add_co_ci_u32_e32 v25, vcc_lo, 0, v3, vcc_lo
	s_waitcnt lgkmcnt(10)
	global_store_b64 v[24:25], v[22:23], off offset:2048
	s_or_b32 exec_lo, exec_lo, s0
	s_and_saveexec_b32 s0, s7
	s_cbranch_execz .LBB32_51
.LBB32_67:
	s_waitcnt lgkmcnt(10)
	v_add_co_u32 v22, vcc_lo, 0x3000, v2
	v_add_co_ci_u32_e32 v23, vcc_lo, 0, v3, vcc_lo
	s_waitcnt lgkmcnt(9)
	global_store_b64 v[22:23], v[20:21], off
	s_or_b32 exec_lo, exec_lo, s0
	s_and_saveexec_b32 s0, s8
	s_cbranch_execz .LBB32_52
.LBB32_68:
	s_waitcnt lgkmcnt(9)
	v_add_co_u32 v20, vcc_lo, 0x3000, v2
	v_add_co_ci_u32_e32 v21, vcc_lo, 0, v3, vcc_lo
	s_waitcnt lgkmcnt(8)
	global_store_b64 v[20:21], v[18:19], off offset:2048
	s_or_b32 exec_lo, exec_lo, s0
	s_and_saveexec_b32 s0, s9
	s_cbranch_execz .LBB32_53
.LBB32_69:
	s_waitcnt lgkmcnt(8)
	v_add_co_u32 v18, vcc_lo, 0x4000, v2
	v_add_co_ci_u32_e32 v19, vcc_lo, 0, v3, vcc_lo
	s_waitcnt lgkmcnt(7)
	global_store_b64 v[18:19], v[16:17], off
	s_or_b32 exec_lo, exec_lo, s0
	s_and_saveexec_b32 s0, s10
	s_cbranch_execz .LBB32_54
.LBB32_70:
	s_waitcnt lgkmcnt(7)
	v_add_co_u32 v16, vcc_lo, 0x4000, v2
	v_add_co_ci_u32_e32 v17, vcc_lo, 0, v3, vcc_lo
	s_waitcnt lgkmcnt(6)
	global_store_b64 v[16:17], v[14:15], off offset:2048
	s_or_b32 exec_lo, exec_lo, s0
	s_and_saveexec_b32 s0, s11
	s_cbranch_execz .LBB32_55
.LBB32_71:
	s_waitcnt lgkmcnt(6)
	v_add_co_u32 v14, vcc_lo, 0x5000, v2
	v_add_co_ci_u32_e32 v15, vcc_lo, 0, v3, vcc_lo
	s_waitcnt lgkmcnt(5)
	global_store_b64 v[14:15], v[12:13], off
	s_or_b32 exec_lo, exec_lo, s0
	s_and_saveexec_b32 s0, s12
	s_cbranch_execz .LBB32_56
.LBB32_72:
	s_waitcnt lgkmcnt(5)
	v_add_co_u32 v12, vcc_lo, 0x5000, v2
	v_add_co_ci_u32_e32 v13, vcc_lo, 0, v3, vcc_lo
	s_waitcnt lgkmcnt(4)
	global_store_b64 v[12:13], v[10:11], off offset:2048
	s_or_b32 exec_lo, exec_lo, s0
	s_and_saveexec_b32 s0, s13
	s_cbranch_execz .LBB32_57
.LBB32_73:
	s_waitcnt lgkmcnt(4)
	v_add_co_u32 v10, vcc_lo, 0x6000, v2
	v_add_co_ci_u32_e32 v11, vcc_lo, 0, v3, vcc_lo
	s_waitcnt lgkmcnt(3)
	global_store_b64 v[10:11], v[8:9], off
	s_or_b32 exec_lo, exec_lo, s0
	s_and_saveexec_b32 s0, s14
	s_cbranch_execz .LBB32_58
.LBB32_74:
	s_waitcnt lgkmcnt(3)
	v_add_co_u32 v8, vcc_lo, 0x6000, v2
	v_add_co_ci_u32_e32 v9, vcc_lo, 0, v3, vcc_lo
	s_waitcnt lgkmcnt(2)
	global_store_b64 v[8:9], v[6:7], off offset:2048
	s_or_b32 exec_lo, exec_lo, s0
	s_and_saveexec_b32 s0, s15
	s_cbranch_execz .LBB32_59
.LBB32_75:
	s_waitcnt lgkmcnt(2)
	v_add_co_u32 v6, vcc_lo, 0x7000, v2
	v_add_co_ci_u32_e32 v7, vcc_lo, 0, v3, vcc_lo
	s_waitcnt lgkmcnt(1)
	global_store_b64 v[6:7], v[4:5], off
	s_or_b32 exec_lo, exec_lo, s0
	s_and_saveexec_b32 s0, s16
	s_cbranch_execz .LBB32_60
.LBB32_76:
	v_add_co_u32 v2, vcc_lo, 0x7000, v2
	v_add_co_ci_u32_e32 v3, vcc_lo, 0, v3, vcc_lo
	s_waitcnt lgkmcnt(0)
	global_store_b64 v[2:3], v[0:1], off offset:2048
	s_nop 0
	s_sendmsg sendmsg(MSG_DEALLOC_VGPRS)
	s_endpgm
	.section	.rodata,"a",@progbits
	.p2align	6, 0x0
	.amdhsa_kernel _ZN7rocprim6detail18single_scan_kernelILb0ENS0_19wrapped_scan_configINS_14default_configEmEEPmS5_N6hipcub3SumEmmEEvT1_mT4_T2_T3_
		.amdhsa_group_segment_fixed_size 33792
		.amdhsa_private_segment_fixed_size 0
		.amdhsa_kernarg_size 36
		.amdhsa_user_sgpr_count 15
		.amdhsa_user_sgpr_dispatch_ptr 0
		.amdhsa_user_sgpr_queue_ptr 0
		.amdhsa_user_sgpr_kernarg_segment_ptr 1
		.amdhsa_user_sgpr_dispatch_id 0
		.amdhsa_user_sgpr_private_segment_size 0
		.amdhsa_wavefront_size32 1
		.amdhsa_uses_dynamic_stack 0
		.amdhsa_enable_private_segment 0
		.amdhsa_system_sgpr_workgroup_id_x 1
		.amdhsa_system_sgpr_workgroup_id_y 0
		.amdhsa_system_sgpr_workgroup_id_z 0
		.amdhsa_system_sgpr_workgroup_info 0
		.amdhsa_system_vgpr_workitem_id 0
		.amdhsa_next_free_vgpr 79
		.amdhsa_next_free_sgpr 68
		.amdhsa_reserve_vcc 1
		.amdhsa_float_round_mode_32 0
		.amdhsa_float_round_mode_16_64 0
		.amdhsa_float_denorm_mode_32 3
		.amdhsa_float_denorm_mode_16_64 3
		.amdhsa_dx10_clamp 1
		.amdhsa_ieee_mode 1
		.amdhsa_fp16_overflow 0
		.amdhsa_workgroup_processor_mode 1
		.amdhsa_memory_ordered 1
		.amdhsa_forward_progress 0
		.amdhsa_shared_vgpr_count 0
		.amdhsa_exception_fp_ieee_invalid_op 0
		.amdhsa_exception_fp_denorm_src 0
		.amdhsa_exception_fp_ieee_div_zero 0
		.amdhsa_exception_fp_ieee_overflow 0
		.amdhsa_exception_fp_ieee_underflow 0
		.amdhsa_exception_fp_ieee_inexact 0
		.amdhsa_exception_int_div_zero 0
	.end_amdhsa_kernel
	.section	.text._ZN7rocprim6detail18single_scan_kernelILb0ENS0_19wrapped_scan_configINS_14default_configEmEEPmS5_N6hipcub3SumEmmEEvT1_mT4_T2_T3_,"axG",@progbits,_ZN7rocprim6detail18single_scan_kernelILb0ENS0_19wrapped_scan_configINS_14default_configEmEEPmS5_N6hipcub3SumEmmEEvT1_mT4_T2_T3_,comdat
.Lfunc_end32:
	.size	_ZN7rocprim6detail18single_scan_kernelILb0ENS0_19wrapped_scan_configINS_14default_configEmEEPmS5_N6hipcub3SumEmmEEvT1_mT4_T2_T3_, .Lfunc_end32-_ZN7rocprim6detail18single_scan_kernelILb0ENS0_19wrapped_scan_configINS_14default_configEmEEPmS5_N6hipcub3SumEmmEEvT1_mT4_T2_T3_
                                        ; -- End function
	.section	.AMDGPU.csdata,"",@progbits
; Kernel info:
; codeLenInByte = 4672
; NumSgprs: 70
; NumVgprs: 79
; ScratchSize: 0
; MemoryBound: 1
; FloatMode: 240
; IeeeMode: 1
; LDSByteSize: 33792 bytes/workgroup (compile time only)
; SGPRBlocks: 8
; VGPRBlocks: 9
; NumSGPRsForWavesPerEU: 70
; NumVGPRsForWavesPerEU: 79
; Occupancy: 6
; WaveLimiterHint : 0
; COMPUTE_PGM_RSRC2:SCRATCH_EN: 0
; COMPUTE_PGM_RSRC2:USER_SGPR: 15
; COMPUTE_PGM_RSRC2:TRAP_HANDLER: 0
; COMPUTE_PGM_RSRC2:TGID_X_EN: 1
; COMPUTE_PGM_RSRC2:TGID_Y_EN: 0
; COMPUTE_PGM_RSRC2:TGID_Z_EN: 0
; COMPUTE_PGM_RSRC2:TIDIG_COMP_CNT: 0
	.section	.text._ZN7rocprim6detail31init_lookback_scan_state_kernelINS0_19lookback_scan_stateIyLb1ELb1EEEEEvT_jjPNS4_10value_typeE,"axG",@progbits,_ZN7rocprim6detail31init_lookback_scan_state_kernelINS0_19lookback_scan_stateIyLb1ELb1EEEEEvT_jjPNS4_10value_typeE,comdat
	.protected	_ZN7rocprim6detail31init_lookback_scan_state_kernelINS0_19lookback_scan_stateIyLb1ELb1EEEEEvT_jjPNS4_10value_typeE ; -- Begin function _ZN7rocprim6detail31init_lookback_scan_state_kernelINS0_19lookback_scan_stateIyLb1ELb1EEEEEvT_jjPNS4_10value_typeE
	.globl	_ZN7rocprim6detail31init_lookback_scan_state_kernelINS0_19lookback_scan_stateIyLb1ELb1EEEEEvT_jjPNS4_10value_typeE
	.p2align	8
	.type	_ZN7rocprim6detail31init_lookback_scan_state_kernelINS0_19lookback_scan_stateIyLb1ELb1EEEEEvT_jjPNS4_10value_typeE,@function
_ZN7rocprim6detail31init_lookback_scan_state_kernelINS0_19lookback_scan_stateIyLb1ELb1EEEEEvT_jjPNS4_10value_typeE: ; @_ZN7rocprim6detail31init_lookback_scan_state_kernelINS0_19lookback_scan_stateIyLb1ELb1EEEEEvT_jjPNS4_10value_typeE
; %bb.0:
	s_clause 0x2
	s_load_b32 s6, s[0:1], 0x24
	s_load_b64 s[4:5], s[0:1], 0x10
	s_load_b128 s[0:3], s[0:1], 0x0
	s_waitcnt lgkmcnt(0)
	s_and_b32 s6, s6, 0xffff
	s_cmp_eq_u64 s[4:5], 0
	v_mad_u64_u32 v[1:2], null, s15, s6, v[0:1]
	s_cbranch_scc1 .LBB33_10
; %bb.1:
	s_cmp_lt_u32 s3, s2
	s_mov_b32 s7, 0
	s_cselect_b32 s6, s3, 0
	s_mov_b32 s8, exec_lo
	s_delay_alu instid0(VALU_DEP_1)
	v_cmpx_eq_u32_e64 s6, v1
	s_cbranch_execz .LBB33_9
; %bb.2:
	s_add_i32 s6, s3, 32
	s_mov_b32 s3, exec_lo
	s_lshl_b64 s[6:7], s[6:7], 4
	v_mov_b32_e32 v6, 0
	s_add_u32 s6, s0, s6
	s_addc_u32 s7, s1, s7
	s_delay_alu instid0(SALU_CYCLE_1) | instskip(SKIP_2) | instid1(VALU_DEP_1)
	v_dual_mov_b32 v2, s6 :: v_dual_mov_b32 v3, s7
	;;#ASMSTART
	global_load_dwordx4 v[2:5], v[2:3] off glc	
s_waitcnt vmcnt(0)
	;;#ASMEND
	v_and_b32_e32 v5, 0xff, v4
	v_cmpx_eq_u64_e32 0, v[5:6]
	s_cbranch_execz .LBB33_8
; %bb.3:
	v_dual_mov_b32 v8, s7 :: v_dual_mov_b32 v7, s6
	s_mov_b32 s7, 1
	s_mov_b32 s6, 0
	.p2align	6
.LBB33_4:                               ; =>This Loop Header: Depth=1
                                        ;     Child Loop BB33_5 Depth 2
	s_max_u32 s9, s7, 1
.LBB33_5:                               ;   Parent Loop BB33_4 Depth=1
                                        ; =>  This Inner Loop Header: Depth=2
	s_delay_alu instid0(SALU_CYCLE_1)
	s_add_i32 s9, s9, -1
	s_sleep 1
	s_cmp_eq_u32 s9, 0
	s_cbranch_scc0 .LBB33_5
; %bb.6:                                ;   in Loop: Header=BB33_4 Depth=1
	;;#ASMSTART
	global_load_dwordx4 v[2:5], v[7:8] off glc	
s_waitcnt vmcnt(0)
	;;#ASMEND
	v_and_b32_e32 v5, 0xff, v4
	s_cmp_lt_u32 s7, 32
	s_cselect_b32 s9, -1, 0
	s_delay_alu instid0(SALU_CYCLE_1) | instskip(NEXT) | instid1(VALU_DEP_1)
	s_cmp_lg_u32 s9, 0
	v_cmp_ne_u64_e32 vcc_lo, 0, v[5:6]
	s_addc_u32 s7, s7, 0
	s_or_b32 s6, vcc_lo, s6
	s_delay_alu instid0(SALU_CYCLE_1)
	s_and_not1_b32 exec_lo, exec_lo, s6
	s_cbranch_execnz .LBB33_4
; %bb.7:
	s_or_b32 exec_lo, exec_lo, s6
.LBB33_8:
	s_delay_alu instid0(SALU_CYCLE_1)
	s_or_b32 exec_lo, exec_lo, s3
	v_mov_b32_e32 v0, 0
	global_store_b64 v0, v[2:3], s[4:5]
.LBB33_9:
	s_or_b32 exec_lo, exec_lo, s8
.LBB33_10:
	s_delay_alu instid0(VALU_DEP_1)
	v_cmp_gt_u32_e32 vcc_lo, s2, v1
	s_and_saveexec_b32 s2, vcc_lo
	s_cbranch_execz .LBB33_12
; %bb.11:
	v_dual_mov_b32 v3, 0 :: v_dual_add_nc_u32 v2, 32, v1
	s_delay_alu instid0(VALU_DEP_1) | instskip(SKIP_2) | instid1(VALU_DEP_3)
	v_lshlrev_b64 v[5:6], 4, v[2:3]
	v_mov_b32_e32 v2, v3
	v_mov_b32_e32 v4, v3
	v_add_co_u32 v7, vcc_lo, s0, v5
	s_delay_alu instid0(VALU_DEP_4)
	v_add_co_ci_u32_e32 v8, vcc_lo, s1, v6, vcc_lo
	v_mov_b32_e32 v5, v3
	global_store_b128 v[7:8], v[2:5], off
.LBB33_12:
	s_or_b32 exec_lo, exec_lo, s2
	s_delay_alu instid0(SALU_CYCLE_1)
	s_mov_b32 s2, exec_lo
	v_cmpx_gt_u32_e32 32, v1
	s_cbranch_execz .LBB33_14
; %bb.13:
	v_dual_mov_b32 v2, 0 :: v_dual_mov_b32 v3, 0xff
	s_delay_alu instid0(VALU_DEP_1) | instskip(SKIP_1) | instid1(VALU_DEP_2)
	v_lshlrev_b64 v[4:5], 4, v[1:2]
	v_mov_b32_e32 v1, v2
	v_add_co_u32 v6, vcc_lo, s0, v4
	s_delay_alu instid0(VALU_DEP_3)
	v_add_co_ci_u32_e32 v7, vcc_lo, s1, v5, vcc_lo
	v_mov_b32_e32 v4, v2
	global_store_b128 v[6:7], v[1:4], off
.LBB33_14:
	s_nop 0
	s_sendmsg sendmsg(MSG_DEALLOC_VGPRS)
	s_endpgm
	.section	.rodata,"a",@progbits
	.p2align	6, 0x0
	.amdhsa_kernel _ZN7rocprim6detail31init_lookback_scan_state_kernelINS0_19lookback_scan_stateIyLb1ELb1EEEEEvT_jjPNS4_10value_typeE
		.amdhsa_group_segment_fixed_size 0
		.amdhsa_private_segment_fixed_size 0
		.amdhsa_kernarg_size 280
		.amdhsa_user_sgpr_count 15
		.amdhsa_user_sgpr_dispatch_ptr 0
		.amdhsa_user_sgpr_queue_ptr 0
		.amdhsa_user_sgpr_kernarg_segment_ptr 1
		.amdhsa_user_sgpr_dispatch_id 0
		.amdhsa_user_sgpr_private_segment_size 0
		.amdhsa_wavefront_size32 1
		.amdhsa_uses_dynamic_stack 0
		.amdhsa_enable_private_segment 0
		.amdhsa_system_sgpr_workgroup_id_x 1
		.amdhsa_system_sgpr_workgroup_id_y 0
		.amdhsa_system_sgpr_workgroup_id_z 0
		.amdhsa_system_sgpr_workgroup_info 0
		.amdhsa_system_vgpr_workitem_id 0
		.amdhsa_next_free_vgpr 9
		.amdhsa_next_free_sgpr 16
		.amdhsa_reserve_vcc 1
		.amdhsa_float_round_mode_32 0
		.amdhsa_float_round_mode_16_64 0
		.amdhsa_float_denorm_mode_32 3
		.amdhsa_float_denorm_mode_16_64 3
		.amdhsa_dx10_clamp 1
		.amdhsa_ieee_mode 1
		.amdhsa_fp16_overflow 0
		.amdhsa_workgroup_processor_mode 1
		.amdhsa_memory_ordered 1
		.amdhsa_forward_progress 0
		.amdhsa_shared_vgpr_count 0
		.amdhsa_exception_fp_ieee_invalid_op 0
		.amdhsa_exception_fp_denorm_src 0
		.amdhsa_exception_fp_ieee_div_zero 0
		.amdhsa_exception_fp_ieee_overflow 0
		.amdhsa_exception_fp_ieee_underflow 0
		.amdhsa_exception_fp_ieee_inexact 0
		.amdhsa_exception_int_div_zero 0
	.end_amdhsa_kernel
	.section	.text._ZN7rocprim6detail31init_lookback_scan_state_kernelINS0_19lookback_scan_stateIyLb1ELb1EEEEEvT_jjPNS4_10value_typeE,"axG",@progbits,_ZN7rocprim6detail31init_lookback_scan_state_kernelINS0_19lookback_scan_stateIyLb1ELb1EEEEEvT_jjPNS4_10value_typeE,comdat
.Lfunc_end33:
	.size	_ZN7rocprim6detail31init_lookback_scan_state_kernelINS0_19lookback_scan_stateIyLb1ELb1EEEEEvT_jjPNS4_10value_typeE, .Lfunc_end33-_ZN7rocprim6detail31init_lookback_scan_state_kernelINS0_19lookback_scan_stateIyLb1ELb1EEEEEvT_jjPNS4_10value_typeE
                                        ; -- End function
	.section	.AMDGPU.csdata,"",@progbits
; Kernel info:
; codeLenInByte = 496
; NumSgprs: 18
; NumVgprs: 9
; ScratchSize: 0
; MemoryBound: 0
; FloatMode: 240
; IeeeMode: 1
; LDSByteSize: 0 bytes/workgroup (compile time only)
; SGPRBlocks: 2
; VGPRBlocks: 1
; NumSGPRsForWavesPerEU: 18
; NumVGPRsForWavesPerEU: 9
; Occupancy: 16
; WaveLimiterHint : 0
; COMPUTE_PGM_RSRC2:SCRATCH_EN: 0
; COMPUTE_PGM_RSRC2:USER_SGPR: 15
; COMPUTE_PGM_RSRC2:TRAP_HANDLER: 0
; COMPUTE_PGM_RSRC2:TGID_X_EN: 1
; COMPUTE_PGM_RSRC2:TGID_Y_EN: 0
; COMPUTE_PGM_RSRC2:TGID_Z_EN: 0
; COMPUTE_PGM_RSRC2:TIDIG_COMP_CNT: 0
	.section	.text._ZN7rocprim6detail31init_lookback_scan_state_kernelINS0_19lookback_scan_stateIyLb0ELb1EEEEEvT_jjPNS4_10value_typeE,"axG",@progbits,_ZN7rocprim6detail31init_lookback_scan_state_kernelINS0_19lookback_scan_stateIyLb0ELb1EEEEEvT_jjPNS4_10value_typeE,comdat
	.protected	_ZN7rocprim6detail31init_lookback_scan_state_kernelINS0_19lookback_scan_stateIyLb0ELb1EEEEEvT_jjPNS4_10value_typeE ; -- Begin function _ZN7rocprim6detail31init_lookback_scan_state_kernelINS0_19lookback_scan_stateIyLb0ELb1EEEEEvT_jjPNS4_10value_typeE
	.globl	_ZN7rocprim6detail31init_lookback_scan_state_kernelINS0_19lookback_scan_stateIyLb0ELb1EEEEEvT_jjPNS4_10value_typeE
	.p2align	8
	.type	_ZN7rocprim6detail31init_lookback_scan_state_kernelINS0_19lookback_scan_stateIyLb0ELb1EEEEEvT_jjPNS4_10value_typeE,@function
_ZN7rocprim6detail31init_lookback_scan_state_kernelINS0_19lookback_scan_stateIyLb0ELb1EEEEEvT_jjPNS4_10value_typeE: ; @_ZN7rocprim6detail31init_lookback_scan_state_kernelINS0_19lookback_scan_stateIyLb0ELb1EEEEEvT_jjPNS4_10value_typeE
; %bb.0:
	s_clause 0x2
	s_load_b32 s6, s[0:1], 0x24
	s_load_b64 s[4:5], s[0:1], 0x10
	s_load_b128 s[0:3], s[0:1], 0x0
	s_waitcnt lgkmcnt(0)
	s_and_b32 s6, s6, 0xffff
	s_cmp_eq_u64 s[4:5], 0
	v_mad_u64_u32 v[1:2], null, s15, s6, v[0:1]
	s_cbranch_scc1 .LBB34_8
; %bb.1:
	s_cmp_lt_u32 s3, s2
	s_mov_b32 s7, 0
	s_cselect_b32 s6, s3, 0
	s_mov_b32 s8, exec_lo
	s_delay_alu instid0(VALU_DEP_1)
	v_cmpx_eq_u32_e64 s6, v1
	s_cbranch_execz .LBB34_7
; %bb.2:
	s_add_i32 s6, s3, 32
	s_mov_b32 s3, exec_lo
	s_lshl_b64 s[6:7], s[6:7], 4
	v_mov_b32_e32 v6, 0
	s_add_u32 s6, s0, s6
	s_addc_u32 s7, s1, s7
	s_delay_alu instid0(SALU_CYCLE_1) | instskip(SKIP_2) | instid1(VALU_DEP_1)
	v_dual_mov_b32 v2, s6 :: v_dual_mov_b32 v3, s7
	;;#ASMSTART
	global_load_dwordx4 v[2:5], v[2:3] off glc	
s_waitcnt vmcnt(0)
	;;#ASMEND
	v_and_b32_e32 v5, 0xff, v4
	v_cmpx_eq_u64_e32 0, v[5:6]
	s_cbranch_execz .LBB34_6
; %bb.3:
	v_dual_mov_b32 v8, s7 :: v_dual_mov_b32 v7, s6
	s_mov_b32 s6, 0
.LBB34_4:                               ; =>This Inner Loop Header: Depth=1
	;;#ASMSTART
	global_load_dwordx4 v[2:5], v[7:8] off glc	
s_waitcnt vmcnt(0)
	;;#ASMEND
	v_and_b32_e32 v5, 0xff, v4
	s_delay_alu instid0(VALU_DEP_1) | instskip(SKIP_1) | instid1(SALU_CYCLE_1)
	v_cmp_ne_u64_e32 vcc_lo, 0, v[5:6]
	s_or_b32 s6, vcc_lo, s6
	s_and_not1_b32 exec_lo, exec_lo, s6
	s_cbranch_execnz .LBB34_4
; %bb.5:
	s_or_b32 exec_lo, exec_lo, s6
.LBB34_6:
	s_delay_alu instid0(SALU_CYCLE_1)
	s_or_b32 exec_lo, exec_lo, s3
	v_mov_b32_e32 v0, 0
	global_store_b64 v0, v[2:3], s[4:5]
.LBB34_7:
	s_or_b32 exec_lo, exec_lo, s8
.LBB34_8:
	s_delay_alu instid0(VALU_DEP_1)
	v_cmp_gt_u32_e32 vcc_lo, s2, v1
	s_and_saveexec_b32 s2, vcc_lo
	s_cbranch_execz .LBB34_10
; %bb.9:
	v_dual_mov_b32 v3, 0 :: v_dual_add_nc_u32 v2, 32, v1
	s_delay_alu instid0(VALU_DEP_1) | instskip(SKIP_2) | instid1(VALU_DEP_3)
	v_lshlrev_b64 v[5:6], 4, v[2:3]
	v_mov_b32_e32 v2, v3
	v_mov_b32_e32 v4, v3
	v_add_co_u32 v7, vcc_lo, s0, v5
	s_delay_alu instid0(VALU_DEP_4)
	v_add_co_ci_u32_e32 v8, vcc_lo, s1, v6, vcc_lo
	v_mov_b32_e32 v5, v3
	global_store_b128 v[7:8], v[2:5], off
.LBB34_10:
	s_or_b32 exec_lo, exec_lo, s2
	s_delay_alu instid0(SALU_CYCLE_1)
	s_mov_b32 s2, exec_lo
	v_cmpx_gt_u32_e32 32, v1
	s_cbranch_execz .LBB34_12
; %bb.11:
	v_dual_mov_b32 v2, 0 :: v_dual_mov_b32 v3, 0xff
	s_delay_alu instid0(VALU_DEP_1) | instskip(SKIP_1) | instid1(VALU_DEP_2)
	v_lshlrev_b64 v[4:5], 4, v[1:2]
	v_mov_b32_e32 v1, v2
	v_add_co_u32 v6, vcc_lo, s0, v4
	s_delay_alu instid0(VALU_DEP_3)
	v_add_co_ci_u32_e32 v7, vcc_lo, s1, v5, vcc_lo
	v_mov_b32_e32 v4, v2
	global_store_b128 v[6:7], v[1:4], off
.LBB34_12:
	s_nop 0
	s_sendmsg sendmsg(MSG_DEALLOC_VGPRS)
	s_endpgm
	.section	.rodata,"a",@progbits
	.p2align	6, 0x0
	.amdhsa_kernel _ZN7rocprim6detail31init_lookback_scan_state_kernelINS0_19lookback_scan_stateIyLb0ELb1EEEEEvT_jjPNS4_10value_typeE
		.amdhsa_group_segment_fixed_size 0
		.amdhsa_private_segment_fixed_size 0
		.amdhsa_kernarg_size 280
		.amdhsa_user_sgpr_count 15
		.amdhsa_user_sgpr_dispatch_ptr 0
		.amdhsa_user_sgpr_queue_ptr 0
		.amdhsa_user_sgpr_kernarg_segment_ptr 1
		.amdhsa_user_sgpr_dispatch_id 0
		.amdhsa_user_sgpr_private_segment_size 0
		.amdhsa_wavefront_size32 1
		.amdhsa_uses_dynamic_stack 0
		.amdhsa_enable_private_segment 0
		.amdhsa_system_sgpr_workgroup_id_x 1
		.amdhsa_system_sgpr_workgroup_id_y 0
		.amdhsa_system_sgpr_workgroup_id_z 0
		.amdhsa_system_sgpr_workgroup_info 0
		.amdhsa_system_vgpr_workitem_id 0
		.amdhsa_next_free_vgpr 9
		.amdhsa_next_free_sgpr 16
		.amdhsa_reserve_vcc 1
		.amdhsa_float_round_mode_32 0
		.amdhsa_float_round_mode_16_64 0
		.amdhsa_float_denorm_mode_32 3
		.amdhsa_float_denorm_mode_16_64 3
		.amdhsa_dx10_clamp 1
		.amdhsa_ieee_mode 1
		.amdhsa_fp16_overflow 0
		.amdhsa_workgroup_processor_mode 1
		.amdhsa_memory_ordered 1
		.amdhsa_forward_progress 0
		.amdhsa_shared_vgpr_count 0
		.amdhsa_exception_fp_ieee_invalid_op 0
		.amdhsa_exception_fp_denorm_src 0
		.amdhsa_exception_fp_ieee_div_zero 0
		.amdhsa_exception_fp_ieee_overflow 0
		.amdhsa_exception_fp_ieee_underflow 0
		.amdhsa_exception_fp_ieee_inexact 0
		.amdhsa_exception_int_div_zero 0
	.end_amdhsa_kernel
	.section	.text._ZN7rocprim6detail31init_lookback_scan_state_kernelINS0_19lookback_scan_stateIyLb0ELb1EEEEEvT_jjPNS4_10value_typeE,"axG",@progbits,_ZN7rocprim6detail31init_lookback_scan_state_kernelINS0_19lookback_scan_stateIyLb0ELb1EEEEEvT_jjPNS4_10value_typeE,comdat
.Lfunc_end34:
	.size	_ZN7rocprim6detail31init_lookback_scan_state_kernelINS0_19lookback_scan_stateIyLb0ELb1EEEEEvT_jjPNS4_10value_typeE, .Lfunc_end34-_ZN7rocprim6detail31init_lookback_scan_state_kernelINS0_19lookback_scan_stateIyLb0ELb1EEEEEvT_jjPNS4_10value_typeE
                                        ; -- End function
	.section	.AMDGPU.csdata,"",@progbits
; Kernel info:
; codeLenInByte = 448
; NumSgprs: 18
; NumVgprs: 9
; ScratchSize: 0
; MemoryBound: 0
; FloatMode: 240
; IeeeMode: 1
; LDSByteSize: 0 bytes/workgroup (compile time only)
; SGPRBlocks: 2
; VGPRBlocks: 1
; NumSGPRsForWavesPerEU: 18
; NumVGPRsForWavesPerEU: 9
; Occupancy: 16
; WaveLimiterHint : 0
; COMPUTE_PGM_RSRC2:SCRATCH_EN: 0
; COMPUTE_PGM_RSRC2:USER_SGPR: 15
; COMPUTE_PGM_RSRC2:TRAP_HANDLER: 0
; COMPUTE_PGM_RSRC2:TGID_X_EN: 1
; COMPUTE_PGM_RSRC2:TGID_Y_EN: 0
; COMPUTE_PGM_RSRC2:TGID_Z_EN: 0
; COMPUTE_PGM_RSRC2:TIDIG_COMP_CNT: 0
	.section	.text._ZN7rocprim6detail20lookback_scan_kernelILNS0_25lookback_scan_determinismE0ELb0ENS0_19wrapped_scan_configINS_14default_configEyEEPyS6_N6hipcub3MinEyyNS0_19lookback_scan_stateIyLb1ELb1EEEEEvT2_T3_mT5_T4_T7_jPT6_SH_bb,"axG",@progbits,_ZN7rocprim6detail20lookback_scan_kernelILNS0_25lookback_scan_determinismE0ELb0ENS0_19wrapped_scan_configINS_14default_configEyEEPyS6_N6hipcub3MinEyyNS0_19lookback_scan_stateIyLb1ELb1EEEEEvT2_T3_mT5_T4_T7_jPT6_SH_bb,comdat
	.protected	_ZN7rocprim6detail20lookback_scan_kernelILNS0_25lookback_scan_determinismE0ELb0ENS0_19wrapped_scan_configINS_14default_configEyEEPyS6_N6hipcub3MinEyyNS0_19lookback_scan_stateIyLb1ELb1EEEEEvT2_T3_mT5_T4_T7_jPT6_SH_bb ; -- Begin function _ZN7rocprim6detail20lookback_scan_kernelILNS0_25lookback_scan_determinismE0ELb0ENS0_19wrapped_scan_configINS_14default_configEyEEPyS6_N6hipcub3MinEyyNS0_19lookback_scan_stateIyLb1ELb1EEEEEvT2_T3_mT5_T4_T7_jPT6_SH_bb
	.globl	_ZN7rocprim6detail20lookback_scan_kernelILNS0_25lookback_scan_determinismE0ELb0ENS0_19wrapped_scan_configINS_14default_configEyEEPyS6_N6hipcub3MinEyyNS0_19lookback_scan_stateIyLb1ELb1EEEEEvT2_T3_mT5_T4_T7_jPT6_SH_bb
	.p2align	8
	.type	_ZN7rocprim6detail20lookback_scan_kernelILNS0_25lookback_scan_determinismE0ELb0ENS0_19wrapped_scan_configINS_14default_configEyEEPyS6_N6hipcub3MinEyyNS0_19lookback_scan_stateIyLb1ELb1EEEEEvT2_T3_mT5_T4_T7_jPT6_SH_bb,@function
_ZN7rocprim6detail20lookback_scan_kernelILNS0_25lookback_scan_determinismE0ELb0ENS0_19wrapped_scan_configINS_14default_configEyEEPyS6_N6hipcub3MinEyyNS0_19lookback_scan_stateIyLb1ELb1EEEEEvT2_T3_mT5_T4_T7_jPT6_SH_bb: ; @_ZN7rocprim6detail20lookback_scan_kernelILNS0_25lookback_scan_determinismE0ELb0ENS0_19wrapped_scan_configINS_14default_configEyEEPyS6_N6hipcub3MinEyyNS0_19lookback_scan_stateIyLb1ELb1EEEEEvT2_T3_mT5_T4_T7_jPT6_SH_bb
; %bb.0:
	s_endpgm
	.section	.rodata,"a",@progbits
	.p2align	6, 0x0
	.amdhsa_kernel _ZN7rocprim6detail20lookback_scan_kernelILNS0_25lookback_scan_determinismE0ELb0ENS0_19wrapped_scan_configINS_14default_configEyEEPyS6_N6hipcub3MinEyyNS0_19lookback_scan_stateIyLb1ELb1EEEEEvT2_T3_mT5_T4_T7_jPT6_SH_bb
		.amdhsa_group_segment_fixed_size 0
		.amdhsa_private_segment_fixed_size 0
		.amdhsa_kernarg_size 76
		.amdhsa_user_sgpr_count 15
		.amdhsa_user_sgpr_dispatch_ptr 0
		.amdhsa_user_sgpr_queue_ptr 0
		.amdhsa_user_sgpr_kernarg_segment_ptr 1
		.amdhsa_user_sgpr_dispatch_id 0
		.amdhsa_user_sgpr_private_segment_size 0
		.amdhsa_wavefront_size32 1
		.amdhsa_uses_dynamic_stack 0
		.amdhsa_enable_private_segment 0
		.amdhsa_system_sgpr_workgroup_id_x 1
		.amdhsa_system_sgpr_workgroup_id_y 0
		.amdhsa_system_sgpr_workgroup_id_z 0
		.amdhsa_system_sgpr_workgroup_info 0
		.amdhsa_system_vgpr_workitem_id 0
		.amdhsa_next_free_vgpr 1
		.amdhsa_next_free_sgpr 1
		.amdhsa_reserve_vcc 0
		.amdhsa_float_round_mode_32 0
		.amdhsa_float_round_mode_16_64 0
		.amdhsa_float_denorm_mode_32 3
		.amdhsa_float_denorm_mode_16_64 3
		.amdhsa_dx10_clamp 1
		.amdhsa_ieee_mode 1
		.amdhsa_fp16_overflow 0
		.amdhsa_workgroup_processor_mode 1
		.amdhsa_memory_ordered 1
		.amdhsa_forward_progress 0
		.amdhsa_shared_vgpr_count 0
		.amdhsa_exception_fp_ieee_invalid_op 0
		.amdhsa_exception_fp_denorm_src 0
		.amdhsa_exception_fp_ieee_div_zero 0
		.amdhsa_exception_fp_ieee_overflow 0
		.amdhsa_exception_fp_ieee_underflow 0
		.amdhsa_exception_fp_ieee_inexact 0
		.amdhsa_exception_int_div_zero 0
	.end_amdhsa_kernel
	.section	.text._ZN7rocprim6detail20lookback_scan_kernelILNS0_25lookback_scan_determinismE0ELb0ENS0_19wrapped_scan_configINS_14default_configEyEEPyS6_N6hipcub3MinEyyNS0_19lookback_scan_stateIyLb1ELb1EEEEEvT2_T3_mT5_T4_T7_jPT6_SH_bb,"axG",@progbits,_ZN7rocprim6detail20lookback_scan_kernelILNS0_25lookback_scan_determinismE0ELb0ENS0_19wrapped_scan_configINS_14default_configEyEEPyS6_N6hipcub3MinEyyNS0_19lookback_scan_stateIyLb1ELb1EEEEEvT2_T3_mT5_T4_T7_jPT6_SH_bb,comdat
.Lfunc_end35:
	.size	_ZN7rocprim6detail20lookback_scan_kernelILNS0_25lookback_scan_determinismE0ELb0ENS0_19wrapped_scan_configINS_14default_configEyEEPyS6_N6hipcub3MinEyyNS0_19lookback_scan_stateIyLb1ELb1EEEEEvT2_T3_mT5_T4_T7_jPT6_SH_bb, .Lfunc_end35-_ZN7rocprim6detail20lookback_scan_kernelILNS0_25lookback_scan_determinismE0ELb0ENS0_19wrapped_scan_configINS_14default_configEyEEPyS6_N6hipcub3MinEyyNS0_19lookback_scan_stateIyLb1ELb1EEEEEvT2_T3_mT5_T4_T7_jPT6_SH_bb
                                        ; -- End function
	.section	.AMDGPU.csdata,"",@progbits
; Kernel info:
; codeLenInByte = 4
; NumSgprs: 0
; NumVgprs: 0
; ScratchSize: 0
; MemoryBound: 0
; FloatMode: 240
; IeeeMode: 1
; LDSByteSize: 0 bytes/workgroup (compile time only)
; SGPRBlocks: 0
; VGPRBlocks: 0
; NumSGPRsForWavesPerEU: 1
; NumVGPRsForWavesPerEU: 1
; Occupancy: 16
; WaveLimiterHint : 0
; COMPUTE_PGM_RSRC2:SCRATCH_EN: 0
; COMPUTE_PGM_RSRC2:USER_SGPR: 15
; COMPUTE_PGM_RSRC2:TRAP_HANDLER: 0
; COMPUTE_PGM_RSRC2:TGID_X_EN: 1
; COMPUTE_PGM_RSRC2:TGID_Y_EN: 0
; COMPUTE_PGM_RSRC2:TGID_Z_EN: 0
; COMPUTE_PGM_RSRC2:TIDIG_COMP_CNT: 0
	.section	.text._ZN7rocprim6detail20lookback_scan_kernelILNS0_25lookback_scan_determinismE0ELb0ENS0_19wrapped_scan_configINS_14default_configEyEEPyS6_N6hipcub3MinEyyNS0_19lookback_scan_stateIyLb0ELb1EEEEEvT2_T3_mT5_T4_T7_jPT6_SH_bb,"axG",@progbits,_ZN7rocprim6detail20lookback_scan_kernelILNS0_25lookback_scan_determinismE0ELb0ENS0_19wrapped_scan_configINS_14default_configEyEEPyS6_N6hipcub3MinEyyNS0_19lookback_scan_stateIyLb0ELb1EEEEEvT2_T3_mT5_T4_T7_jPT6_SH_bb,comdat
	.protected	_ZN7rocprim6detail20lookback_scan_kernelILNS0_25lookback_scan_determinismE0ELb0ENS0_19wrapped_scan_configINS_14default_configEyEEPyS6_N6hipcub3MinEyyNS0_19lookback_scan_stateIyLb0ELb1EEEEEvT2_T3_mT5_T4_T7_jPT6_SH_bb ; -- Begin function _ZN7rocprim6detail20lookback_scan_kernelILNS0_25lookback_scan_determinismE0ELb0ENS0_19wrapped_scan_configINS_14default_configEyEEPyS6_N6hipcub3MinEyyNS0_19lookback_scan_stateIyLb0ELb1EEEEEvT2_T3_mT5_T4_T7_jPT6_SH_bb
	.globl	_ZN7rocprim6detail20lookback_scan_kernelILNS0_25lookback_scan_determinismE0ELb0ENS0_19wrapped_scan_configINS_14default_configEyEEPyS6_N6hipcub3MinEyyNS0_19lookback_scan_stateIyLb0ELb1EEEEEvT2_T3_mT5_T4_T7_jPT6_SH_bb
	.p2align	8
	.type	_ZN7rocprim6detail20lookback_scan_kernelILNS0_25lookback_scan_determinismE0ELb0ENS0_19wrapped_scan_configINS_14default_configEyEEPyS6_N6hipcub3MinEyyNS0_19lookback_scan_stateIyLb0ELb1EEEEEvT2_T3_mT5_T4_T7_jPT6_SH_bb,@function
_ZN7rocprim6detail20lookback_scan_kernelILNS0_25lookback_scan_determinismE0ELb0ENS0_19wrapped_scan_configINS_14default_configEyEEPyS6_N6hipcub3MinEyyNS0_19lookback_scan_stateIyLb0ELb1EEEEEvT2_T3_mT5_T4_T7_jPT6_SH_bb: ; @_ZN7rocprim6detail20lookback_scan_kernelILNS0_25lookback_scan_determinismE0ELb0ENS0_19wrapped_scan_configINS_14default_configEyEEPyS6_N6hipcub3MinEyyNS0_19lookback_scan_stateIyLb0ELb1EEEEEvT2_T3_mT5_T4_T7_jPT6_SH_bb
; %bb.0:
	s_clause 0x2
	s_load_b32 s10, s[0:1], 0x30
	s_load_b64 s[2:3], s[0:1], 0x10
	s_load_b128 s[4:7], s[0:1], 0x0
	s_lshl_b32 s8, s15, 12
	s_mov_b32 s9, 0
	v_lshlrev_b32_e32 v80, 3, v0
	v_lshrrev_b32_e32 v37, 2, v0
	v_or_b32_e32 v79, 0x100, v0
	v_or_b32_e32 v78, 0x200, v0
	;; [unrolled: 1-line block ×13, first 2 shown]
	s_waitcnt lgkmcnt(0)
	s_add_i32 s10, s10, -1
	v_or_b32_e32 v66, 0xe00, v0
	s_lshl_b32 s11, s10, 12
	v_or_b32_e32 v65, 0xf00, v0
	s_sub_u32 s14, s2, s11
	s_subb_u32 s16, s3, 0
	s_cmp_lg_u32 s15, s10
	s_mov_b32 s3, -1
	s_cselect_b32 s17, -1, 0
	s_lshl_b64 s[12:13], s[8:9], 3
	s_delay_alu instid0(SALU_CYCLE_1)
	s_add_u32 s4, s4, s12
	s_addc_u32 s5, s5, s13
	s_and_b32 vcc_lo, exec_lo, s17
	s_cbranch_vccz .LBB36_2
; %bb.1:
	v_add_co_u32 v27, s2, s4, v80
	s_delay_alu instid0(VALU_DEP_1)
	v_add_co_ci_u32_e64 v28, null, s5, 0, s2
	s_clause 0x1
	global_load_b64 v[1:2], v80, s[4:5]
	global_load_b64 v[3:4], v80, s[4:5] offset:2048
	v_add_co_u32 v5, vcc_lo, 0x1000, v27
	v_add_co_ci_u32_e32 v6, vcc_lo, 0, v28, vcc_lo
	v_add_co_u32 v7, vcc_lo, v27, 0x2000
	v_add_co_ci_u32_e32 v8, vcc_lo, 0, v28, vcc_lo
	;; [unrolled: 2-line block ×10, first 2 shown]
	s_clause 0xd
	global_load_b64 v[17:18], v[7:8], off offset:-4096
	global_load_b64 v[7:8], v[7:8], off
	global_load_b64 v[19:20], v[13:14], off offset:-4096
	global_load_b64 v[13:14], v[13:14], off
	global_load_b64 v[5:6], v[5:6], off offset:2048
	global_load_b64 v[9:10], v[9:10], off offset:2048
	;; [unrolled: 1-line block ×4, first 2 shown]
	global_load_b64 v[29:30], v[23:24], off offset:-4096
	global_load_b64 v[21:22], v[21:22], off offset:2048
	global_load_b64 v[23:24], v[23:24], off
	global_load_b64 v[25:26], v[25:26], off offset:2048
	global_load_b64 v[31:32], v[27:28], off
	global_load_b64 v[27:28], v[27:28], off offset:2048
	v_lshrrev_b32_e32 v34, 2, v79
	v_lshrrev_b32_e32 v35, 2, v78
	;; [unrolled: 1-line block ×4, first 2 shown]
	v_and_b32_e32 v33, 56, v37
	v_lshrrev_b32_e32 v39, 2, v75
	v_lshrrev_b32_e32 v40, 2, v74
	;; [unrolled: 1-line block ×11, first 2 shown]
	v_and_b32_e32 v34, 0x78, v34
	v_and_b32_e32 v35, 0xb8, v35
	v_and_b32_e32 v36, 0xf8, v36
	v_and_b32_e32 v38, 0x138, v38
	v_add_nc_u32_e32 v33, v33, v80
	v_and_b32_e32 v39, 0x178, v39
	v_and_b32_e32 v40, 0x1b8, v40
	;; [unrolled: 1-line block ×11, first 2 shown]
	v_add_nc_u32_e32 v34, v34, v80
	v_add_nc_u32_e32 v35, v35, v80
	v_add_nc_u32_e32 v36, v36, v80
	v_add_nc_u32_e32 v38, v38, v80
	s_mov_b32 s3, 0
	v_add_nc_u32_e32 v39, v39, v80
	v_add_nc_u32_e32 v40, v40, v80
	;; [unrolled: 1-line block ×11, first 2 shown]
	s_waitcnt vmcnt(15)
	ds_store_b64 v33, v[1:2]
	s_waitcnt vmcnt(14)
	ds_store_b64 v34, v[3:4] offset:2048
	s_waitcnt vmcnt(13)
	ds_store_b64 v35, v[17:18] offset:4096
	;; [unrolled: 2-line block ×3, first 2 shown]
	ds_store_b64 v38, v[7:8] offset:8192
	s_waitcnt vmcnt(8)
	ds_store_b64 v39, v[9:10] offset:10240
	ds_store_b64 v40, v[19:20] offset:12288
	s_waitcnt vmcnt(7)
	ds_store_b64 v41, v[11:12] offset:14336
	;; [unrolled: 3-line block ×3, first 2 shown]
	s_waitcnt vmcnt(5)
	ds_store_b64 v44, v[29:30] offset:20480
	s_waitcnt vmcnt(4)
	ds_store_b64 v45, v[21:22] offset:22528
	;; [unrolled: 2-line block ×6, first 2 shown]
	s_waitcnt lgkmcnt(0)
	s_barrier
.LBB36_2:
	v_cmp_gt_u32_e64 s2, s14, v0
	s_and_not1_b32 vcc_lo, exec_lo, s3
	s_cbranch_vccnz .LBB36_21
; %bb.3:
	s_load_b64 s[36:37], s[4:5], 0x0
	v_add_co_u32 v35, s3, s4, v80
	s_delay_alu instid0(VALU_DEP_1)
	v_add_co_ci_u32_e64 v36, null, s5, 0, s3
	s_waitcnt lgkmcnt(0)
	s_mov_b32 s38, s36
	s_mov_b32 s39, s37
	;; [unrolled: 1-line block ×30, first 2 shown]
	v_dual_mov_b32 v1, s36 :: v_dual_mov_b32 v2, s37
	v_dual_mov_b32 v3, s38 :: v_dual_mov_b32 v4, s39
	;; [unrolled: 1-line block ×17, first 2 shown]
	s_and_saveexec_b32 s3, s2
	s_cbranch_execnz .LBB36_172
; %bb.4:
	s_or_b32 exec_lo, exec_lo, s3
	s_delay_alu instid0(SALU_CYCLE_1)
	s_mov_b32 s2, exec_lo
	v_cmpx_gt_u32_e64 s14, v79
	s_cbranch_execnz .LBB36_173
.LBB36_5:
	s_or_b32 exec_lo, exec_lo, s2
	s_delay_alu instid0(SALU_CYCLE_1)
	s_mov_b32 s2, exec_lo
	v_cmpx_gt_u32_e64 s14, v78
	s_cbranch_execnz .LBB36_174
.LBB36_6:
	s_or_b32 exec_lo, exec_lo, s2
	s_delay_alu instid0(SALU_CYCLE_1)
	s_mov_b32 s2, exec_lo
	v_cmpx_gt_u32_e64 s14, v77
	s_cbranch_execnz .LBB36_175
.LBB36_7:
	s_or_b32 exec_lo, exec_lo, s2
	s_delay_alu instid0(SALU_CYCLE_1)
	s_mov_b32 s2, exec_lo
	v_cmpx_gt_u32_e64 s14, v76
	s_cbranch_execnz .LBB36_176
.LBB36_8:
	s_or_b32 exec_lo, exec_lo, s2
	s_delay_alu instid0(SALU_CYCLE_1)
	s_mov_b32 s2, exec_lo
	v_cmpx_gt_u32_e64 s14, v75
	s_cbranch_execnz .LBB36_177
.LBB36_9:
	s_or_b32 exec_lo, exec_lo, s2
	s_delay_alu instid0(SALU_CYCLE_1)
	s_mov_b32 s2, exec_lo
	v_cmpx_gt_u32_e64 s14, v74
	s_cbranch_execnz .LBB36_178
.LBB36_10:
	s_or_b32 exec_lo, exec_lo, s2
	s_delay_alu instid0(SALU_CYCLE_1)
	s_mov_b32 s2, exec_lo
	v_cmpx_gt_u32_e64 s14, v73
	s_cbranch_execnz .LBB36_179
.LBB36_11:
	s_or_b32 exec_lo, exec_lo, s2
	s_delay_alu instid0(SALU_CYCLE_1)
	s_mov_b32 s2, exec_lo
	v_cmpx_gt_u32_e64 s14, v72
	s_cbranch_execnz .LBB36_180
.LBB36_12:
	s_or_b32 exec_lo, exec_lo, s2
	s_delay_alu instid0(SALU_CYCLE_1)
	s_mov_b32 s2, exec_lo
	v_cmpx_gt_u32_e64 s14, v71
	s_cbranch_execnz .LBB36_181
.LBB36_13:
	s_or_b32 exec_lo, exec_lo, s2
	s_delay_alu instid0(SALU_CYCLE_1)
	s_mov_b32 s2, exec_lo
	v_cmpx_gt_u32_e64 s14, v70
	s_cbranch_execnz .LBB36_182
.LBB36_14:
	s_or_b32 exec_lo, exec_lo, s2
	s_delay_alu instid0(SALU_CYCLE_1)
	s_mov_b32 s2, exec_lo
	v_cmpx_gt_u32_e64 s14, v69
	s_cbranch_execnz .LBB36_183
.LBB36_15:
	s_or_b32 exec_lo, exec_lo, s2
	s_delay_alu instid0(SALU_CYCLE_1)
	s_mov_b32 s2, exec_lo
	v_cmpx_gt_u32_e64 s14, v68
	s_cbranch_execnz .LBB36_184
.LBB36_16:
	s_or_b32 exec_lo, exec_lo, s2
	s_delay_alu instid0(SALU_CYCLE_1)
	s_mov_b32 s2, exec_lo
	v_cmpx_gt_u32_e64 s14, v67
	s_cbranch_execnz .LBB36_185
.LBB36_17:
	s_or_b32 exec_lo, exec_lo, s2
	s_delay_alu instid0(SALU_CYCLE_1)
	s_mov_b32 s2, exec_lo
	v_cmpx_gt_u32_e64 s14, v66
	s_cbranch_execnz .LBB36_186
.LBB36_18:
	s_or_b32 exec_lo, exec_lo, s2
	s_delay_alu instid0(SALU_CYCLE_1)
	s_mov_b32 s2, exec_lo
	v_cmpx_gt_u32_e64 s14, v65
	s_cbranch_execz .LBB36_20
.LBB36_19:
	v_add_co_u32 v1, vcc_lo, 0x7000, v35
	v_add_co_ci_u32_e32 v2, vcc_lo, 0, v36, vcc_lo
	global_load_b64 v[31:32], v[1:2], off offset:2048
.LBB36_20:
	s_or_b32 exec_lo, exec_lo, s2
	v_lshrrev_b32_e32 v1, 2, v79
	v_lshrrev_b32_e32 v2, 2, v78
	;; [unrolled: 1-line block ×3, first 2 shown]
	v_and_b32_e32 v36, 56, v37
	v_lshrrev_b32_e32 v37, 2, v76
	v_and_b32_e32 v1, 0x78, v1
	v_and_b32_e32 v2, 0xf8, v2
	;; [unrolled: 1-line block ×3, first 2 shown]
	v_lshrrev_b32_e32 v38, 2, v75
	v_add_nc_u32_e32 v36, v36, v80
	v_add_nc_u32_e32 v1, v1, v80
	v_lshrrev_b32_e32 v39, 2, v74
	v_add_nc_u32_e32 v2, v2, v80
	v_lshrrev_b32_e32 v40, 2, v73
	v_add_nc_u32_e32 v35, v35, v80
	v_and_b32_e32 v37, 0x1f8, v37
	v_and_b32_e32 v38, 0x1f8, v38
	s_waitcnt vmcnt(0)
	ds_store_b64 v36, v[33:34]
	ds_store_b64 v1, v[3:4] offset:2048
	ds_store_b64 v2, v[5:6] offset:4096
	;; [unrolled: 1-line block ×3, first 2 shown]
	v_lshrrev_b32_e32 v5, 2, v72
	v_and_b32_e32 v3, 0x1f8, v39
	v_lshrrev_b32_e32 v6, 2, v71
	v_lshrrev_b32_e32 v7, 2, v70
	v_and_b32_e32 v4, 0x1f8, v40
	v_add_nc_u32_e32 v1, v37, v80
	v_add_nc_u32_e32 v2, v38, v80
	v_and_b32_e32 v5, 0x3f8, v5
	v_add_nc_u32_e32 v3, v3, v80
	v_and_b32_e32 v6, 0x3f8, v6
	v_and_b32_e32 v7, 0x3f8, v7
	v_add_nc_u32_e32 v4, v4, v80
	ds_store_b64 v1, v[9:10] offset:8192
	ds_store_b64 v2, v[11:12] offset:10240
	;; [unrolled: 1-line block ×4, first 2 shown]
	v_lshrrev_b32_e32 v4, 2, v69
	v_add_nc_u32_e32 v1, v5, v80
	v_lshrrev_b32_e32 v5, 2, v68
	v_add_nc_u32_e32 v2, v6, v80
	v_add_nc_u32_e32 v3, v7, v80
	v_lshrrev_b32_e32 v6, 2, v67
	v_lshrrev_b32_e32 v7, 2, v66
	;; [unrolled: 1-line block ×3, first 2 shown]
	v_and_b32_e32 v4, 0x3f8, v4
	v_and_b32_e32 v5, 0x3f8, v5
	;; [unrolled: 1-line block ×5, first 2 shown]
	v_add_nc_u32_e32 v4, v4, v80
	v_add_nc_u32_e32 v5, v5, v80
	;; [unrolled: 1-line block ×5, first 2 shown]
	ds_store_b64 v1, v[17:18] offset:16384
	ds_store_b64 v2, v[19:20] offset:18432
	;; [unrolled: 1-line block ×8, first 2 shown]
	s_waitcnt lgkmcnt(0)
	s_barrier
.LBB36_21:
	v_lshlrev_b32_e32 v1, 4, v0
	v_lshrrev_b32_e32 v81, 1, v0
	buffer_gl0_inv
	s_load_b64 s[4:5], s[0:1], 0x28
	v_lshrrev_b32_e32 v82, 5, v0
	v_cmp_gt_u32_e32 vcc_lo, 32, v0
	v_add_lshl_u32 v1, v81, v1, 3
	s_cmp_lg_u32 s15, 0
	ds_load_2addr_b64 v[57:60], v1 offset1:1
	ds_load_2addr_b64 v[61:64], v1 offset0:2 offset1:3
	ds_load_2addr_b64 v[53:56], v1 offset0:4 offset1:5
	;; [unrolled: 1-line block ×7, first 2 shown]
	s_waitcnt lgkmcnt(0)
	s_barrier
	buffer_gl0_inv
	s_cbranch_scc0 .LBB36_76
; %bb.22:
	v_cmp_lt_u64_e64 s2, v[57:58], v[59:60]
	v_add_lshl_u32 v3, v82, v0, 3
	s_delay_alu instid0(VALU_DEP_2) | instskip(SKIP_1) | instid1(VALU_DEP_1)
	v_cndmask_b32_e64 v2, v60, v58, s2
	v_cndmask_b32_e64 v1, v59, v57, s2
	v_cmp_lt_u64_e64 s2, v[1:2], v[61:62]
	s_delay_alu instid0(VALU_DEP_1) | instskip(SKIP_1) | instid1(VALU_DEP_1)
	v_cndmask_b32_e64 v2, v62, v2, s2
	v_cndmask_b32_e64 v1, v61, v1, s2
	v_cmp_lt_u64_e64 s2, v[1:2], v[63:64]
	s_delay_alu instid0(VALU_DEP_1) | instskip(SKIP_1) | instid1(VALU_DEP_1)
	;; [unrolled: 4-line block ×13, first 2 shown]
	v_cndmask_b32_e64 v2, v34, v2, s2
	v_cndmask_b32_e64 v1, v33, v1, s2
	v_cmp_lt_u64_e64 s2, v[1:2], v[35:36]
	s_delay_alu instid0(VALU_DEP_1)
	v_cndmask_b32_e64 v18, v36, v2, s2
	v_cndmask_b32_e64 v17, v35, v1, s2
	ds_store_b64 v3, v[17:18]
	s_waitcnt lgkmcnt(0)
	s_barrier
	buffer_gl0_inv
	s_and_saveexec_b32 s3, vcc_lo
	s_cbranch_execz .LBB36_34
; %bb.23:
	v_lshlrev_b32_e32 v1, 1, v0
	v_mbcnt_lo_u32_b32 v24, -1, 0
	s_mov_b32 s8, exec_lo
	s_delay_alu instid0(VALU_DEP_2) | instskip(NEXT) | instid1(VALU_DEP_2)
	v_and_b32_e32 v1, 0x1f8, v1
	v_and_b32_e32 v25, 15, v24
	s_delay_alu instid0(VALU_DEP_2)
	v_lshl_or_b32 v23, v0, 6, v1
	ds_load_2addr_b64 v[5:8], v23 offset1:1
	ds_load_2addr_b64 v[1:4], v23 offset0:2 offset1:3
	ds_load_2addr_b64 v[9:12], v23 offset0:4 offset1:5
	s_waitcnt lgkmcnt(2)
	v_cmp_lt_u64_e64 s2, v[5:6], v[7:8]
	s_delay_alu instid0(VALU_DEP_1) | instskip(SKIP_2) | instid1(VALU_DEP_1)
	v_cndmask_b32_e64 v14, v8, v6, s2
	v_cndmask_b32_e64 v13, v7, v5, s2
	s_waitcnt lgkmcnt(1)
	v_cmp_lt_u64_e64 s2, v[13:14], v[1:2]
	s_delay_alu instid0(VALU_DEP_1) | instskip(SKIP_1) | instid1(VALU_DEP_1)
	v_cndmask_b32_e64 v14, v2, v14, s2
	v_cndmask_b32_e64 v13, v1, v13, s2
	v_cmp_lt_u64_e64 s2, v[13:14], v[3:4]
	s_delay_alu instid0(VALU_DEP_1) | instskip(SKIP_4) | instid1(VALU_DEP_1)
	v_cndmask_b32_e64 v20, v4, v14, s2
	v_cndmask_b32_e64 v19, v3, v13, s2
	ds_load_2addr_b64 v[13:16], v23 offset0:6 offset1:7
	s_waitcnt lgkmcnt(1)
	v_cmp_lt_u64_e64 s2, v[19:20], v[9:10]
	v_cndmask_b32_e64 v20, v10, v20, s2
	v_cndmask_b32_e64 v19, v9, v19, s2
	s_delay_alu instid0(VALU_DEP_1) | instskip(NEXT) | instid1(VALU_DEP_1)
	v_cmp_lt_u64_e64 s2, v[19:20], v[11:12]
	v_cndmask_b32_e64 v20, v12, v20, s2
	v_cndmask_b32_e64 v19, v11, v19, s2
	s_waitcnt lgkmcnt(0)
	s_delay_alu instid0(VALU_DEP_1) | instskip(NEXT) | instid1(VALU_DEP_1)
	v_cmp_lt_u64_e64 s2, v[19:20], v[13:14]
	v_cndmask_b32_e64 v20, v14, v20, s2
	v_cndmask_b32_e64 v19, v13, v19, s2
	s_delay_alu instid0(VALU_DEP_1) | instskip(NEXT) | instid1(VALU_DEP_1)
	v_cmp_lt_u64_e64 s2, v[19:20], v[15:16]
	v_cndmask_b32_e64 v20, v16, v20, s2
	v_cndmask_b32_e64 v19, v15, v19, s2
	s_delay_alu instid0(VALU_DEP_2) | instskip(NEXT) | instid1(VALU_DEP_2)
	v_mov_b32_dpp v22, v20 row_shr:1 row_mask:0xf bank_mask:0xf
	v_mov_b32_dpp v21, v19 row_shr:1 row_mask:0xf bank_mask:0xf
	v_cmpx_ne_u32_e32 0, v25
; %bb.24:
	s_delay_alu instid0(VALU_DEP_2) | instskip(NEXT) | instid1(VALU_DEP_1)
	v_cmp_lt_u64_e64 s2, v[21:22], v[19:20]
	v_cndmask_b32_e64 v20, v20, v22, s2
	v_cndmask_b32_e64 v19, v19, v21, s2
; %bb.25:
	s_or_b32 exec_lo, exec_lo, s8
	s_delay_alu instid0(VALU_DEP_1) | instskip(NEXT) | instid1(VALU_DEP_3)
	v_mov_b32_dpp v21, v19 row_shr:2 row_mask:0xf bank_mask:0xf
	v_mov_b32_dpp v22, v20 row_shr:2 row_mask:0xf bank_mask:0xf
	s_mov_b32 s8, exec_lo
	v_cmpx_lt_u32_e32 1, v25
; %bb.26:
	s_delay_alu instid0(VALU_DEP_2) | instskip(NEXT) | instid1(VALU_DEP_1)
	v_cmp_lt_u64_e64 s2, v[21:22], v[19:20]
	v_cndmask_b32_e64 v20, v20, v22, s2
	v_cndmask_b32_e64 v19, v19, v21, s2
; %bb.27:
	s_or_b32 exec_lo, exec_lo, s8
	s_delay_alu instid0(VALU_DEP_1) | instskip(NEXT) | instid1(VALU_DEP_3)
	v_mov_b32_dpp v21, v19 row_shr:4 row_mask:0xf bank_mask:0xf
	v_mov_b32_dpp v22, v20 row_shr:4 row_mask:0xf bank_mask:0xf
	s_mov_b32 s8, exec_lo
	v_cmpx_lt_u32_e32 3, v25
	;; [unrolled: 12-line block ×3, first 2 shown]
; %bb.30:
	s_delay_alu instid0(VALU_DEP_2) | instskip(NEXT) | instid1(VALU_DEP_1)
	v_cmp_lt_u64_e64 s2, v[21:22], v[19:20]
	v_cndmask_b32_e64 v20, v20, v22, s2
	v_cndmask_b32_e64 v19, v19, v21, s2
; %bb.31:
	s_or_b32 exec_lo, exec_lo, s8
	ds_swizzle_b32 v21, v19 offset:swizzle(BROADCAST,32,15)
	ds_swizzle_b32 v22, v20 offset:swizzle(BROADCAST,32,15)
	v_and_b32_e32 v25, 16, v24
	s_mov_b32 s8, exec_lo
	s_delay_alu instid0(VALU_DEP_1)
	v_cmpx_ne_u32_e32 0, v25
	s_cbranch_execz .LBB36_33
; %bb.32:
	s_waitcnt lgkmcnt(0)
	v_cmp_lt_u64_e64 s2, v[21:22], v[19:20]
	s_delay_alu instid0(VALU_DEP_1)
	v_cndmask_b32_e64 v19, v19, v21, s2
	v_cndmask_b32_e64 v20, v20, v22, s2
.LBB36_33:
	s_or_b32 exec_lo, exec_lo, s8
	s_waitcnt lgkmcnt(1)
	v_add_nc_u32_e32 v21, -1, v24
	s_delay_alu instid0(VALU_DEP_1) | instskip(NEXT) | instid1(VALU_DEP_1)
	v_cmp_gt_i32_e64 s2, 0, v21
	v_cndmask_b32_e64 v21, v21, v24, s2
	s_delay_alu instid0(VALU_DEP_1) | instskip(SKIP_4) | instid1(VALU_DEP_1)
	v_lshlrev_b32_e32 v21, 2, v21
	ds_bpermute_b32 v19, v21, v19
	ds_bpermute_b32 v20, v21, v20
	s_waitcnt lgkmcnt(0)
	v_cmp_lt_u64_e64 s2, v[19:20], v[5:6]
	v_cndmask_b32_e64 v5, v5, v19, s2
	v_cndmask_b32_e64 v6, v6, v20, s2
	v_cmp_eq_u32_e64 s2, 0, v0
	s_delay_alu instid0(VALU_DEP_1) | instskip(NEXT) | instid1(VALU_DEP_4)
	v_cndmask_b32_e64 v6, v6, v18, s2
	v_cndmask_b32_e64 v5, v5, v17, s2
	s_delay_alu instid0(VALU_DEP_1) | instskip(NEXT) | instid1(VALU_DEP_1)
	v_cmp_lt_u64_e64 s2, v[5:6], v[7:8]
	v_cndmask_b32_e64 v8, v8, v6, s2
	v_cndmask_b32_e64 v7, v7, v5, s2
	s_delay_alu instid0(VALU_DEP_1) | instskip(NEXT) | instid1(VALU_DEP_1)
	v_cmp_lt_u64_e64 s2, v[7:8], v[1:2]
	;; [unrolled: 4-line block ×7, first 2 shown]
	v_cndmask_b32_e64 v16, v16, v14, s2
	v_cndmask_b32_e64 v15, v15, v13, s2
	ds_store_2addr_b64 v23, v[5:6], v[7:8] offset1:1
	ds_store_2addr_b64 v23, v[1:2], v[3:4] offset0:2 offset1:3
	ds_store_2addr_b64 v23, v[9:10], v[11:12] offset0:4 offset1:5
	;; [unrolled: 1-line block ×3, first 2 shown]
.LBB36_34:
	s_or_b32 exec_lo, exec_lo, s3
	v_cmp_eq_u32_e64 s2, 0, v0
	s_mov_b32 s8, exec_lo
	s_waitcnt lgkmcnt(0)
	s_barrier
	buffer_gl0_inv
	v_cmpx_ne_u32_e32 0, v0
	s_cbranch_execz .LBB36_36
; %bb.35:
	v_add_nc_u32_e32 v1, -1, v0
	s_delay_alu instid0(VALU_DEP_1) | instskip(NEXT) | instid1(VALU_DEP_1)
	v_lshrrev_b32_e32 v2, 5, v1
	v_add_lshl_u32 v1, v2, v1, 3
	ds_load_b64 v[17:18], v1
.LBB36_36:
	s_or_b32 exec_lo, exec_lo, s8
	s_and_saveexec_b32 s10, vcc_lo
	s_cbranch_execz .LBB36_75
; %bb.37:
	v_mov_b32_e32 v4, 0
	v_mbcnt_lo_u32_b32 v10, -1, 0
	ds_load_b64 v[1:2], v4 offset:2096
	v_cmp_eq_u32_e64 s3, 0, v10
	s_delay_alu instid0(VALU_DEP_1)
	s_and_saveexec_b32 s11, s3
	s_cbranch_execz .LBB36_39
; %bb.38:
	s_add_i32 s8, s15, 32
	s_delay_alu instid0(SALU_CYCLE_1) | instskip(NEXT) | instid1(SALU_CYCLE_1)
	s_lshl_b64 s[8:9], s[8:9], 4
	s_add_u32 s8, s4, s8
	s_addc_u32 s9, s5, s9
	v_mov_b32_e32 v5, s8
	v_dual_mov_b32 v3, 1 :: v_dual_mov_b32 v6, s9
	s_waitcnt lgkmcnt(0)
	;;#ASMSTART
	global_store_dwordx4 v[5:6], v[1:4] off	
s_waitcnt vmcnt(0)
	;;#ASMEND
.LBB36_39:
	s_or_b32 exec_lo, exec_lo, s11
	v_xad_u32 v7, v10, -1, s15
	s_mov_b32 s8, exec_lo
	s_delay_alu instid0(VALU_DEP_1) | instskip(NEXT) | instid1(VALU_DEP_1)
	v_add_nc_u32_e32 v3, 32, v7
	v_lshlrev_b64 v[3:4], 4, v[3:4]
	s_delay_alu instid0(VALU_DEP_1) | instskip(NEXT) | instid1(VALU_DEP_2)
	v_add_co_u32 v8, vcc_lo, s4, v3
	v_add_co_ci_u32_e32 v9, vcc_lo, s5, v4, vcc_lo
	;;#ASMSTART
	global_load_dwordx4 v[3:6], v[8:9] off glc	
s_waitcnt vmcnt(0)
	;;#ASMEND
	v_and_b32_e32 v6, 0xff, v5
	s_delay_alu instid0(VALU_DEP_1)
	v_cmpx_eq_u16_e32 0, v6
	s_cbranch_execz .LBB36_43
; %bb.40:
	s_mov_b32 s9, 0
.LBB36_41:                              ; =>This Inner Loop Header: Depth=1
	;;#ASMSTART
	global_load_dwordx4 v[3:6], v[8:9] off glc	
s_waitcnt vmcnt(0)
	;;#ASMEND
	v_and_b32_e32 v6, 0xff, v5
	s_delay_alu instid0(VALU_DEP_1) | instskip(SKIP_1) | instid1(SALU_CYCLE_1)
	v_cmp_ne_u16_e32 vcc_lo, 0, v6
	s_or_b32 s9, vcc_lo, s9
	s_and_not1_b32 exec_lo, exec_lo, s9
	s_cbranch_execnz .LBB36_41
; %bb.42:
	s_or_b32 exec_lo, exec_lo, s9
.LBB36_43:
	s_delay_alu instid0(SALU_CYCLE_1)
	s_or_b32 exec_lo, exec_lo, s8
	v_cmp_ne_u32_e32 vcc_lo, 31, v10
	v_and_b32_e32 v8, 0xff, v5
	v_lshlrev_b32_e64 v14, v10, -1
	v_add_nc_u32_e32 v15, 1, v10
	s_mov_b32 s8, exec_lo
	v_add_co_ci_u32_e32 v6, vcc_lo, 0, v10, vcc_lo
	v_cmp_eq_u16_e32 vcc_lo, 2, v8
	s_delay_alu instid0(VALU_DEP_2) | instskip(SKIP_4) | instid1(VALU_DEP_1)
	v_lshlrev_b32_e32 v13, 2, v6
	v_and_or_b32 v6, vcc_lo, v14, 0x80000000
	ds_bpermute_b32 v8, v13, v3
	ds_bpermute_b32 v9, v13, v4
	v_ctz_i32_b32_e32 v6, v6
	v_cmpx_le_u32_e64 v15, v6
	s_cbranch_execz .LBB36_45
; %bb.44:
	s_waitcnt lgkmcnt(0)
	v_cmp_lt_u64_e32 vcc_lo, v[8:9], v[3:4]
	v_dual_cndmask_b32 v4, v4, v9 :: v_dual_cndmask_b32 v3, v3, v8
.LBB36_45:
	s_or_b32 exec_lo, exec_lo, s8
	v_cmp_gt_u32_e32 vcc_lo, 30, v10
	v_add_nc_u32_e32 v19, 2, v10
	s_mov_b32 s8, exec_lo
	s_waitcnt lgkmcnt(1)
	v_cndmask_b32_e64 v8, 0, 1, vcc_lo
	s_delay_alu instid0(VALU_DEP_1) | instskip(NEXT) | instid1(VALU_DEP_1)
	v_lshlrev_b32_e32 v8, 1, v8
	v_add_lshl_u32 v16, v8, v10, 2
	ds_bpermute_b32 v8, v16, v3
	s_waitcnt lgkmcnt(1)
	ds_bpermute_b32 v9, v16, v4
	v_cmpx_le_u32_e64 v19, v6
	s_cbranch_execz .LBB36_47
; %bb.46:
	s_waitcnt lgkmcnt(0)
	v_cmp_lt_u64_e32 vcc_lo, v[8:9], v[3:4]
	v_dual_cndmask_b32 v4, v4, v9 :: v_dual_cndmask_b32 v3, v3, v8
.LBB36_47:
	s_or_b32 exec_lo, exec_lo, s8
	v_cmp_gt_u32_e32 vcc_lo, 28, v10
	v_add_nc_u32_e32 v21, 4, v10
	s_mov_b32 s8, exec_lo
	s_waitcnt lgkmcnt(1)
	v_cndmask_b32_e64 v8, 0, 1, vcc_lo
	s_delay_alu instid0(VALU_DEP_1) | instskip(NEXT) | instid1(VALU_DEP_1)
	v_lshlrev_b32_e32 v8, 2, v8
	v_add_lshl_u32 v20, v8, v10, 2
	ds_bpermute_b32 v8, v20, v3
	s_waitcnt lgkmcnt(1)
	ds_bpermute_b32 v9, v20, v4
	;; [unrolled: 19-line block ×4, first 2 shown]
	v_cmpx_le_u32_e64 v25, v6
	s_cbranch_execz .LBB36_53
; %bb.52:
	s_waitcnt lgkmcnt(0)
	v_cmp_lt_u64_e32 vcc_lo, v[8:9], v[3:4]
	v_dual_cndmask_b32 v4, v4, v9 :: v_dual_cndmask_b32 v3, v3, v8
.LBB36_53:
	s_or_b32 exec_lo, exec_lo, s8
	s_waitcnt lgkmcnt(1)
	v_mov_b32_e32 v8, 0
	s_branch .LBB36_55
.LBB36_54:                              ;   in Loop: Header=BB36_55 Depth=1
	s_or_b32 exec_lo, exec_lo, s8
	s_delay_alu instid0(VALU_DEP_1)
	v_cmp_lt_u64_e32 vcc_lo, v[3:4], v[9:10]
	v_subrev_nc_u32_e32 v7, 32, v7
	v_dual_cndmask_b32 v4, v10, v4 :: v_dual_cndmask_b32 v3, v9, v3
.LBB36_55:                              ; =>This Loop Header: Depth=1
                                        ;     Child Loop BB36_58 Depth 2
	s_waitcnt lgkmcnt(0)
	s_delay_alu instid0(VALU_DEP_1) | instskip(NEXT) | instid1(VALU_DEP_2)
	v_dual_mov_b32 v10, v4 :: v_dual_and_b32 v5, 0xff, v5
	v_mov_b32_e32 v9, v3
	s_delay_alu instid0(VALU_DEP_2) | instskip(SKIP_2) | instid1(VALU_DEP_1)
	v_cmp_ne_u16_e32 vcc_lo, 2, v5
	v_cndmask_b32_e64 v5, 0, 1, vcc_lo
	;;#ASMSTART
	;;#ASMEND
	v_cmp_ne_u32_e32 vcc_lo, 0, v5
	s_cmp_lg_u32 vcc_lo, exec_lo
	s_cbranch_scc1 .LBB36_70
; %bb.56:                               ;   in Loop: Header=BB36_55 Depth=1
	v_lshlrev_b64 v[3:4], 4, v[7:8]
	s_mov_b32 s8, exec_lo
	s_delay_alu instid0(VALU_DEP_1) | instskip(NEXT) | instid1(VALU_DEP_2)
	v_add_co_u32 v11, vcc_lo, s4, v3
	v_add_co_ci_u32_e32 v12, vcc_lo, s5, v4, vcc_lo
	;;#ASMSTART
	global_load_dwordx4 v[3:6], v[11:12] off glc	
s_waitcnt vmcnt(0)
	;;#ASMEND
	v_and_b32_e32 v6, 0xff, v5
	s_delay_alu instid0(VALU_DEP_1)
	v_cmpx_eq_u16_e32 0, v6
	s_cbranch_execz .LBB36_60
; %bb.57:                               ;   in Loop: Header=BB36_55 Depth=1
	s_mov_b32 s9, 0
.LBB36_58:                              ;   Parent Loop BB36_55 Depth=1
                                        ; =>  This Inner Loop Header: Depth=2
	;;#ASMSTART
	global_load_dwordx4 v[3:6], v[11:12] off glc	
s_waitcnt vmcnt(0)
	;;#ASMEND
	v_and_b32_e32 v6, 0xff, v5
	s_delay_alu instid0(VALU_DEP_1) | instskip(SKIP_1) | instid1(SALU_CYCLE_1)
	v_cmp_ne_u16_e32 vcc_lo, 0, v6
	s_or_b32 s9, vcc_lo, s9
	s_and_not1_b32 exec_lo, exec_lo, s9
	s_cbranch_execnz .LBB36_58
; %bb.59:                               ;   in Loop: Header=BB36_55 Depth=1
	s_or_b32 exec_lo, exec_lo, s9
.LBB36_60:                              ;   in Loop: Header=BB36_55 Depth=1
	s_delay_alu instid0(SALU_CYCLE_1)
	s_or_b32 exec_lo, exec_lo, s8
	v_and_b32_e32 v6, 0xff, v5
	ds_bpermute_b32 v11, v13, v3
	ds_bpermute_b32 v12, v13, v4
	s_mov_b32 s8, exec_lo
	v_cmp_eq_u16_e32 vcc_lo, 2, v6
	v_and_or_b32 v6, vcc_lo, v14, 0x80000000
	s_delay_alu instid0(VALU_DEP_1) | instskip(NEXT) | instid1(VALU_DEP_1)
	v_ctz_i32_b32_e32 v6, v6
	v_cmpx_le_u32_e64 v15, v6
	s_cbranch_execz .LBB36_62
; %bb.61:                               ;   in Loop: Header=BB36_55 Depth=1
	s_waitcnt lgkmcnt(0)
	v_cmp_lt_u64_e32 vcc_lo, v[11:12], v[3:4]
	v_dual_cndmask_b32 v4, v4, v12 :: v_dual_cndmask_b32 v3, v3, v11
.LBB36_62:                              ;   in Loop: Header=BB36_55 Depth=1
	s_or_b32 exec_lo, exec_lo, s8
	s_waitcnt lgkmcnt(1)
	ds_bpermute_b32 v11, v16, v3
	s_waitcnt lgkmcnt(1)
	ds_bpermute_b32 v12, v16, v4
	s_mov_b32 s8, exec_lo
	v_cmpx_le_u32_e64 v19, v6
	s_cbranch_execz .LBB36_64
; %bb.63:                               ;   in Loop: Header=BB36_55 Depth=1
	s_waitcnt lgkmcnt(0)
	v_cmp_lt_u64_e32 vcc_lo, v[11:12], v[3:4]
	v_dual_cndmask_b32 v4, v4, v12 :: v_dual_cndmask_b32 v3, v3, v11
.LBB36_64:                              ;   in Loop: Header=BB36_55 Depth=1
	s_or_b32 exec_lo, exec_lo, s8
	s_waitcnt lgkmcnt(1)
	ds_bpermute_b32 v11, v20, v3
	s_waitcnt lgkmcnt(1)
	ds_bpermute_b32 v12, v20, v4
	s_mov_b32 s8, exec_lo
	;; [unrolled: 13-line block ×4, first 2 shown]
	v_cmpx_le_u32_e64 v25, v6
	s_cbranch_execz .LBB36_54
; %bb.69:                               ;   in Loop: Header=BB36_55 Depth=1
	s_waitcnt lgkmcnt(0)
	v_cmp_lt_u64_e32 vcc_lo, v[11:12], v[3:4]
	v_dual_cndmask_b32 v4, v4, v12 :: v_dual_cndmask_b32 v3, v3, v11
	s_branch .LBB36_54
.LBB36_70:                              ;   in Loop: Header=BB36_55 Depth=1
                                        ; implicit-def: $vgpr3_vgpr4
	s_cbranch_execz .LBB36_55
; %bb.71:
	s_and_saveexec_b32 s8, s3
	s_cbranch_execz .LBB36_73
; %bb.72:
	s_add_i32 s18, s15, 32
	s_mov_b32 s19, 0
	v_cmp_lt_u64_e32 vcc_lo, v[9:10], v[1:2]
	s_lshl_b64 s[18:19], s[18:19], 4
	v_dual_mov_b32 v3, 2 :: v_dual_mov_b32 v4, 0
	s_add_u32 s18, s4, s18
	s_addc_u32 s19, s5, s19
	v_dual_cndmask_b32 v2, v2, v10 :: v_dual_cndmask_b32 v1, v1, v9
	v_dual_mov_b32 v5, s18 :: v_dual_mov_b32 v6, s19
	;;#ASMSTART
	global_store_dwordx4 v[5:6], v[1:4] off	
s_waitcnt vmcnt(0)
	;;#ASMEND
.LBB36_73:
	s_or_b32 exec_lo, exec_lo, s8
	s_delay_alu instid0(SALU_CYCLE_1)
	s_and_b32 exec_lo, exec_lo, s2
	s_cbranch_execz .LBB36_75
; %bb.74:
	v_mov_b32_e32 v1, 0
	ds_store_b64 v1, v[9:10]
.LBB36_75:
	s_or_b32 exec_lo, exec_lo, s10
	s_waitcnt lgkmcnt(0)
	v_cmp_lt_u64_e32 vcc_lo, v[17:18], v[57:58]
	v_mov_b32_e32 v1, 0
	s_barrier
	buffer_gl0_inv
	v_cndmask_b32_e32 v4, v58, v18, vcc_lo
	ds_load_b64 v[1:2], v1
	v_cndmask_b32_e64 v4, v4, v58, s2
	v_cndmask_b32_e32 v3, v57, v17, vcc_lo
	s_delay_alu instid0(VALU_DEP_1) | instskip(SKIP_1) | instid1(VALU_DEP_1)
	v_cndmask_b32_e64 v3, v3, v57, s2
	s_waitcnt lgkmcnt(0)
	v_cmp_lt_u64_e32 vcc_lo, v[1:2], v[3:4]
	v_dual_cndmask_b32 v2, v4, v2 :: v_dual_cndmask_b32 v1, v3, v1
	s_delay_alu instid0(VALU_DEP_1) | instskip(SKIP_1) | instid1(VALU_DEP_1)
	v_cmp_lt_u64_e32 vcc_lo, v[1:2], v[59:60]
	v_dual_cndmask_b32 v4, v60, v2 :: v_dual_cndmask_b32 v3, v59, v1
	v_cmp_lt_u64_e32 vcc_lo, v[3:4], v[61:62]
	v_dual_cndmask_b32 v6, v62, v4 :: v_dual_cndmask_b32 v5, v61, v3
	s_delay_alu instid0(VALU_DEP_1) | instskip(SKIP_1) | instid1(VALU_DEP_1)
	v_cmp_lt_u64_e32 vcc_lo, v[5:6], v[63:64]
	v_dual_cndmask_b32 v8, v64, v6 :: v_dual_cndmask_b32 v7, v63, v5
	;; [unrolled: 5-line block ×7, first 2 shown]
	v_cmp_lt_u64_e32 vcc_lo, v[27:28], v[33:34]
	v_dual_cndmask_b32 v30, v34, v28 :: v_dual_cndmask_b32 v29, v33, v27
	s_delay_alu instid0(VALU_DEP_1)
	v_cmp_lt_u64_e32 vcc_lo, v[29:30], v[35:36]
	v_dual_cndmask_b32 v32, v36, v30 :: v_dual_cndmask_b32 v31, v35, v29
	s_load_b128 s[8:11], s[0:1], 0x38
	s_branch .LBB36_96
.LBB36_76:
                                        ; implicit-def: $vgpr1_vgpr2_vgpr3_vgpr4_vgpr5_vgpr6_vgpr7_vgpr8_vgpr9_vgpr10_vgpr11_vgpr12_vgpr13_vgpr14_vgpr15_vgpr16_vgpr17_vgpr18_vgpr19_vgpr20_vgpr21_vgpr22_vgpr23_vgpr24_vgpr25_vgpr26_vgpr27_vgpr28_vgpr29_vgpr30_vgpr31_vgpr32
	s_load_b128 s[8:11], s[0:1], 0x38
	s_cbranch_execz .LBB36_96
; %bb.77:
	s_load_b32 s2, s[0:1], 0x48
	v_cmp_eq_u32_e32 vcc_lo, 0, v0
	s_waitcnt lgkmcnt(0)
	s_bitcmp1_b32 s2, 0
	v_cmp_ne_u32_e64 s2, 0, v0
	s_cselect_b32 s3, -1, 0
	s_delay_alu instid0(SALU_CYCLE_1) | instskip(NEXT) | instid1(SALU_CYCLE_1)
	s_and_b32 s3, vcc_lo, s3
	s_and_saveexec_b32 s15, s3
	s_cbranch_execz .LBB36_79
; %bb.78:
	s_load_b64 s[8:9], s[8:9], 0x0
	s_waitcnt lgkmcnt(0)
	v_cmp_lt_u64_e64 s3, s[8:9], v[57:58]
	s_delay_alu instid0(VALU_DEP_1)
	v_cndmask_b32_e64 v58, v58, s9, s3
	v_cndmask_b32_e64 v57, v57, s8, s3
.LBB36_79:
	s_or_b32 exec_lo, exec_lo, s15
	s_delay_alu instid0(VALU_DEP_1) | instskip(SKIP_2) | instid1(VALU_DEP_2)
	v_cmp_lt_u64_e64 s3, v[57:58], v[59:60]
	v_add_lshl_u32 v3, v82, v0, 3
	s_mov_b32 s8, exec_lo
	v_cndmask_b32_e64 v2, v60, v58, s3
	v_cndmask_b32_e64 v1, v59, v57, s3
	s_delay_alu instid0(VALU_DEP_1) | instskip(NEXT) | instid1(VALU_DEP_1)
	v_cmp_lt_u64_e64 s3, v[1:2], v[61:62]
	v_cndmask_b32_e64 v2, v62, v2, s3
	v_cndmask_b32_e64 v1, v61, v1, s3
	s_delay_alu instid0(VALU_DEP_1) | instskip(NEXT) | instid1(VALU_DEP_1)
	v_cmp_lt_u64_e64 s3, v[1:2], v[63:64]
	;; [unrolled: 4-line block ×14, first 2 shown]
	v_cndmask_b32_e64 v18, v36, v2, s3
	v_cndmask_b32_e64 v17, v35, v1, s3
	ds_store_b64 v3, v[17:18]
	s_waitcnt lgkmcnt(0)
	s_barrier
	buffer_gl0_inv
	v_cmpx_gt_u32_e32 32, v0
	s_cbranch_execz .LBB36_91
; %bb.80:
	v_lshlrev_b32_e32 v1, 1, v0
	v_mbcnt_lo_u32_b32 v24, -1, 0
	s_mov_b32 s9, exec_lo
	s_delay_alu instid0(VALU_DEP_2) | instskip(NEXT) | instid1(VALU_DEP_2)
	v_and_b32_e32 v1, 0x1f8, v1
	v_and_b32_e32 v25, 15, v24
	s_delay_alu instid0(VALU_DEP_2)
	v_lshl_or_b32 v23, v0, 6, v1
	ds_load_2addr_b64 v[5:8], v23 offset1:1
	ds_load_2addr_b64 v[1:4], v23 offset0:2 offset1:3
	ds_load_2addr_b64 v[9:12], v23 offset0:4 offset1:5
	s_waitcnt lgkmcnt(2)
	v_cmp_lt_u64_e64 s3, v[5:6], v[7:8]
	s_delay_alu instid0(VALU_DEP_1) | instskip(SKIP_2) | instid1(VALU_DEP_1)
	v_cndmask_b32_e64 v14, v8, v6, s3
	v_cndmask_b32_e64 v13, v7, v5, s3
	s_waitcnt lgkmcnt(1)
	v_cmp_lt_u64_e64 s3, v[13:14], v[1:2]
	s_delay_alu instid0(VALU_DEP_1) | instskip(SKIP_1) | instid1(VALU_DEP_1)
	v_cndmask_b32_e64 v14, v2, v14, s3
	v_cndmask_b32_e64 v13, v1, v13, s3
	v_cmp_lt_u64_e64 s3, v[13:14], v[3:4]
	s_delay_alu instid0(VALU_DEP_1) | instskip(SKIP_4) | instid1(VALU_DEP_1)
	v_cndmask_b32_e64 v20, v4, v14, s3
	v_cndmask_b32_e64 v19, v3, v13, s3
	ds_load_2addr_b64 v[13:16], v23 offset0:6 offset1:7
	s_waitcnt lgkmcnt(1)
	v_cmp_lt_u64_e64 s3, v[19:20], v[9:10]
	v_cndmask_b32_e64 v20, v10, v20, s3
	v_cndmask_b32_e64 v19, v9, v19, s3
	s_delay_alu instid0(VALU_DEP_1) | instskip(NEXT) | instid1(VALU_DEP_1)
	v_cmp_lt_u64_e64 s3, v[19:20], v[11:12]
	v_cndmask_b32_e64 v20, v12, v20, s3
	v_cndmask_b32_e64 v19, v11, v19, s3
	s_waitcnt lgkmcnt(0)
	s_delay_alu instid0(VALU_DEP_1) | instskip(NEXT) | instid1(VALU_DEP_1)
	v_cmp_lt_u64_e64 s3, v[19:20], v[13:14]
	v_cndmask_b32_e64 v20, v14, v20, s3
	v_cndmask_b32_e64 v19, v13, v19, s3
	s_delay_alu instid0(VALU_DEP_1) | instskip(NEXT) | instid1(VALU_DEP_1)
	v_cmp_lt_u64_e64 s3, v[19:20], v[15:16]
	v_cndmask_b32_e64 v20, v16, v20, s3
	v_cndmask_b32_e64 v19, v15, v19, s3
	s_delay_alu instid0(VALU_DEP_2) | instskip(NEXT) | instid1(VALU_DEP_2)
	v_mov_b32_dpp v22, v20 row_shr:1 row_mask:0xf bank_mask:0xf
	v_mov_b32_dpp v21, v19 row_shr:1 row_mask:0xf bank_mask:0xf
	v_cmpx_ne_u32_e32 0, v25
; %bb.81:
	s_delay_alu instid0(VALU_DEP_2) | instskip(NEXT) | instid1(VALU_DEP_1)
	v_cmp_lt_u64_e64 s3, v[21:22], v[19:20]
	v_cndmask_b32_e64 v20, v20, v22, s3
	v_cndmask_b32_e64 v19, v19, v21, s3
; %bb.82:
	s_or_b32 exec_lo, exec_lo, s9
	s_delay_alu instid0(VALU_DEP_1) | instskip(NEXT) | instid1(VALU_DEP_3)
	v_mov_b32_dpp v21, v19 row_shr:2 row_mask:0xf bank_mask:0xf
	v_mov_b32_dpp v22, v20 row_shr:2 row_mask:0xf bank_mask:0xf
	s_mov_b32 s9, exec_lo
	v_cmpx_lt_u32_e32 1, v25
; %bb.83:
	s_delay_alu instid0(VALU_DEP_2) | instskip(NEXT) | instid1(VALU_DEP_1)
	v_cmp_lt_u64_e64 s3, v[21:22], v[19:20]
	v_cndmask_b32_e64 v20, v20, v22, s3
	v_cndmask_b32_e64 v19, v19, v21, s3
; %bb.84:
	s_or_b32 exec_lo, exec_lo, s9
	s_delay_alu instid0(VALU_DEP_1) | instskip(NEXT) | instid1(VALU_DEP_3)
	v_mov_b32_dpp v21, v19 row_shr:4 row_mask:0xf bank_mask:0xf
	v_mov_b32_dpp v22, v20 row_shr:4 row_mask:0xf bank_mask:0xf
	s_mov_b32 s9, exec_lo
	v_cmpx_lt_u32_e32 3, v25
	;; [unrolled: 12-line block ×3, first 2 shown]
; %bb.87:
	s_delay_alu instid0(VALU_DEP_2) | instskip(NEXT) | instid1(VALU_DEP_1)
	v_cmp_lt_u64_e64 s3, v[21:22], v[19:20]
	v_cndmask_b32_e64 v20, v20, v22, s3
	v_cndmask_b32_e64 v19, v19, v21, s3
; %bb.88:
	s_or_b32 exec_lo, exec_lo, s9
	ds_swizzle_b32 v21, v19 offset:swizzle(BROADCAST,32,15)
	ds_swizzle_b32 v22, v20 offset:swizzle(BROADCAST,32,15)
	v_and_b32_e32 v25, 16, v24
	s_mov_b32 s9, exec_lo
	s_delay_alu instid0(VALU_DEP_1)
	v_cmpx_ne_u32_e32 0, v25
	s_cbranch_execz .LBB36_90
; %bb.89:
	s_waitcnt lgkmcnt(0)
	v_cmp_lt_u64_e64 s3, v[21:22], v[19:20]
	s_delay_alu instid0(VALU_DEP_1)
	v_cndmask_b32_e64 v19, v19, v21, s3
	v_cndmask_b32_e64 v20, v20, v22, s3
.LBB36_90:
	s_or_b32 exec_lo, exec_lo, s9
	s_waitcnt lgkmcnt(1)
	v_add_nc_u32_e32 v21, -1, v24
	s_delay_alu instid0(VALU_DEP_1) | instskip(NEXT) | instid1(VALU_DEP_1)
	v_cmp_gt_i32_e64 s3, 0, v21
	v_cndmask_b32_e64 v21, v21, v24, s3
	s_delay_alu instid0(VALU_DEP_1) | instskip(SKIP_4) | instid1(VALU_DEP_1)
	v_lshlrev_b32_e32 v21, 2, v21
	ds_bpermute_b32 v19, v21, v19
	ds_bpermute_b32 v20, v21, v20
	s_waitcnt lgkmcnt(0)
	v_cmp_lt_u64_e64 s3, v[19:20], v[5:6]
	v_cndmask_b32_e64 v5, v5, v19, s3
	v_cndmask_b32_e64 v6, v6, v20, s3
	s_delay_alu instid0(VALU_DEP_1) | instskip(NEXT) | instid1(VALU_DEP_1)
	v_dual_cndmask_b32 v5, v5, v17 :: v_dual_cndmask_b32 v6, v6, v18
	v_cmp_lt_u64_e64 s3, v[5:6], v[7:8]
	s_delay_alu instid0(VALU_DEP_1) | instskip(SKIP_1) | instid1(VALU_DEP_1)
	v_cndmask_b32_e64 v8, v8, v6, s3
	v_cndmask_b32_e64 v7, v7, v5, s3
	v_cmp_lt_u64_e64 s3, v[7:8], v[1:2]
	s_delay_alu instid0(VALU_DEP_1) | instskip(SKIP_1) | instid1(VALU_DEP_1)
	v_cndmask_b32_e64 v2, v2, v8, s3
	v_cndmask_b32_e64 v1, v1, v7, s3
	;; [unrolled: 4-line block ×6, first 2 shown]
	v_cmp_lt_u64_e64 s3, v[13:14], v[15:16]
	s_delay_alu instid0(VALU_DEP_1)
	v_cndmask_b32_e64 v16, v16, v14, s3
	v_cndmask_b32_e64 v15, v15, v13, s3
	ds_store_2addr_b64 v23, v[5:6], v[7:8] offset1:1
	ds_store_2addr_b64 v23, v[1:2], v[3:4] offset0:2 offset1:3
	ds_store_2addr_b64 v23, v[9:10], v[11:12] offset0:4 offset1:5
	;; [unrolled: 1-line block ×3, first 2 shown]
.LBB36_91:
	s_or_b32 exec_lo, exec_lo, s8
	s_waitcnt lgkmcnt(0)
	s_barrier
	buffer_gl0_inv
	s_and_saveexec_b32 s3, s2
	s_cbranch_execz .LBB36_93
; %bb.92:
	v_add_nc_u32_e32 v1, -1, v0
	s_delay_alu instid0(VALU_DEP_1) | instskip(NEXT) | instid1(VALU_DEP_1)
	v_lshrrev_b32_e32 v2, 5, v1
	v_add_lshl_u32 v1, v2, v1, 3
	ds_load_b64 v[17:18], v1
.LBB36_93:
	s_or_b32 exec_lo, exec_lo, s3
	s_waitcnt lgkmcnt(0)
	v_cmp_lt_u64_e64 s2, v[17:18], v[57:58]
	s_delay_alu instid0(VALU_DEP_1) | instskip(SKIP_1) | instid1(VALU_DEP_1)
	v_cndmask_b32_e64 v1, v57, v17, s2
	v_cndmask_b32_e64 v2, v58, v18, s2
	v_dual_cndmask_b32 v1, v1, v57 :: v_dual_cndmask_b32 v2, v2, v58
	s_delay_alu instid0(VALU_DEP_1) | instskip(NEXT) | instid1(VALU_DEP_1)
	v_cmp_lt_u64_e64 s2, v[1:2], v[59:60]
	v_cndmask_b32_e64 v4, v60, v2, s2
	v_cndmask_b32_e64 v3, v59, v1, s2
	s_delay_alu instid0(VALU_DEP_1) | instskip(NEXT) | instid1(VALU_DEP_1)
	v_cmp_lt_u64_e64 s2, v[3:4], v[61:62]
	v_cndmask_b32_e64 v6, v62, v4, s2
	v_cndmask_b32_e64 v5, v61, v3, s2
	;; [unrolled: 4-line block ×15, first 2 shown]
	s_and_saveexec_b32 s2, vcc_lo
	s_cbranch_execz .LBB36_95
; %bb.94:
	v_dual_mov_b32 v36, 0 :: v_dual_mov_b32 v35, 2
	s_add_u32 s4, s4, 0x200
	s_addc_u32 s5, s5, 0
	s_delay_alu instid0(SALU_CYCLE_1)
	v_dual_mov_b32 v38, s5 :: v_dual_mov_b32 v37, s4
	ds_load_b64 v[33:34], v36 offset:2096
	s_waitcnt lgkmcnt(0)
	;;#ASMSTART
	global_store_dwordx4 v[37:38], v[33:36] off	
s_waitcnt vmcnt(0)
	;;#ASMEND
.LBB36_95:
	s_or_b32 exec_lo, exec_lo, s2
.LBB36_96:
	v_lshlrev_b32_e32 v33, 7, v0
	s_add_u32 s2, s6, s12
	s_addc_u32 s3, s7, s13
	s_and_b32 vcc_lo, exec_lo, s17
	s_mov_b32 s4, -1
	s_waitcnt lgkmcnt(0)
	s_barrier
	buffer_gl0_inv
	s_cbranch_vccz .LBB36_98
; %bb.97:
	v_lshl_add_u32 v34, v81, 3, v33
	v_lshrrev_b32_e32 v35, 5, v78
	v_lshrrev_b32_e32 v36, 5, v77
	v_add_lshl_u32 v37, v82, v0, 3
	v_lshrrev_b32_e32 v51, 5, v71
	ds_store_2addr_b64 v34, v[1:2], v[3:4] offset1:1
	ds_store_2addr_b64 v34, v[5:6], v[7:8] offset0:2 offset1:3
	ds_store_2addr_b64 v34, v[9:10], v[11:12] offset0:4 offset1:5
	;; [unrolled: 1-line block ×7, first 2 shown]
	v_lshrrev_b32_e32 v34, 5, v79
	v_add_lshl_u32 v39, v35, v0, 3
	v_add_lshl_u32 v40, v36, v0, 3
	s_waitcnt lgkmcnt(0)
	s_barrier
	v_add_lshl_u32 v38, v34, v0, 3
	buffer_gl0_inv
	v_lshrrev_b32_e32 v52, 5, v70
	ds_load_b64 v[34:35], v37
	ds_load_b64 v[36:37], v38 offset:2048
	ds_load_b64 v[38:39], v39 offset:4096
	;; [unrolled: 1-line block ×3, first 2 shown]
	v_lshrrev_b32_e32 v42, 5, v76
	v_lshrrev_b32_e32 v50, 5, v72
	;; [unrolled: 1-line block ×5, first 2 shown]
	v_add_lshl_u32 v53, v51, v0, 3
	v_lshrrev_b32_e32 v51, 5, v69
	v_add_lshl_u32 v54, v52, v0, 3
	v_lshrrev_b32_e32 v52, 5, v68
	v_lshrrev_b32_e32 v55, 5, v67
	;; [unrolled: 1-line block ×4, first 2 shown]
	v_add_lshl_u32 v42, v42, v0, 3
	v_add_lshl_u32 v50, v50, v0, 3
	;; [unrolled: 1-line block ×10, first 2 shown]
	ds_load_b64 v[42:43], v42 offset:8192
	ds_load_b64 v[44:45], v46 offset:10240
	ds_load_b64 v[46:47], v47 offset:12288
	ds_load_b64 v[48:49], v48 offset:14336
	ds_load_b64 v[50:51], v50 offset:16384
	ds_load_b64 v[52:53], v53 offset:18432
	ds_load_b64 v[54:55], v54 offset:20480
	ds_load_b64 v[56:57], v58 offset:22528
	ds_load_b64 v[58:59], v59 offset:24576
	ds_load_b64 v[60:61], v60 offset:26624
	ds_load_b64 v[62:63], v62 offset:28672
	ds_load_b64 v[83:84], v64 offset:30720
	v_add_co_u32 v64, s5, s2, v80
	s_delay_alu instid0(VALU_DEP_1)
	v_add_co_ci_u32_e64 v95, null, s3, 0, s5
	s_waitcnt lgkmcnt(14)
	global_store_b64 v80, v[36:37], s[2:3] offset:2048
	v_add_co_u32 v36, vcc_lo, 0x1000, v64
	v_add_co_ci_u32_e32 v37, vcc_lo, 0, v95, vcc_lo
	v_add_co_u32 v85, vcc_lo, v64, 0x2000
	v_add_co_ci_u32_e32 v86, vcc_lo, 0, v95, vcc_lo
	;; [unrolled: 2-line block ×6, first 2 shown]
	s_waitcnt lgkmcnt(13)
	global_store_b64 v[85:86], v[38:39], off offset:-4096
	s_waitcnt lgkmcnt(11)
	global_store_b64 v[85:86], v[42:43], off
	s_waitcnt lgkmcnt(9)
	global_store_b64 v[91:92], v[46:47], off offset:-4096
	s_waitcnt lgkmcnt(7)
	s_clause 0x3
	global_store_b64 v[91:92], v[50:51], off
	global_store_b64 v[36:37], v[40:41], off offset:2048
	global_store_b64 v[87:88], v[44:45], off offset:2048
	;; [unrolled: 1-line block ×3, first 2 shown]
	s_waitcnt lgkmcnt(6)
	global_store_b64 v[93:94], v[52:53], off offset:2048
	v_add_co_u32 v36, vcc_lo, v64, 0x6000
	v_add_co_ci_u32_e32 v37, vcc_lo, 0, v95, vcc_lo
	v_add_co_u32 v38, vcc_lo, 0x5000, v64
	v_add_co_ci_u32_e32 v39, vcc_lo, 0, v95, vcc_lo
	;; [unrolled: 2-line block ×4, first 2 shown]
	s_mov_b32 s4, 0
	s_waitcnt lgkmcnt(5)
	s_clause 0x1
	global_store_b64 v[36:37], v[54:55], off offset:-4096
	global_store_b64 v80, v[34:35], s[2:3]
	s_waitcnt lgkmcnt(3)
	s_clause 0x1
	global_store_b64 v[36:37], v[58:59], off
	global_store_b64 v[38:39], v[56:57], off offset:2048
	s_waitcnt lgkmcnt(2)
	global_store_b64 v[40:41], v[60:61], off offset:2048
	s_waitcnt lgkmcnt(1)
	global_store_b64 v[42:43], v[62:63], off
	s_waitcnt lgkmcnt(0)
	global_store_b64 v[42:43], v[83:84], off offset:2048
.LBB36_98:
	s_and_not1_b32 vcc_lo, exec_lo, s4
	s_cbranch_vccnz .LBB36_171
; %bb.99:
	v_lshl_add_u32 v33, v81, 3, v33
	v_add_co_u32 v34, s2, s2, v80
	s_delay_alu instid0(VALU_DEP_1)
	v_add_co_ci_u32_e64 v35, null, s3, 0, s2
	ds_store_2addr_b64 v33, v[1:2], v[3:4] offset1:1
	ds_store_2addr_b64 v33, v[5:6], v[7:8] offset0:2 offset1:3
	ds_store_2addr_b64 v33, v[9:10], v[11:12] offset0:4 offset1:5
	;; [unrolled: 1-line block ×7, first 2 shown]
	v_lshrrev_b32_e32 v1, 5, v79
	v_lshrrev_b32_e32 v2, 5, v78
	;; [unrolled: 1-line block ×3, first 2 shown]
	v_add_lshl_u32 v4, v82, v0, 3
	v_lshrrev_b32_e32 v10, 5, v76
	v_add_lshl_u32 v1, v1, v0, 3
	v_lshrrev_b32_e32 v11, 5, v75
	;; [unrolled: 2-line block ×4, first 2 shown]
	s_waitcnt lgkmcnt(0)
	s_waitcnt_vscnt null, 0x0
	s_barrier
	buffer_gl0_inv
	ds_load_b64 v[4:5], v4
	ds_load_b64 v[2:3], v1 offset:2048
	ds_load_b64 v[6:7], v6 offset:4096
	;; [unrolled: 1-line block ×3, first 2 shown]
	v_add_lshl_u32 v1, v10, v0, 3
	v_lshrrev_b32_e32 v18, 5, v72
	v_add_lshl_u32 v14, v11, v0, 3
	v_lshrrev_b32_e32 v19, 5, v71
	v_lshrrev_b32_e32 v20, 5, v70
	v_add_lshl_u32 v15, v12, v0, 3
	v_add_lshl_u32 v16, v13, v0, 3
	ds_load_b64 v[10:11], v1 offset:8192
	ds_load_b64 v[12:13], v14 offset:10240
	;; [unrolled: 1-line block ×4, first 2 shown]
	v_add_lshl_u32 v1, v18, v0, 3
	v_lshrrev_b32_e32 v18, 5, v69
	v_add_lshl_u32 v21, v19, v0, 3
	v_add_lshl_u32 v22, v20, v0, 3
	v_lshrrev_b32_e32 v19, 5, v68
	v_lshrrev_b32_e32 v20, 5, v67
	;; [unrolled: 1-line block ×4, first 2 shown]
	v_add_lshl_u32 v25, v18, v0, 3
	v_add_lshl_u32 v26, v19, v0, 3
	;; [unrolled: 1-line block ×5, first 2 shown]
	ds_load_b64 v[18:19], v1 offset:16384
	ds_load_b64 v[20:21], v21 offset:18432
	;; [unrolled: 1-line block ×8, first 2 shown]
	v_mov_b32_e32 v1, 0
	s_mov_b32 s2, exec_lo
	v_cmpx_gt_u32_e64 s14, v0
	s_cbranch_execnz .LBB36_187
; %bb.100:
	s_or_b32 exec_lo, exec_lo, s2
	s_delay_alu instid0(SALU_CYCLE_1)
	s_mov_b32 s2, exec_lo
	v_cmpx_gt_u32_e64 s14, v79
	s_cbranch_execnz .LBB36_188
.LBB36_101:
	s_or_b32 exec_lo, exec_lo, s2
	s_delay_alu instid0(SALU_CYCLE_1)
	s_mov_b32 s2, exec_lo
	v_cmpx_gt_u32_e64 s14, v78
	s_cbranch_execnz .LBB36_189
.LBB36_102:
	s_or_b32 exec_lo, exec_lo, s2
	s_delay_alu instid0(SALU_CYCLE_1)
	s_mov_b32 s2, exec_lo
	v_cmpx_gt_u32_e64 s14, v77
	s_cbranch_execnz .LBB36_190
.LBB36_103:
	s_or_b32 exec_lo, exec_lo, s2
	s_delay_alu instid0(SALU_CYCLE_1)
	s_mov_b32 s2, exec_lo
	v_cmpx_gt_u32_e64 s14, v76
	s_cbranch_execnz .LBB36_191
.LBB36_104:
	s_or_b32 exec_lo, exec_lo, s2
	s_delay_alu instid0(SALU_CYCLE_1)
	s_mov_b32 s2, exec_lo
	v_cmpx_gt_u32_e64 s14, v75
	s_cbranch_execnz .LBB36_192
.LBB36_105:
	s_or_b32 exec_lo, exec_lo, s2
	s_delay_alu instid0(SALU_CYCLE_1)
	s_mov_b32 s2, exec_lo
	v_cmpx_gt_u32_e64 s14, v74
	s_cbranch_execnz .LBB36_193
.LBB36_106:
	s_or_b32 exec_lo, exec_lo, s2
	s_delay_alu instid0(SALU_CYCLE_1)
	s_mov_b32 s2, exec_lo
	v_cmpx_gt_u32_e64 s14, v73
	s_cbranch_execnz .LBB36_194
.LBB36_107:
	s_or_b32 exec_lo, exec_lo, s2
	s_delay_alu instid0(SALU_CYCLE_1)
	s_mov_b32 s2, exec_lo
	v_cmpx_gt_u32_e64 s14, v72
	s_cbranch_execnz .LBB36_195
.LBB36_108:
	s_or_b32 exec_lo, exec_lo, s2
	s_delay_alu instid0(SALU_CYCLE_1)
	s_mov_b32 s2, exec_lo
	v_cmpx_gt_u32_e64 s14, v71
	s_cbranch_execnz .LBB36_196
.LBB36_109:
	s_or_b32 exec_lo, exec_lo, s2
	s_delay_alu instid0(SALU_CYCLE_1)
	s_mov_b32 s2, exec_lo
	v_cmpx_gt_u32_e64 s14, v70
	s_cbranch_execnz .LBB36_197
.LBB36_110:
	s_or_b32 exec_lo, exec_lo, s2
	s_delay_alu instid0(SALU_CYCLE_1)
	s_mov_b32 s2, exec_lo
	v_cmpx_gt_u32_e64 s14, v69
	s_cbranch_execnz .LBB36_198
.LBB36_111:
	s_or_b32 exec_lo, exec_lo, s2
	s_delay_alu instid0(SALU_CYCLE_1)
	s_mov_b32 s2, exec_lo
	v_cmpx_gt_u32_e64 s14, v68
	s_cbranch_execnz .LBB36_199
.LBB36_112:
	s_or_b32 exec_lo, exec_lo, s2
	s_delay_alu instid0(SALU_CYCLE_1)
	s_mov_b32 s2, exec_lo
	v_cmpx_gt_u32_e64 s14, v67
	s_cbranch_execnz .LBB36_200
.LBB36_113:
	s_or_b32 exec_lo, exec_lo, s2
	s_delay_alu instid0(SALU_CYCLE_1)
	s_mov_b32 s2, exec_lo
	v_cmpx_gt_u32_e64 s14, v66
	s_cbranch_execnz .LBB36_201
.LBB36_114:
	s_or_b32 exec_lo, exec_lo, s2
	s_delay_alu instid0(SALU_CYCLE_1)
	s_mov_b32 s2, exec_lo
	v_cmpx_gt_u32_e64 s14, v65
	s_cbranch_execz .LBB36_116
.LBB36_115:
	v_add_co_u32 v34, vcc_lo, 0x7000, v34
	v_add_co_ci_u32_e32 v35, vcc_lo, 0, v35, vcc_lo
	s_waitcnt lgkmcnt(0)
	global_store_b64 v[34:35], v[32:33], off offset:2048
.LBB36_116:
	s_or_b32 exec_lo, exec_lo, s2
	s_load_b32 s0, s[0:1], 0x48
	s_waitcnt lgkmcnt(0)
	s_bfe_u32 s0, s0, 0x10008
	s_delay_alu instid0(SALU_CYCLE_1)
	s_cmp_eq_u32 s0, 0
	s_cbranch_scc1 .LBB36_171
; %bb.117:
	s_add_u32 s0, s14, -1
	s_addc_u32 s1, s16, -1
	s_delay_alu instid0(SALU_CYCLE_1)
	s_lshr_b64 s[2:3], s[0:1], 4
	s_mov_b32 s1, exec_lo
	v_cmpx_eq_u64_e64 s[2:3], v[0:1]
	s_cbranch_execz .LBB36_171
; %bb.118:
	s_and_b32 s0, s0, 15
	s_mov_b32 s1, 0
	s_delay_alu instid0(SALU_CYCLE_1) | instskip(NEXT) | instid1(VALU_DEP_1)
	v_cmp_lt_i64_e64 s2, s[0:1], 8
	s_and_b32 vcc_lo, exec_lo, s2
	s_mov_b32 s2, -1
	s_cbranch_vccnz .LBB36_145
; %bb.119:
	v_cmp_lt_i64_e64 s2, s[0:1], 12
	s_delay_alu instid0(VALU_DEP_1)
	s_and_b32 vcc_lo, exec_lo, s2
	s_mov_b32 s2, -1
	s_cbranch_vccnz .LBB36_132
; %bb.120:
	v_cmp_lt_i64_e64 s2, s[0:1], 14
	s_delay_alu instid0(VALU_DEP_1)
	s_and_b32 vcc_lo, exec_lo, s2
	s_mov_b32 s2, -1
	s_cbranch_vccnz .LBB36_126
; %bb.121:
	v_cmp_gt_i64_e64 s2, s[0:1], 14
	s_delay_alu instid0(VALU_DEP_1)
	s_and_b32 vcc_lo, exec_lo, s2
	s_mov_b32 s2, -1
	s_cbranch_vccz .LBB36_123
; %bb.122:
	v_mov_b32_e32 v0, 0
	s_mov_b32 s2, 0
	global_store_b64 v0, v[32:33], s[10:11]
.LBB36_123:
	s_and_not1_b32 vcc_lo, exec_lo, s2
	s_cbranch_vccnz .LBB36_125
; %bb.124:
	v_mov_b32_e32 v0, 0
	global_store_b64 v0, v[30:31], s[10:11]
.LBB36_125:
	s_mov_b32 s2, 0
.LBB36_126:
	s_delay_alu instid0(SALU_CYCLE_1)
	s_and_not1_b32 vcc_lo, exec_lo, s2
	s_cbranch_vccnz .LBB36_131
; %bb.127:
	v_cmp_gt_i64_e64 s2, s[0:1], 12
	s_delay_alu instid0(VALU_DEP_1)
	s_and_b32 vcc_lo, exec_lo, s2
	s_mov_b32 s2, -1
	s_cbranch_vccz .LBB36_129
; %bb.128:
	v_mov_b32_e32 v0, 0
	s_mov_b32 s2, 0
	global_store_b64 v0, v[28:29], s[10:11]
.LBB36_129:
	s_and_not1_b32 vcc_lo, exec_lo, s2
	s_cbranch_vccnz .LBB36_131
; %bb.130:
	v_mov_b32_e32 v0, 0
	global_store_b64 v0, v[26:27], s[10:11]
.LBB36_131:
	s_mov_b32 s2, 0
.LBB36_132:
	s_delay_alu instid0(SALU_CYCLE_1)
	s_and_not1_b32 vcc_lo, exec_lo, s2
	s_cbranch_vccnz .LBB36_144
; %bb.133:
	v_cmp_lt_i64_e64 s2, s[0:1], 10
	s_delay_alu instid0(VALU_DEP_1)
	s_and_b32 vcc_lo, exec_lo, s2
	s_mov_b32 s2, -1
	s_cbranch_vccnz .LBB36_139
; %bb.134:
	v_cmp_gt_i64_e64 s2, s[0:1], 10
	s_delay_alu instid0(VALU_DEP_1)
	s_and_b32 vcc_lo, exec_lo, s2
	s_mov_b32 s2, -1
	s_cbranch_vccz .LBB36_136
; %bb.135:
	v_mov_b32_e32 v0, 0
	s_mov_b32 s2, 0
	global_store_b64 v0, v[24:25], s[10:11]
.LBB36_136:
	s_and_not1_b32 vcc_lo, exec_lo, s2
	s_cbranch_vccnz .LBB36_138
; %bb.137:
	v_mov_b32_e32 v0, 0
	global_store_b64 v0, v[22:23], s[10:11]
.LBB36_138:
	s_mov_b32 s2, 0
.LBB36_139:
	s_delay_alu instid0(SALU_CYCLE_1)
	s_and_not1_b32 vcc_lo, exec_lo, s2
	s_cbranch_vccnz .LBB36_144
; %bb.140:
	v_cmp_gt_i64_e64 s2, s[0:1], 8
	s_delay_alu instid0(VALU_DEP_1)
	s_and_b32 vcc_lo, exec_lo, s2
	s_mov_b32 s2, -1
	s_cbranch_vccz .LBB36_142
; %bb.141:
	v_mov_b32_e32 v0, 0
	s_mov_b32 s2, 0
	global_store_b64 v0, v[20:21], s[10:11]
.LBB36_142:
	s_and_not1_b32 vcc_lo, exec_lo, s2
	s_cbranch_vccnz .LBB36_144
; %bb.143:
	v_mov_b32_e32 v0, 0
	global_store_b64 v0, v[18:19], s[10:11]
.LBB36_144:
	s_mov_b32 s2, 0
.LBB36_145:
	s_delay_alu instid0(SALU_CYCLE_1)
	s_and_not1_b32 vcc_lo, exec_lo, s2
	s_cbranch_vccnz .LBB36_171
; %bb.146:
	v_cmp_lt_i64_e64 s2, s[0:1], 4
	s_delay_alu instid0(VALU_DEP_1)
	s_and_b32 vcc_lo, exec_lo, s2
	s_mov_b32 s2, -1
	s_cbranch_vccnz .LBB36_159
; %bb.147:
	v_cmp_lt_i64_e64 s2, s[0:1], 6
	s_delay_alu instid0(VALU_DEP_1)
	s_and_b32 vcc_lo, exec_lo, s2
	s_mov_b32 s2, -1
	s_cbranch_vccnz .LBB36_153
; %bb.148:
	v_cmp_gt_i64_e64 s2, s[0:1], 6
	s_delay_alu instid0(VALU_DEP_1)
	s_and_b32 vcc_lo, exec_lo, s2
	s_mov_b32 s2, -1
	s_cbranch_vccz .LBB36_150
; %bb.149:
	v_mov_b32_e32 v0, 0
	s_mov_b32 s2, 0
	global_store_b64 v0, v[16:17], s[10:11]
.LBB36_150:
	s_and_not1_b32 vcc_lo, exec_lo, s2
	s_cbranch_vccnz .LBB36_152
; %bb.151:
	v_mov_b32_e32 v0, 0
	global_store_b64 v0, v[14:15], s[10:11]
.LBB36_152:
	s_mov_b32 s2, 0
.LBB36_153:
	s_delay_alu instid0(SALU_CYCLE_1)
	s_and_not1_b32 vcc_lo, exec_lo, s2
	s_cbranch_vccnz .LBB36_158
; %bb.154:
	v_cmp_gt_i64_e64 s2, s[0:1], 4
	s_delay_alu instid0(VALU_DEP_1)
	s_and_b32 vcc_lo, exec_lo, s2
	s_mov_b32 s2, -1
	s_cbranch_vccz .LBB36_156
; %bb.155:
	v_mov_b32_e32 v0, 0
	s_mov_b32 s2, 0
	global_store_b64 v0, v[12:13], s[10:11]
.LBB36_156:
	s_and_not1_b32 vcc_lo, exec_lo, s2
	s_cbranch_vccnz .LBB36_158
; %bb.157:
	v_mov_b32_e32 v0, 0
	global_store_b64 v0, v[10:11], s[10:11]
.LBB36_158:
	s_mov_b32 s2, 0
.LBB36_159:
	s_delay_alu instid0(SALU_CYCLE_1)
	s_and_not1_b32 vcc_lo, exec_lo, s2
	s_cbranch_vccnz .LBB36_171
; %bb.160:
	v_cmp_lt_i64_e64 s2, s[0:1], 2
	s_delay_alu instid0(VALU_DEP_1)
	s_and_b32 vcc_lo, exec_lo, s2
	s_mov_b32 s2, -1
	s_cbranch_vccnz .LBB36_166
; %bb.161:
	v_cmp_gt_i64_e64 s2, s[0:1], 2
	s_delay_alu instid0(VALU_DEP_1)
	s_and_b32 vcc_lo, exec_lo, s2
	s_mov_b32 s2, -1
	s_cbranch_vccz .LBB36_163
; %bb.162:
	v_mov_b32_e32 v0, 0
	s_mov_b32 s2, 0
	global_store_b64 v0, v[8:9], s[10:11]
.LBB36_163:
	s_and_not1_b32 vcc_lo, exec_lo, s2
	s_cbranch_vccnz .LBB36_165
; %bb.164:
	v_mov_b32_e32 v0, 0
	global_store_b64 v0, v[6:7], s[10:11]
.LBB36_165:
	s_mov_b32 s2, 0
.LBB36_166:
	s_delay_alu instid0(SALU_CYCLE_1)
	s_and_not1_b32 vcc_lo, exec_lo, s2
	s_cbranch_vccnz .LBB36_171
; %bb.167:
	s_cmp_eq_u64 s[0:1], 1
	s_mov_b32 s0, -1
	s_cbranch_scc1 .LBB36_169
; %bb.168:
	v_mov_b32_e32 v0, 0
	s_mov_b32 s0, 0
	global_store_b64 v0, v[4:5], s[10:11]
.LBB36_169:
	s_and_not1_b32 vcc_lo, exec_lo, s0
	s_cbranch_vccnz .LBB36_171
; %bb.170:
	v_mov_b32_e32 v0, 0
	global_store_b64 v0, v[2:3], s[10:11]
.LBB36_171:
	s_nop 0
	s_sendmsg sendmsg(MSG_DEALLOC_VGPRS)
	s_endpgm
.LBB36_172:
	global_load_b64 v[33:34], v[35:36], off
	v_dual_mov_b32 v1, s36 :: v_dual_mov_b32 v2, s37
	v_dual_mov_b32 v3, s38 :: v_dual_mov_b32 v4, s39
	;; [unrolled: 1-line block ×16, first 2 shown]
	s_or_b32 exec_lo, exec_lo, s3
	s_delay_alu instid0(SALU_CYCLE_1)
	s_mov_b32 s2, exec_lo
	v_cmpx_gt_u32_e64 s14, v79
	s_cbranch_execz .LBB36_5
.LBB36_173:
	global_load_b64 v[3:4], v[35:36], off offset:2048
	s_or_b32 exec_lo, exec_lo, s2
	s_delay_alu instid0(SALU_CYCLE_1)
	s_mov_b32 s2, exec_lo
	v_cmpx_gt_u32_e64 s14, v78
	s_cbranch_execz .LBB36_6
.LBB36_174:
	v_add_co_u32 v1, vcc_lo, 0x1000, v35
	v_add_co_ci_u32_e32 v2, vcc_lo, 0, v36, vcc_lo
	global_load_b64 v[5:6], v[1:2], off
	s_or_b32 exec_lo, exec_lo, s2
	s_delay_alu instid0(SALU_CYCLE_1)
	s_mov_b32 s2, exec_lo
	v_cmpx_gt_u32_e64 s14, v77
	s_cbranch_execz .LBB36_7
.LBB36_175:
	v_add_co_u32 v1, vcc_lo, 0x1000, v35
	v_add_co_ci_u32_e32 v2, vcc_lo, 0, v36, vcc_lo
	global_load_b64 v[7:8], v[1:2], off offset:2048
	s_or_b32 exec_lo, exec_lo, s2
	s_delay_alu instid0(SALU_CYCLE_1)
	s_mov_b32 s2, exec_lo
	v_cmpx_gt_u32_e64 s14, v76
	s_cbranch_execz .LBB36_8
.LBB36_176:
	v_add_co_u32 v1, vcc_lo, 0x2000, v35
	v_add_co_ci_u32_e32 v2, vcc_lo, 0, v36, vcc_lo
	global_load_b64 v[9:10], v[1:2], off
	s_or_b32 exec_lo, exec_lo, s2
	s_delay_alu instid0(SALU_CYCLE_1)
	s_mov_b32 s2, exec_lo
	v_cmpx_gt_u32_e64 s14, v75
	s_cbranch_execz .LBB36_9
.LBB36_177:
	v_add_co_u32 v1, vcc_lo, 0x2000, v35
	v_add_co_ci_u32_e32 v2, vcc_lo, 0, v36, vcc_lo
	global_load_b64 v[11:12], v[1:2], off offset:2048
	s_or_b32 exec_lo, exec_lo, s2
	s_delay_alu instid0(SALU_CYCLE_1)
	s_mov_b32 s2, exec_lo
	v_cmpx_gt_u32_e64 s14, v74
	s_cbranch_execz .LBB36_10
.LBB36_178:
	v_add_co_u32 v1, vcc_lo, 0x3000, v35
	v_add_co_ci_u32_e32 v2, vcc_lo, 0, v36, vcc_lo
	global_load_b64 v[13:14], v[1:2], off
	s_or_b32 exec_lo, exec_lo, s2
	s_delay_alu instid0(SALU_CYCLE_1)
	s_mov_b32 s2, exec_lo
	v_cmpx_gt_u32_e64 s14, v73
	s_cbranch_execz .LBB36_11
.LBB36_179:
	v_add_co_u32 v1, vcc_lo, 0x3000, v35
	v_add_co_ci_u32_e32 v2, vcc_lo, 0, v36, vcc_lo
	global_load_b64 v[15:16], v[1:2], off offset:2048
	s_or_b32 exec_lo, exec_lo, s2
	s_delay_alu instid0(SALU_CYCLE_1)
	s_mov_b32 s2, exec_lo
	v_cmpx_gt_u32_e64 s14, v72
	s_cbranch_execz .LBB36_12
.LBB36_180:
	v_add_co_u32 v1, vcc_lo, 0x4000, v35
	v_add_co_ci_u32_e32 v2, vcc_lo, 0, v36, vcc_lo
	global_load_b64 v[17:18], v[1:2], off
	s_or_b32 exec_lo, exec_lo, s2
	s_delay_alu instid0(SALU_CYCLE_1)
	s_mov_b32 s2, exec_lo
	v_cmpx_gt_u32_e64 s14, v71
	s_cbranch_execz .LBB36_13
.LBB36_181:
	v_add_co_u32 v1, vcc_lo, 0x4000, v35
	v_add_co_ci_u32_e32 v2, vcc_lo, 0, v36, vcc_lo
	global_load_b64 v[19:20], v[1:2], off offset:2048
	s_or_b32 exec_lo, exec_lo, s2
	s_delay_alu instid0(SALU_CYCLE_1)
	s_mov_b32 s2, exec_lo
	v_cmpx_gt_u32_e64 s14, v70
	s_cbranch_execz .LBB36_14
.LBB36_182:
	v_add_co_u32 v1, vcc_lo, 0x5000, v35
	v_add_co_ci_u32_e32 v2, vcc_lo, 0, v36, vcc_lo
	global_load_b64 v[21:22], v[1:2], off
	s_or_b32 exec_lo, exec_lo, s2
	s_delay_alu instid0(SALU_CYCLE_1)
	s_mov_b32 s2, exec_lo
	v_cmpx_gt_u32_e64 s14, v69
	s_cbranch_execz .LBB36_15
.LBB36_183:
	v_add_co_u32 v1, vcc_lo, 0x5000, v35
	v_add_co_ci_u32_e32 v2, vcc_lo, 0, v36, vcc_lo
	global_load_b64 v[23:24], v[1:2], off offset:2048
	s_or_b32 exec_lo, exec_lo, s2
	s_delay_alu instid0(SALU_CYCLE_1)
	s_mov_b32 s2, exec_lo
	v_cmpx_gt_u32_e64 s14, v68
	s_cbranch_execz .LBB36_16
.LBB36_184:
	v_add_co_u32 v1, vcc_lo, 0x6000, v35
	v_add_co_ci_u32_e32 v2, vcc_lo, 0, v36, vcc_lo
	global_load_b64 v[25:26], v[1:2], off
	s_or_b32 exec_lo, exec_lo, s2
	s_delay_alu instid0(SALU_CYCLE_1)
	s_mov_b32 s2, exec_lo
	v_cmpx_gt_u32_e64 s14, v67
	s_cbranch_execz .LBB36_17
.LBB36_185:
	v_add_co_u32 v1, vcc_lo, 0x6000, v35
	v_add_co_ci_u32_e32 v2, vcc_lo, 0, v36, vcc_lo
	global_load_b64 v[27:28], v[1:2], off offset:2048
	s_or_b32 exec_lo, exec_lo, s2
	s_delay_alu instid0(SALU_CYCLE_1)
	s_mov_b32 s2, exec_lo
	v_cmpx_gt_u32_e64 s14, v66
	s_cbranch_execz .LBB36_18
.LBB36_186:
	v_add_co_u32 v1, vcc_lo, 0x7000, v35
	v_add_co_ci_u32_e32 v2, vcc_lo, 0, v36, vcc_lo
	global_load_b64 v[29:30], v[1:2], off
	s_or_b32 exec_lo, exec_lo, s2
	s_delay_alu instid0(SALU_CYCLE_1)
	s_mov_b32 s2, exec_lo
	v_cmpx_gt_u32_e64 s14, v65
	s_cbranch_execnz .LBB36_19
	s_branch .LBB36_20
.LBB36_187:
	s_waitcnt lgkmcnt(15)
	global_store_b64 v[34:35], v[4:5], off
	s_or_b32 exec_lo, exec_lo, s2
	s_delay_alu instid0(SALU_CYCLE_1)
	s_mov_b32 s2, exec_lo
	v_cmpx_gt_u32_e64 s14, v79
	s_cbranch_execz .LBB36_101
.LBB36_188:
	s_waitcnt lgkmcnt(14)
	global_store_b64 v[34:35], v[2:3], off offset:2048
	s_or_b32 exec_lo, exec_lo, s2
	s_delay_alu instid0(SALU_CYCLE_1)
	s_mov_b32 s2, exec_lo
	v_cmpx_gt_u32_e64 s14, v78
	s_cbranch_execz .LBB36_102
.LBB36_189:
	v_add_co_u32 v36, vcc_lo, 0x1000, v34
	v_add_co_ci_u32_e32 v37, vcc_lo, 0, v35, vcc_lo
	s_waitcnt lgkmcnt(13)
	global_store_b64 v[36:37], v[6:7], off
	s_or_b32 exec_lo, exec_lo, s2
	s_delay_alu instid0(SALU_CYCLE_1)
	s_mov_b32 s2, exec_lo
	v_cmpx_gt_u32_e64 s14, v77
	s_cbranch_execz .LBB36_103
.LBB36_190:
	v_add_co_u32 v36, vcc_lo, 0x1000, v34
	v_add_co_ci_u32_e32 v37, vcc_lo, 0, v35, vcc_lo
	s_waitcnt lgkmcnt(12)
	global_store_b64 v[36:37], v[8:9], off offset:2048
	s_or_b32 exec_lo, exec_lo, s2
	s_delay_alu instid0(SALU_CYCLE_1)
	s_mov_b32 s2, exec_lo
	v_cmpx_gt_u32_e64 s14, v76
	s_cbranch_execz .LBB36_104
.LBB36_191:
	v_add_co_u32 v36, vcc_lo, 0x2000, v34
	v_add_co_ci_u32_e32 v37, vcc_lo, 0, v35, vcc_lo
	s_waitcnt lgkmcnt(11)
	global_store_b64 v[36:37], v[10:11], off
	s_or_b32 exec_lo, exec_lo, s2
	s_delay_alu instid0(SALU_CYCLE_1)
	s_mov_b32 s2, exec_lo
	v_cmpx_gt_u32_e64 s14, v75
	s_cbranch_execz .LBB36_105
.LBB36_192:
	v_add_co_u32 v36, vcc_lo, 0x2000, v34
	v_add_co_ci_u32_e32 v37, vcc_lo, 0, v35, vcc_lo
	s_waitcnt lgkmcnt(10)
	global_store_b64 v[36:37], v[12:13], off offset:2048
	s_or_b32 exec_lo, exec_lo, s2
	s_delay_alu instid0(SALU_CYCLE_1)
	s_mov_b32 s2, exec_lo
	v_cmpx_gt_u32_e64 s14, v74
	s_cbranch_execz .LBB36_106
.LBB36_193:
	v_add_co_u32 v36, vcc_lo, 0x3000, v34
	v_add_co_ci_u32_e32 v37, vcc_lo, 0, v35, vcc_lo
	s_waitcnt lgkmcnt(9)
	global_store_b64 v[36:37], v[14:15], off
	s_or_b32 exec_lo, exec_lo, s2
	s_delay_alu instid0(SALU_CYCLE_1)
	s_mov_b32 s2, exec_lo
	v_cmpx_gt_u32_e64 s14, v73
	s_cbranch_execz .LBB36_107
.LBB36_194:
	v_add_co_u32 v36, vcc_lo, 0x3000, v34
	v_add_co_ci_u32_e32 v37, vcc_lo, 0, v35, vcc_lo
	s_waitcnt lgkmcnt(8)
	global_store_b64 v[36:37], v[16:17], off offset:2048
	s_or_b32 exec_lo, exec_lo, s2
	s_delay_alu instid0(SALU_CYCLE_1)
	s_mov_b32 s2, exec_lo
	v_cmpx_gt_u32_e64 s14, v72
	s_cbranch_execz .LBB36_108
.LBB36_195:
	v_add_co_u32 v36, vcc_lo, 0x4000, v34
	v_add_co_ci_u32_e32 v37, vcc_lo, 0, v35, vcc_lo
	s_waitcnt lgkmcnt(7)
	global_store_b64 v[36:37], v[18:19], off
	s_or_b32 exec_lo, exec_lo, s2
	s_delay_alu instid0(SALU_CYCLE_1)
	s_mov_b32 s2, exec_lo
	v_cmpx_gt_u32_e64 s14, v71
	s_cbranch_execz .LBB36_109
.LBB36_196:
	v_add_co_u32 v36, vcc_lo, 0x4000, v34
	v_add_co_ci_u32_e32 v37, vcc_lo, 0, v35, vcc_lo
	s_waitcnt lgkmcnt(6)
	global_store_b64 v[36:37], v[20:21], off offset:2048
	s_or_b32 exec_lo, exec_lo, s2
	s_delay_alu instid0(SALU_CYCLE_1)
	s_mov_b32 s2, exec_lo
	v_cmpx_gt_u32_e64 s14, v70
	s_cbranch_execz .LBB36_110
.LBB36_197:
	v_add_co_u32 v36, vcc_lo, 0x5000, v34
	v_add_co_ci_u32_e32 v37, vcc_lo, 0, v35, vcc_lo
	s_waitcnt lgkmcnt(5)
	global_store_b64 v[36:37], v[22:23], off
	s_or_b32 exec_lo, exec_lo, s2
	s_delay_alu instid0(SALU_CYCLE_1)
	s_mov_b32 s2, exec_lo
	v_cmpx_gt_u32_e64 s14, v69
	s_cbranch_execz .LBB36_111
.LBB36_198:
	v_add_co_u32 v36, vcc_lo, 0x5000, v34
	v_add_co_ci_u32_e32 v37, vcc_lo, 0, v35, vcc_lo
	s_waitcnt lgkmcnt(4)
	global_store_b64 v[36:37], v[24:25], off offset:2048
	s_or_b32 exec_lo, exec_lo, s2
	s_delay_alu instid0(SALU_CYCLE_1)
	s_mov_b32 s2, exec_lo
	v_cmpx_gt_u32_e64 s14, v68
	s_cbranch_execz .LBB36_112
.LBB36_199:
	v_add_co_u32 v36, vcc_lo, 0x6000, v34
	v_add_co_ci_u32_e32 v37, vcc_lo, 0, v35, vcc_lo
	s_waitcnt lgkmcnt(3)
	global_store_b64 v[36:37], v[26:27], off
	s_or_b32 exec_lo, exec_lo, s2
	s_delay_alu instid0(SALU_CYCLE_1)
	s_mov_b32 s2, exec_lo
	v_cmpx_gt_u32_e64 s14, v67
	s_cbranch_execz .LBB36_113
.LBB36_200:
	v_add_co_u32 v36, vcc_lo, 0x6000, v34
	v_add_co_ci_u32_e32 v37, vcc_lo, 0, v35, vcc_lo
	s_waitcnt lgkmcnt(2)
	global_store_b64 v[36:37], v[28:29], off offset:2048
	s_or_b32 exec_lo, exec_lo, s2
	s_delay_alu instid0(SALU_CYCLE_1)
	s_mov_b32 s2, exec_lo
	v_cmpx_gt_u32_e64 s14, v66
	s_cbranch_execz .LBB36_114
.LBB36_201:
	v_add_co_u32 v36, vcc_lo, 0x7000, v34
	v_add_co_ci_u32_e32 v37, vcc_lo, 0, v35, vcc_lo
	s_waitcnt lgkmcnt(1)
	global_store_b64 v[36:37], v[30:31], off
	s_or_b32 exec_lo, exec_lo, s2
	s_delay_alu instid0(SALU_CYCLE_1)
	s_mov_b32 s2, exec_lo
	v_cmpx_gt_u32_e64 s14, v65
	s_cbranch_execnz .LBB36_115
	s_branch .LBB36_116
	.section	.rodata,"a",@progbits
	.p2align	6, 0x0
	.amdhsa_kernel _ZN7rocprim6detail20lookback_scan_kernelILNS0_25lookback_scan_determinismE0ELb0ENS0_19wrapped_scan_configINS_14default_configEyEEPyS6_N6hipcub3MinEyyNS0_19lookback_scan_stateIyLb0ELb1EEEEEvT2_T3_mT5_T4_T7_jPT6_SH_bb
		.amdhsa_group_segment_fixed_size 33792
		.amdhsa_private_segment_fixed_size 0
		.amdhsa_kernarg_size 76
		.amdhsa_user_sgpr_count 15
		.amdhsa_user_sgpr_dispatch_ptr 0
		.amdhsa_user_sgpr_queue_ptr 0
		.amdhsa_user_sgpr_kernarg_segment_ptr 1
		.amdhsa_user_sgpr_dispatch_id 0
		.amdhsa_user_sgpr_private_segment_size 0
		.amdhsa_wavefront_size32 1
		.amdhsa_uses_dynamic_stack 0
		.amdhsa_enable_private_segment 0
		.amdhsa_system_sgpr_workgroup_id_x 1
		.amdhsa_system_sgpr_workgroup_id_y 0
		.amdhsa_system_sgpr_workgroup_id_z 0
		.amdhsa_system_sgpr_workgroup_info 0
		.amdhsa_system_vgpr_workitem_id 0
		.amdhsa_next_free_vgpr 96
		.amdhsa_next_free_sgpr 68
		.amdhsa_reserve_vcc 1
		.amdhsa_float_round_mode_32 0
		.amdhsa_float_round_mode_16_64 0
		.amdhsa_float_denorm_mode_32 3
		.amdhsa_float_denorm_mode_16_64 3
		.amdhsa_dx10_clamp 1
		.amdhsa_ieee_mode 1
		.amdhsa_fp16_overflow 0
		.amdhsa_workgroup_processor_mode 1
		.amdhsa_memory_ordered 1
		.amdhsa_forward_progress 0
		.amdhsa_shared_vgpr_count 0
		.amdhsa_exception_fp_ieee_invalid_op 0
		.amdhsa_exception_fp_denorm_src 0
		.amdhsa_exception_fp_ieee_div_zero 0
		.amdhsa_exception_fp_ieee_overflow 0
		.amdhsa_exception_fp_ieee_underflow 0
		.amdhsa_exception_fp_ieee_inexact 0
		.amdhsa_exception_int_div_zero 0
	.end_amdhsa_kernel
	.section	.text._ZN7rocprim6detail20lookback_scan_kernelILNS0_25lookback_scan_determinismE0ELb0ENS0_19wrapped_scan_configINS_14default_configEyEEPyS6_N6hipcub3MinEyyNS0_19lookback_scan_stateIyLb0ELb1EEEEEvT2_T3_mT5_T4_T7_jPT6_SH_bb,"axG",@progbits,_ZN7rocprim6detail20lookback_scan_kernelILNS0_25lookback_scan_determinismE0ELb0ENS0_19wrapped_scan_configINS_14default_configEyEEPyS6_N6hipcub3MinEyyNS0_19lookback_scan_stateIyLb0ELb1EEEEEvT2_T3_mT5_T4_T7_jPT6_SH_bb,comdat
.Lfunc_end36:
	.size	_ZN7rocprim6detail20lookback_scan_kernelILNS0_25lookback_scan_determinismE0ELb0ENS0_19wrapped_scan_configINS_14default_configEyEEPyS6_N6hipcub3MinEyyNS0_19lookback_scan_stateIyLb0ELb1EEEEEvT2_T3_mT5_T4_T7_jPT6_SH_bb, .Lfunc_end36-_ZN7rocprim6detail20lookback_scan_kernelILNS0_25lookback_scan_determinismE0ELb0ENS0_19wrapped_scan_configINS_14default_configEyEEPyS6_N6hipcub3MinEyyNS0_19lookback_scan_stateIyLb0ELb1EEEEEvT2_T3_mT5_T4_T7_jPT6_SH_bb
                                        ; -- End function
	.section	.AMDGPU.csdata,"",@progbits
; Kernel info:
; codeLenInByte = 11620
; NumSgprs: 70
; NumVgprs: 96
; ScratchSize: 0
; MemoryBound: 1
; FloatMode: 240
; IeeeMode: 1
; LDSByteSize: 33792 bytes/workgroup (compile time only)
; SGPRBlocks: 8
; VGPRBlocks: 11
; NumSGPRsForWavesPerEU: 70
; NumVGPRsForWavesPerEU: 96
; Occupancy: 6
; WaveLimiterHint : 1
; COMPUTE_PGM_RSRC2:SCRATCH_EN: 0
; COMPUTE_PGM_RSRC2:USER_SGPR: 15
; COMPUTE_PGM_RSRC2:TRAP_HANDLER: 0
; COMPUTE_PGM_RSRC2:TGID_X_EN: 1
; COMPUTE_PGM_RSRC2:TGID_Y_EN: 0
; COMPUTE_PGM_RSRC2:TGID_Z_EN: 0
; COMPUTE_PGM_RSRC2:TIDIG_COMP_CNT: 0
	.section	.text._ZN7rocprim6detail16transform_kernelINS0_24wrapped_transform_configINS_14default_configEyEEyPyS5_NS_8identityIyEEEEvT1_mT2_T3_,"axG",@progbits,_ZN7rocprim6detail16transform_kernelINS0_24wrapped_transform_configINS_14default_configEyEEyPyS5_NS_8identityIyEEEEvT1_mT2_T3_,comdat
	.protected	_ZN7rocprim6detail16transform_kernelINS0_24wrapped_transform_configINS_14default_configEyEEyPyS5_NS_8identityIyEEEEvT1_mT2_T3_ ; -- Begin function _ZN7rocprim6detail16transform_kernelINS0_24wrapped_transform_configINS_14default_configEyEEyPyS5_NS_8identityIyEEEEvT1_mT2_T3_
	.globl	_ZN7rocprim6detail16transform_kernelINS0_24wrapped_transform_configINS_14default_configEyEEyPyS5_NS_8identityIyEEEEvT1_mT2_T3_
	.p2align	8
	.type	_ZN7rocprim6detail16transform_kernelINS0_24wrapped_transform_configINS_14default_configEyEEyPyS5_NS_8identityIyEEEEvT1_mT2_T3_,@function
_ZN7rocprim6detail16transform_kernelINS0_24wrapped_transform_configINS_14default_configEyEEyPyS5_NS_8identityIyEEEEvT1_mT2_T3_: ; @_ZN7rocprim6detail16transform_kernelINS0_24wrapped_transform_configINS_14default_configEyEEyPyS5_NS_8identityIyEEEEvT1_mT2_T3_
; %bb.0:
	s_clause 0x2
	s_load_b32 s3, s[0:1], 0x20
	s_load_b128 s[4:7], s[0:1], 0x0
	s_load_b64 s[0:1], s[0:1], 0x10
	v_lshlrev_b32_e32 v2, 3, v0
	s_lshl_b32 s2, s15, 9
	s_waitcnt lgkmcnt(0)
	s_add_i32 s7, s3, -1
	s_mov_b32 s3, 0
	s_cmp_lg_u32 s15, s7
	s_mov_b32 s7, -1
	s_cbranch_scc0 .LBB37_2
; %bb.1:
	s_lshl_b64 s[8:9], s[2:3], 3
	s_mov_b32 s7, s3
	s_add_u32 s10, s4, s8
	s_addc_u32 s11, s5, s9
	s_add_u32 s8, s0, s8
	global_load_b64 v[3:4], v2, s[10:11]
	s_addc_u32 s9, s1, s9
	s_waitcnt vmcnt(0)
	global_store_b64 v2, v[3:4], s[8:9]
.LBB37_2:
	s_and_not1_b32 vcc_lo, exec_lo, s7
	s_cbranch_vccnz .LBB37_7
; %bb.3:
	s_sub_i32 s6, s6, s2
	s_delay_alu instid0(SALU_CYCLE_1)
	v_cmp_gt_u32_e32 vcc_lo, s6, v0
                                        ; implicit-def: $vgpr0_vgpr1
	s_and_saveexec_b32 s6, vcc_lo
	s_cbranch_execz .LBB37_5
; %bb.4:
	s_lshl_b64 s[8:9], s[2:3], 3
	s_delay_alu instid0(SALU_CYCLE_1)
	s_add_u32 s4, s4, s8
	s_addc_u32 s5, s5, s9
	global_load_b64 v[0:1], v2, s[4:5]
.LBB37_5:
	s_or_b32 exec_lo, exec_lo, s6
	s_and_saveexec_b32 s4, vcc_lo
	s_cbranch_execz .LBB37_7
; %bb.6:
	s_lshl_b64 s[2:3], s[2:3], 3
	s_delay_alu instid0(SALU_CYCLE_1)
	s_add_u32 s0, s0, s2
	s_addc_u32 s1, s1, s3
	s_waitcnt vmcnt(0)
	global_store_b64 v2, v[0:1], s[0:1]
.LBB37_7:
	s_nop 0
	s_sendmsg sendmsg(MSG_DEALLOC_VGPRS)
	s_endpgm
	.section	.rodata,"a",@progbits
	.p2align	6, 0x0
	.amdhsa_kernel _ZN7rocprim6detail16transform_kernelINS0_24wrapped_transform_configINS_14default_configEyEEyPyS5_NS_8identityIyEEEEvT1_mT2_T3_
		.amdhsa_group_segment_fixed_size 0
		.amdhsa_private_segment_fixed_size 0
		.amdhsa_kernarg_size 288
		.amdhsa_user_sgpr_count 15
		.amdhsa_user_sgpr_dispatch_ptr 0
		.amdhsa_user_sgpr_queue_ptr 0
		.amdhsa_user_sgpr_kernarg_segment_ptr 1
		.amdhsa_user_sgpr_dispatch_id 0
		.amdhsa_user_sgpr_private_segment_size 0
		.amdhsa_wavefront_size32 1
		.amdhsa_uses_dynamic_stack 0
		.amdhsa_enable_private_segment 0
		.amdhsa_system_sgpr_workgroup_id_x 1
		.amdhsa_system_sgpr_workgroup_id_y 0
		.amdhsa_system_sgpr_workgroup_id_z 0
		.amdhsa_system_sgpr_workgroup_info 0
		.amdhsa_system_vgpr_workitem_id 0
		.amdhsa_next_free_vgpr 5
		.amdhsa_next_free_sgpr 16
		.amdhsa_reserve_vcc 1
		.amdhsa_float_round_mode_32 0
		.amdhsa_float_round_mode_16_64 0
		.amdhsa_float_denorm_mode_32 3
		.amdhsa_float_denorm_mode_16_64 3
		.amdhsa_dx10_clamp 1
		.amdhsa_ieee_mode 1
		.amdhsa_fp16_overflow 0
		.amdhsa_workgroup_processor_mode 1
		.amdhsa_memory_ordered 1
		.amdhsa_forward_progress 0
		.amdhsa_shared_vgpr_count 0
		.amdhsa_exception_fp_ieee_invalid_op 0
		.amdhsa_exception_fp_denorm_src 0
		.amdhsa_exception_fp_ieee_div_zero 0
		.amdhsa_exception_fp_ieee_overflow 0
		.amdhsa_exception_fp_ieee_underflow 0
		.amdhsa_exception_fp_ieee_inexact 0
		.amdhsa_exception_int_div_zero 0
	.end_amdhsa_kernel
	.section	.text._ZN7rocprim6detail16transform_kernelINS0_24wrapped_transform_configINS_14default_configEyEEyPyS5_NS_8identityIyEEEEvT1_mT2_T3_,"axG",@progbits,_ZN7rocprim6detail16transform_kernelINS0_24wrapped_transform_configINS_14default_configEyEEyPyS5_NS_8identityIyEEEEvT1_mT2_T3_,comdat
.Lfunc_end37:
	.size	_ZN7rocprim6detail16transform_kernelINS0_24wrapped_transform_configINS_14default_configEyEEyPyS5_NS_8identityIyEEEEvT1_mT2_T3_, .Lfunc_end37-_ZN7rocprim6detail16transform_kernelINS0_24wrapped_transform_configINS_14default_configEyEEyPyS5_NS_8identityIyEEEEvT1_mT2_T3_
                                        ; -- End function
	.section	.AMDGPU.csdata,"",@progbits
; Kernel info:
; codeLenInByte = 208
; NumSgprs: 18
; NumVgprs: 5
; ScratchSize: 0
; MemoryBound: 0
; FloatMode: 240
; IeeeMode: 1
; LDSByteSize: 0 bytes/workgroup (compile time only)
; SGPRBlocks: 2
; VGPRBlocks: 0
; NumSGPRsForWavesPerEU: 18
; NumVGPRsForWavesPerEU: 5
; Occupancy: 16
; WaveLimiterHint : 0
; COMPUTE_PGM_RSRC2:SCRATCH_EN: 0
; COMPUTE_PGM_RSRC2:USER_SGPR: 15
; COMPUTE_PGM_RSRC2:TRAP_HANDLER: 0
; COMPUTE_PGM_RSRC2:TGID_X_EN: 1
; COMPUTE_PGM_RSRC2:TGID_Y_EN: 0
; COMPUTE_PGM_RSRC2:TGID_Z_EN: 0
; COMPUTE_PGM_RSRC2:TIDIG_COMP_CNT: 0
	.section	.text._ZN7rocprim6detail18single_scan_kernelILb0ENS0_19wrapped_scan_configINS_14default_configEyEEPyS5_N6hipcub3MinEyyEEvT1_mT4_T2_T3_,"axG",@progbits,_ZN7rocprim6detail18single_scan_kernelILb0ENS0_19wrapped_scan_configINS_14default_configEyEEPyS5_N6hipcub3MinEyyEEvT1_mT4_T2_T3_,comdat
	.protected	_ZN7rocprim6detail18single_scan_kernelILb0ENS0_19wrapped_scan_configINS_14default_configEyEEPyS5_N6hipcub3MinEyyEEvT1_mT4_T2_T3_ ; -- Begin function _ZN7rocprim6detail18single_scan_kernelILb0ENS0_19wrapped_scan_configINS_14default_configEyEEPyS5_N6hipcub3MinEyyEEvT1_mT4_T2_T3_
	.globl	_ZN7rocprim6detail18single_scan_kernelILb0ENS0_19wrapped_scan_configINS_14default_configEyEEPyS5_N6hipcub3MinEyyEEvT1_mT4_T2_T3_
	.p2align	8
	.type	_ZN7rocprim6detail18single_scan_kernelILb0ENS0_19wrapped_scan_configINS_14default_configEyEEPyS5_N6hipcub3MinEyyEEvT1_mT4_T2_T3_,@function
_ZN7rocprim6detail18single_scan_kernelILb0ENS0_19wrapped_scan_configINS_14default_configEyEEPyS5_N6hipcub3MinEyyEEvT1_mT4_T2_T3_: ; @_ZN7rocprim6detail18single_scan_kernelILb0ENS0_19wrapped_scan_configINS_14default_configEyEEPyS5_N6hipcub3MinEyyEEvT1_mT4_T2_T3_
; %bb.0:
	s_load_b128 s[16:19], s[0:1], 0x0
	s_waitcnt lgkmcnt(0)
	s_load_b64 s[36:37], s[16:17], 0x0
	v_cmp_gt_u32_e32 vcc_lo, s18, v0
	s_waitcnt lgkmcnt(0)
	s_mov_b32 s38, s36
	s_mov_b32 s39, s37
	;; [unrolled: 1-line block ×30, first 2 shown]
	v_lshlrev_b32_e32 v55, 3, v0
	v_dual_mov_b32 v1, s36 :: v_dual_mov_b32 v4, s39
	v_dual_mov_b32 v2, s37 :: v_dual_mov_b32 v33, s36
	s_delay_alu instid0(VALU_DEP_3) | instskip(NEXT) | instid1(VALU_DEP_1)
	v_add_co_u32 v35, s2, s16, v55
	v_add_co_ci_u32_e64 v36, null, s17, 0, s2
	v_dual_mov_b32 v3, s38 :: v_dual_mov_b32 v6, s41
	v_dual_mov_b32 v5, s40 :: v_dual_mov_b32 v8, s43
	;; [unrolled: 1-line block ×15, first 2 shown]
	s_and_saveexec_b32 s2, vcc_lo
	s_cbranch_execz .LBB38_2
; %bb.1:
	global_load_b64 v[33:34], v[35:36], off
	v_dual_mov_b32 v1, s36 :: v_dual_mov_b32 v2, s37
	v_dual_mov_b32 v3, s38 :: v_dual_mov_b32 v4, s39
	v_dual_mov_b32 v5, s40 :: v_dual_mov_b32 v6, s41
	v_dual_mov_b32 v7, s42 :: v_dual_mov_b32 v8, s43
	v_dual_mov_b32 v9, s44 :: v_dual_mov_b32 v10, s45
	v_dual_mov_b32 v11, s46 :: v_dual_mov_b32 v12, s47
	v_dual_mov_b32 v13, s48 :: v_dual_mov_b32 v14, s49
	v_dual_mov_b32 v15, s50 :: v_dual_mov_b32 v16, s51
	v_dual_mov_b32 v17, s52 :: v_dual_mov_b32 v18, s53
	v_dual_mov_b32 v19, s54 :: v_dual_mov_b32 v20, s55
	v_dual_mov_b32 v21, s56 :: v_dual_mov_b32 v22, s57
	v_dual_mov_b32 v23, s58 :: v_dual_mov_b32 v24, s59
	v_dual_mov_b32 v25, s60 :: v_dual_mov_b32 v26, s61
	v_dual_mov_b32 v27, s62 :: v_dual_mov_b32 v28, s63
	v_dual_mov_b32 v29, s64 :: v_dual_mov_b32 v30, s65
	v_dual_mov_b32 v31, s66 :: v_dual_mov_b32 v32, s67
.LBB38_2:
	s_or_b32 exec_lo, exec_lo, s2
	v_or_b32_e32 v1, 0x100, v0
	s_delay_alu instid0(VALU_DEP_1) | instskip(NEXT) | instid1(VALU_DEP_1)
	v_cmp_gt_u32_e64 s2, s18, v1
	s_and_saveexec_b32 s3, s2
	s_cbranch_execz .LBB38_4
; %bb.3:
	global_load_b64 v[3:4], v[35:36], off offset:2048
.LBB38_4:
	s_or_b32 exec_lo, exec_lo, s3
	v_or_b32_e32 v2, 0x200, v0
	s_delay_alu instid0(VALU_DEP_1) | instskip(NEXT) | instid1(VALU_DEP_1)
	v_cmp_gt_u32_e64 s3, s18, v2
	s_and_saveexec_b32 s5, s3
	s_cbranch_execz .LBB38_6
; %bb.5:
	v_add_co_u32 v5, s4, 0x1000, v35
	s_delay_alu instid0(VALU_DEP_1)
	v_add_co_ci_u32_e64 v6, s4, 0, v36, s4
	global_load_b64 v[5:6], v[5:6], off
.LBB38_6:
	s_or_b32 exec_lo, exec_lo, s5
	v_or_b32_e32 v37, 0x300, v0
	s_delay_alu instid0(VALU_DEP_1) | instskip(NEXT) | instid1(VALU_DEP_1)
	v_cmp_gt_u32_e64 s4, s18, v37
	s_and_saveexec_b32 s6, s4
	s_cbranch_execz .LBB38_8
; %bb.7:
	v_add_co_u32 v7, s5, 0x1000, v35
	s_delay_alu instid0(VALU_DEP_1)
	v_add_co_ci_u32_e64 v8, s5, 0, v36, s5
	global_load_b64 v[7:8], v[7:8], off offset:2048
.LBB38_8:
	s_or_b32 exec_lo, exec_lo, s6
	v_or_b32_e32 v38, 0x400, v0
	s_delay_alu instid0(VALU_DEP_1) | instskip(NEXT) | instid1(VALU_DEP_1)
	v_cmp_gt_u32_e64 s5, s18, v38
	s_and_saveexec_b32 s7, s5
	s_cbranch_execz .LBB38_10
; %bb.9:
	v_add_co_u32 v9, s6, 0x2000, v35
	s_delay_alu instid0(VALU_DEP_1)
	v_add_co_ci_u32_e64 v10, s6, 0, v36, s6
	global_load_b64 v[9:10], v[9:10], off
.LBB38_10:
	s_or_b32 exec_lo, exec_lo, s7
	v_or_b32_e32 v39, 0x500, v0
	s_delay_alu instid0(VALU_DEP_1) | instskip(NEXT) | instid1(VALU_DEP_1)
	v_cmp_gt_u32_e64 s6, s18, v39
	s_and_saveexec_b32 s8, s6
	s_cbranch_execz .LBB38_12
; %bb.11:
	v_add_co_u32 v11, s7, 0x2000, v35
	s_delay_alu instid0(VALU_DEP_1)
	v_add_co_ci_u32_e64 v12, s7, 0, v36, s7
	global_load_b64 v[11:12], v[11:12], off offset:2048
.LBB38_12:
	;; [unrolled: 24-line block ×7, first 2 shown]
	s_or_b32 exec_lo, exec_lo, s18
	v_lshrrev_b32_e32 v1, 2, v1
	v_lshrrev_b32_e32 v2, 2, v2
	;; [unrolled: 1-line block ×5, first 2 shown]
	v_and_b32_e32 v1, 0x78, v1
	v_lshrrev_b32_e32 v38, 2, v39
	v_and_b32_e32 v2, 0xf8, v2
	v_and_b32_e32 v35, 56, v35
	s_mov_b32 s18, exec_lo
	v_add_nc_u32_e32 v57, v1, v55
	v_and_b32_e32 v1, 0xf8, v36
	v_add_nc_u32_e32 v58, v2, v55
	v_and_b32_e32 v2, 0x1f8, v38
	v_add_nc_u32_e32 v56, v35, v55
	s_waitcnt vmcnt(0)
	ds_store_b64 v56, v[33:34]
	ds_store_b64 v57, v[3:4] offset:2048
	v_add_nc_u32_e32 v59, v1, v55
	v_lshrrev_b32_e32 v1, 2, v40
	v_add_nc_u32_e32 v61, v2, v55
	v_lshrrev_b32_e32 v2, 2, v41
	v_lshrrev_b32_e32 v3, 2, v42
	;; [unrolled: 1-line block ×3, first 2 shown]
	v_and_b32_e32 v1, 0x1f8, v1
	v_and_b32_e32 v35, 0x1f8, v37
	ds_store_b64 v58, v[5:6] offset:4096
	v_and_b32_e32 v3, 0x3f8, v3
	v_and_b32_e32 v4, 0x3f8, v4
	v_add_nc_u32_e32 v62, v1, v55
	v_and_b32_e32 v1, 0x1f8, v2
	v_lshrrev_b32_e32 v2, 2, v44
	v_add_nc_u32_e32 v64, v3, v55
	v_lshrrev_b32_e32 v3, 2, v47
	v_add_nc_u32_e32 v65, v4, v55
	v_add_nc_u32_e32 v63, v1, v55
	v_and_b32_e32 v1, 0x3f8, v2
	v_lshrrev_b32_e32 v2, 2, v45
	v_and_b32_e32 v3, 0x3f8, v3
	v_lshrrev_b32_e32 v4, 2, v48
	v_add_nc_u32_e32 v60, v35, v55
	v_add_nc_u32_e32 v66, v1, v55
	v_and_b32_e32 v1, 0x3f8, v2
	v_lshrrev_b32_e32 v2, 2, v46
	v_add_nc_u32_e32 v69, v3, v55
	v_lshrrev_b32_e32 v3, 1, v0
	v_and_b32_e32 v4, 0x3f8, v4
	v_add_nc_u32_e32 v67, v1, v55
	v_and_b32_e32 v1, 0x3f8, v2
	v_lshrrev_b32_e32 v2, 2, v49
	ds_store_b64 v59, v[7:8] offset:6144
	ds_store_b64 v60, v[9:10] offset:8192
	v_add_nc_u32_e32 v70, v4, v55
	ds_store_b64 v61, v[11:12] offset:10240
	v_add_nc_u32_e32 v68, v1, v55
	v_and_b32_e32 v1, 0x3f8, v2
	v_lshlrev_b32_e32 v2, 4, v0
	ds_store_b64 v62, v[13:14] offset:12288
	ds_store_b64 v63, v[15:16] offset:14336
	;; [unrolled: 1-line block ×4, first 2 shown]
	v_add_nc_u32_e32 v71, v1, v55
	v_add_lshl_u32 v72, v3, v2, 3
	ds_store_b64 v66, v[21:22] offset:20480
	ds_store_b64 v67, v[23:24] offset:22528
	;; [unrolled: 1-line block ×6, first 2 shown]
	s_waitcnt lgkmcnt(0)
	s_barrier
	buffer_gl0_inv
	ds_load_2addr_b64 v[5:8], v72 offset1:1
	ds_load_2addr_b64 v[1:4], v72 offset0:2 offset1:3
	ds_load_2addr_b64 v[17:20], v72 offset0:4 offset1:5
	;; [unrolled: 1-line block ×6, first 2 shown]
	s_waitcnt lgkmcnt(6)
	v_cmp_lt_u64_e64 s17, v[5:6], v[7:8]
	s_delay_alu instid0(VALU_DEP_1) | instskip(SKIP_2) | instid1(VALU_DEP_1)
	v_cndmask_b32_e64 v10, v8, v6, s17
	v_cndmask_b32_e64 v9, v7, v5, s17
	s_waitcnt lgkmcnt(5)
	v_cmp_lt_u64_e64 s17, v[9:10], v[1:2]
	s_delay_alu instid0(VALU_DEP_1) | instskip(SKIP_1) | instid1(VALU_DEP_1)
	v_cndmask_b32_e64 v10, v2, v10, s17
	v_cndmask_b32_e64 v9, v1, v9, s17
	v_cmp_lt_u64_e64 s17, v[9:10], v[3:4]
	s_delay_alu instid0(VALU_DEP_1) | instskip(SKIP_2) | instid1(VALU_DEP_1)
	v_cndmask_b32_e64 v10, v4, v10, s17
	v_cndmask_b32_e64 v9, v3, v9, s17
	s_waitcnt lgkmcnt(4)
	v_cmp_lt_u64_e64 s17, v[9:10], v[17:18]
	s_delay_alu instid0(VALU_DEP_1) | instskip(SKIP_1) | instid1(VALU_DEP_1)
	v_cndmask_b32_e64 v10, v18, v10, s17
	v_cndmask_b32_e64 v9, v17, v9, s17
	;; [unrolled: 9-line block ×5, first 2 shown]
	v_cmp_lt_u64_e64 s17, v[9:10], v[23:24]
	s_delay_alu instid0(VALU_DEP_1)
	v_cndmask_b32_e64 v34, v24, v10, s17
	v_cndmask_b32_e64 v33, v23, v9, s17
	ds_load_2addr_b64 v[9:12], v72 offset0:14 offset1:15
	s_waitcnt lgkmcnt(0)
	s_barrier
	buffer_gl0_inv
	v_cmp_lt_u64_e64 s17, v[33:34], v[29:30]
	s_delay_alu instid0(VALU_DEP_1) | instskip(SKIP_1) | instid1(VALU_DEP_1)
	v_cndmask_b32_e64 v34, v30, v34, s17
	v_cndmask_b32_e64 v33, v29, v33, s17
	v_cmp_lt_u64_e64 s17, v[33:34], v[31:32]
	s_delay_alu instid0(VALU_DEP_1) | instskip(SKIP_1) | instid1(VALU_DEP_1)
	v_cndmask_b32_e64 v34, v32, v34, s17
	v_cndmask_b32_e64 v33, v31, v33, s17
	;; [unrolled: 4-line block ×3, first 2 shown]
	v_cmp_lt_u64_e64 s17, v[33:34], v[11:12]
	s_delay_alu instid0(VALU_DEP_1)
	v_cndmask_b32_e64 v50, v12, v34, s17
	v_cndmask_b32_e64 v49, v11, v33, s17
	ds_store_b64 v56, v[49:50]
	s_waitcnt lgkmcnt(0)
	s_barrier
	buffer_gl0_inv
	v_cmpx_gt_u32_e32 32, v0
	s_cbranch_execz .LBB38_44
; %bb.33:
	v_lshlrev_b32_e32 v33, 1, v0
	v_mbcnt_lo_u32_b32 v74, -1, 0
	s_mov_b32 s19, exec_lo
	s_delay_alu instid0(VALU_DEP_2) | instskip(NEXT) | instid1(VALU_DEP_2)
	v_and_b32_e32 v33, 0x1f8, v33
	v_and_b32_e32 v75, 15, v74
	s_delay_alu instid0(VALU_DEP_2)
	v_lshl_or_b32 v73, v0, 6, v33
	ds_load_2addr_b64 v[37:40], v73 offset1:1
	ds_load_2addr_b64 v[33:36], v73 offset0:2 offset1:3
	ds_load_2addr_b64 v[41:44], v73 offset0:4 offset1:5
	s_waitcnt lgkmcnt(2)
	v_cmp_lt_u64_e64 s17, v[37:38], v[39:40]
	s_delay_alu instid0(VALU_DEP_1) | instskip(SKIP_2) | instid1(VALU_DEP_1)
	v_cndmask_b32_e64 v46, v40, v38, s17
	v_cndmask_b32_e64 v45, v39, v37, s17
	s_waitcnt lgkmcnt(1)
	v_cmp_lt_u64_e64 s17, v[45:46], v[33:34]
	s_delay_alu instid0(VALU_DEP_1) | instskip(SKIP_1) | instid1(VALU_DEP_1)
	v_cndmask_b32_e64 v46, v34, v46, s17
	v_cndmask_b32_e64 v45, v33, v45, s17
	v_cmp_lt_u64_e64 s17, v[45:46], v[35:36]
	s_delay_alu instid0(VALU_DEP_1) | instskip(SKIP_4) | instid1(VALU_DEP_1)
	v_cndmask_b32_e64 v52, v36, v46, s17
	v_cndmask_b32_e64 v51, v35, v45, s17
	ds_load_2addr_b64 v[45:48], v73 offset0:6 offset1:7
	s_waitcnt lgkmcnt(1)
	v_cmp_lt_u64_e64 s17, v[51:52], v[41:42]
	v_cndmask_b32_e64 v52, v42, v52, s17
	v_cndmask_b32_e64 v51, v41, v51, s17
	s_delay_alu instid0(VALU_DEP_1) | instskip(NEXT) | instid1(VALU_DEP_1)
	v_cmp_lt_u64_e64 s17, v[51:52], v[43:44]
	v_cndmask_b32_e64 v52, v44, v52, s17
	v_cndmask_b32_e64 v51, v43, v51, s17
	s_waitcnt lgkmcnt(0)
	s_delay_alu instid0(VALU_DEP_1) | instskip(NEXT) | instid1(VALU_DEP_1)
	v_cmp_lt_u64_e64 s17, v[51:52], v[45:46]
	v_cndmask_b32_e64 v52, v46, v52, s17
	v_cndmask_b32_e64 v51, v45, v51, s17
	s_delay_alu instid0(VALU_DEP_1) | instskip(NEXT) | instid1(VALU_DEP_1)
	v_cmp_lt_u64_e64 s17, v[51:52], v[47:48]
	v_cndmask_b32_e64 v52, v48, v52, s17
	v_cndmask_b32_e64 v51, v47, v51, s17
	s_delay_alu instid0(VALU_DEP_2) | instskip(NEXT) | instid1(VALU_DEP_2)
	v_mov_b32_dpp v54, v52 row_shr:1 row_mask:0xf bank_mask:0xf
	v_mov_b32_dpp v53, v51 row_shr:1 row_mask:0xf bank_mask:0xf
	v_cmpx_ne_u32_e32 0, v75
; %bb.34:
	s_delay_alu instid0(VALU_DEP_2) | instskip(NEXT) | instid1(VALU_DEP_1)
	v_cmp_lt_u64_e64 s17, v[53:54], v[51:52]
	v_cndmask_b32_e64 v52, v52, v54, s17
	v_cndmask_b32_e64 v51, v51, v53, s17
; %bb.35:
	s_or_b32 exec_lo, exec_lo, s19
	s_delay_alu instid0(VALU_DEP_1) | instskip(NEXT) | instid1(VALU_DEP_3)
	v_mov_b32_dpp v53, v51 row_shr:2 row_mask:0xf bank_mask:0xf
	v_mov_b32_dpp v54, v52 row_shr:2 row_mask:0xf bank_mask:0xf
	s_mov_b32 s19, exec_lo
	v_cmpx_lt_u32_e32 1, v75
; %bb.36:
	s_delay_alu instid0(VALU_DEP_2) | instskip(NEXT) | instid1(VALU_DEP_1)
	v_cmp_lt_u64_e64 s17, v[53:54], v[51:52]
	v_cndmask_b32_e64 v52, v52, v54, s17
	v_cndmask_b32_e64 v51, v51, v53, s17
; %bb.37:
	s_or_b32 exec_lo, exec_lo, s19
	s_delay_alu instid0(VALU_DEP_1) | instskip(NEXT) | instid1(VALU_DEP_3)
	v_mov_b32_dpp v53, v51 row_shr:4 row_mask:0xf bank_mask:0xf
	v_mov_b32_dpp v54, v52 row_shr:4 row_mask:0xf bank_mask:0xf
	s_mov_b32 s19, exec_lo
	v_cmpx_lt_u32_e32 3, v75
	;; [unrolled: 12-line block ×3, first 2 shown]
; %bb.40:
	s_delay_alu instid0(VALU_DEP_2) | instskip(NEXT) | instid1(VALU_DEP_1)
	v_cmp_lt_u64_e64 s17, v[53:54], v[51:52]
	v_cndmask_b32_e64 v52, v52, v54, s17
	v_cndmask_b32_e64 v51, v51, v53, s17
; %bb.41:
	s_or_b32 exec_lo, exec_lo, s19
	ds_swizzle_b32 v53, v51 offset:swizzle(BROADCAST,32,15)
	ds_swizzle_b32 v54, v52 offset:swizzle(BROADCAST,32,15)
	v_and_b32_e32 v75, 16, v74
	s_mov_b32 s19, exec_lo
	s_delay_alu instid0(VALU_DEP_1)
	v_cmpx_ne_u32_e32 0, v75
	s_cbranch_execz .LBB38_43
; %bb.42:
	s_waitcnt lgkmcnt(0)
	v_cmp_lt_u64_e64 s17, v[53:54], v[51:52]
	s_delay_alu instid0(VALU_DEP_1)
	v_cndmask_b32_e64 v51, v51, v53, s17
	v_cndmask_b32_e64 v52, v52, v54, s17
.LBB38_43:
	s_or_b32 exec_lo, exec_lo, s19
	s_waitcnt lgkmcnt(1)
	v_add_nc_u32_e32 v53, -1, v74
	s_delay_alu instid0(VALU_DEP_1) | instskip(NEXT) | instid1(VALU_DEP_1)
	v_cmp_gt_i32_e64 s17, 0, v53
	v_cndmask_b32_e64 v53, v53, v74, s17
	s_delay_alu instid0(VALU_DEP_1) | instskip(SKIP_4) | instid1(VALU_DEP_1)
	v_lshlrev_b32_e32 v53, 2, v53
	ds_bpermute_b32 v51, v53, v51
	ds_bpermute_b32 v52, v53, v52
	s_waitcnt lgkmcnt(0)
	v_cmp_lt_u64_e64 s17, v[51:52], v[37:38]
	v_cndmask_b32_e64 v37, v37, v51, s17
	v_cndmask_b32_e64 v38, v38, v52, s17
	v_cmp_eq_u32_e64 s17, 0, v0
	s_delay_alu instid0(VALU_DEP_1) | instskip(NEXT) | instid1(VALU_DEP_4)
	v_cndmask_b32_e64 v38, v38, v50, s17
	v_cndmask_b32_e64 v37, v37, v49, s17
	s_delay_alu instid0(VALU_DEP_1) | instskip(NEXT) | instid1(VALU_DEP_1)
	v_cmp_lt_u64_e64 s17, v[37:38], v[39:40]
	v_cndmask_b32_e64 v40, v40, v38, s17
	v_cndmask_b32_e64 v39, v39, v37, s17
	s_delay_alu instid0(VALU_DEP_1) | instskip(NEXT) | instid1(VALU_DEP_1)
	v_cmp_lt_u64_e64 s17, v[39:40], v[33:34]
	;; [unrolled: 4-line block ×7, first 2 shown]
	v_cndmask_b32_e64 v48, v48, v46, s17
	v_cndmask_b32_e64 v47, v47, v45, s17
	ds_store_2addr_b64 v73, v[37:38], v[39:40] offset1:1
	ds_store_2addr_b64 v73, v[33:34], v[35:36] offset0:2 offset1:3
	ds_store_2addr_b64 v73, v[41:42], v[43:44] offset0:4 offset1:5
	ds_store_2addr_b64 v73, v[45:46], v[47:48] offset0:6 offset1:7
.LBB38_44:
	s_or_b32 exec_lo, exec_lo, s18
	v_cmp_eq_u32_e64 s17, 0, v0
	s_mov_b32 s19, exec_lo
	s_waitcnt lgkmcnt(0)
	s_barrier
	buffer_gl0_inv
	v_cmpx_ne_u32_e32 0, v0
	s_cbranch_execz .LBB38_46
; %bb.45:
	v_add_nc_u32_e32 v0, -1, v0
	s_delay_alu instid0(VALU_DEP_1) | instskip(NEXT) | instid1(VALU_DEP_1)
	v_lshrrev_b32_e32 v33, 5, v0
	v_add_lshl_u32 v0, v33, v0, 3
	ds_load_b64 v[49:50], v0
.LBB38_46:
	s_or_b32 exec_lo, exec_lo, s19
	s_waitcnt lgkmcnt(0)
	v_cmp_lt_u64_e64 s18, v[49:50], v[5:6]
	s_barrier
	buffer_gl0_inv
	v_cndmask_b32_e64 v0, v5, v49, s18
	v_cndmask_b32_e64 v33, v6, v50, s18
	s_load_b64 s[18:19], s[0:1], 0x18
	s_delay_alu instid0(VALU_DEP_2) | instskip(NEXT) | instid1(VALU_DEP_2)
	v_cndmask_b32_e64 v5, v0, v5, s17
	v_cndmask_b32_e64 v6, v33, v6, s17
	s_delay_alu instid0(VALU_DEP_1) | instskip(NEXT) | instid1(VALU_DEP_1)
	v_cmp_lt_u64_e64 s17, v[5:6], v[7:8]
	v_cndmask_b32_e64 v8, v8, v6, s17
	v_cndmask_b32_e64 v7, v7, v5, s17
	s_delay_alu instid0(VALU_DEP_1) | instskip(NEXT) | instid1(VALU_DEP_1)
	v_cmp_lt_u64_e64 s17, v[7:8], v[1:2]
	;; [unrolled: 4-line block ×3, first 2 shown]
	v_cndmask_b32_e64 v4, v4, v2, s17
	v_cndmask_b32_e64 v3, v3, v1, s17
	ds_store_2addr_b64 v72, v[5:6], v[7:8] offset1:1
	ds_store_2addr_b64 v72, v[1:2], v[3:4] offset0:2 offset1:3
	v_cmp_lt_u64_e64 s17, v[3:4], v[17:18]
	s_delay_alu instid0(VALU_DEP_1) | instskip(SKIP_1) | instid1(VALU_DEP_1)
	v_cndmask_b32_e64 v18, v18, v4, s17
	v_cndmask_b32_e64 v17, v17, v3, s17
	v_cmp_lt_u64_e64 s17, v[17:18], v[19:20]
	s_delay_alu instid0(VALU_DEP_1) | instskip(SKIP_1) | instid1(VALU_DEP_1)
	v_cndmask_b32_e64 v20, v20, v18, s17
	v_cndmask_b32_e64 v19, v19, v17, s17
	;; [unrolled: 4-line block ×11, first 2 shown]
	v_cmp_lt_u64_e64 s0, v[9:10], v[11:12]
	s_delay_alu instid0(VALU_DEP_1)
	v_cndmask_b32_e64 v1, v12, v10, s0
	v_cndmask_b32_e64 v0, v11, v9, s0
	ds_store_2addr_b64 v72, v[17:18], v[19:20] offset0:4 offset1:5
	ds_store_2addr_b64 v72, v[13:14], v[15:16] offset0:6 offset1:7
	;; [unrolled: 1-line block ×6, first 2 shown]
	s_waitcnt lgkmcnt(0)
	s_barrier
	buffer_gl0_inv
	ds_load_b64 v[30:31], v57 offset:2048
	ds_load_b64 v[28:29], v58 offset:4096
	;; [unrolled: 1-line block ×15, first 2 shown]
	v_add_co_u32 v2, s0, s18, v55
	s_delay_alu instid0(VALU_DEP_1)
	v_add_co_ci_u32_e64 v3, null, s19, 0, s0
	s_and_saveexec_b32 s0, vcc_lo
	s_cbranch_execnz .LBB38_63
; %bb.47:
	s_or_b32 exec_lo, exec_lo, s0
	s_and_saveexec_b32 s0, s2
	s_cbranch_execnz .LBB38_64
.LBB38_48:
	s_or_b32 exec_lo, exec_lo, s0
	s_and_saveexec_b32 s0, s3
	s_cbranch_execnz .LBB38_65
.LBB38_49:
	s_or_b32 exec_lo, exec_lo, s0
	s_and_saveexec_b32 s0, s4
	s_cbranch_execnz .LBB38_66
.LBB38_50:
	s_or_b32 exec_lo, exec_lo, s0
	s_and_saveexec_b32 s0, s5
	s_cbranch_execnz .LBB38_67
.LBB38_51:
	s_or_b32 exec_lo, exec_lo, s0
	s_and_saveexec_b32 s0, s6
	s_cbranch_execnz .LBB38_68
.LBB38_52:
	s_or_b32 exec_lo, exec_lo, s0
	s_and_saveexec_b32 s0, s7
	s_cbranch_execnz .LBB38_69
.LBB38_53:
	s_or_b32 exec_lo, exec_lo, s0
	s_and_saveexec_b32 s0, s8
	s_cbranch_execnz .LBB38_70
.LBB38_54:
	s_or_b32 exec_lo, exec_lo, s0
	s_and_saveexec_b32 s0, s9
	s_cbranch_execnz .LBB38_71
.LBB38_55:
	s_or_b32 exec_lo, exec_lo, s0
	s_and_saveexec_b32 s0, s10
	s_cbranch_execnz .LBB38_72
.LBB38_56:
	s_or_b32 exec_lo, exec_lo, s0
	s_and_saveexec_b32 s0, s11
	s_cbranch_execnz .LBB38_73
.LBB38_57:
	s_or_b32 exec_lo, exec_lo, s0
	s_and_saveexec_b32 s0, s12
	s_cbranch_execnz .LBB38_74
.LBB38_58:
	s_or_b32 exec_lo, exec_lo, s0
	s_and_saveexec_b32 s0, s13
	s_cbranch_execnz .LBB38_75
.LBB38_59:
	s_or_b32 exec_lo, exec_lo, s0
	s_and_saveexec_b32 s0, s14
	s_cbranch_execnz .LBB38_76
.LBB38_60:
	s_or_b32 exec_lo, exec_lo, s0
	s_and_saveexec_b32 s0, s15
	s_cbranch_execnz .LBB38_77
.LBB38_61:
	s_or_b32 exec_lo, exec_lo, s0
	s_and_saveexec_b32 s0, s16
	s_cbranch_execnz .LBB38_78
.LBB38_62:
	s_nop 0
	s_sendmsg sendmsg(MSG_DEALLOC_VGPRS)
	s_endpgm
.LBB38_63:
	ds_load_b64 v[32:33], v56
	s_waitcnt lgkmcnt(0)
	global_store_b64 v[2:3], v[32:33], off
	s_or_b32 exec_lo, exec_lo, s0
	s_and_saveexec_b32 s0, s2
	s_cbranch_execz .LBB38_48
.LBB38_64:
	s_waitcnt lgkmcnt(14)
	global_store_b64 v[2:3], v[30:31], off offset:2048
	s_or_b32 exec_lo, exec_lo, s0
	s_and_saveexec_b32 s0, s3
	s_cbranch_execz .LBB38_49
.LBB38_65:
	s_waitcnt lgkmcnt(14)
	v_add_co_u32 v30, vcc_lo, 0x1000, v2
	v_add_co_ci_u32_e32 v31, vcc_lo, 0, v3, vcc_lo
	s_waitcnt lgkmcnt(13)
	global_store_b64 v[30:31], v[28:29], off
	s_or_b32 exec_lo, exec_lo, s0
	s_and_saveexec_b32 s0, s4
	s_cbranch_execz .LBB38_50
.LBB38_66:
	s_waitcnt lgkmcnt(13)
	v_add_co_u32 v28, vcc_lo, 0x1000, v2
	v_add_co_ci_u32_e32 v29, vcc_lo, 0, v3, vcc_lo
	s_waitcnt lgkmcnt(12)
	global_store_b64 v[28:29], v[26:27], off offset:2048
	s_or_b32 exec_lo, exec_lo, s0
	s_and_saveexec_b32 s0, s5
	s_cbranch_execz .LBB38_51
.LBB38_67:
	s_waitcnt lgkmcnt(12)
	v_add_co_u32 v26, vcc_lo, 0x2000, v2
	v_add_co_ci_u32_e32 v27, vcc_lo, 0, v3, vcc_lo
	s_waitcnt lgkmcnt(11)
	global_store_b64 v[26:27], v[24:25], off
	s_or_b32 exec_lo, exec_lo, s0
	s_and_saveexec_b32 s0, s6
	s_cbranch_execz .LBB38_52
.LBB38_68:
	s_waitcnt lgkmcnt(11)
	v_add_co_u32 v24, vcc_lo, 0x2000, v2
	v_add_co_ci_u32_e32 v25, vcc_lo, 0, v3, vcc_lo
	s_waitcnt lgkmcnt(10)
	global_store_b64 v[24:25], v[22:23], off offset:2048
	s_or_b32 exec_lo, exec_lo, s0
	s_and_saveexec_b32 s0, s7
	s_cbranch_execz .LBB38_53
.LBB38_69:
	s_waitcnt lgkmcnt(10)
	v_add_co_u32 v22, vcc_lo, 0x3000, v2
	v_add_co_ci_u32_e32 v23, vcc_lo, 0, v3, vcc_lo
	s_waitcnt lgkmcnt(9)
	global_store_b64 v[22:23], v[20:21], off
	s_or_b32 exec_lo, exec_lo, s0
	s_and_saveexec_b32 s0, s8
	s_cbranch_execz .LBB38_54
.LBB38_70:
	s_waitcnt lgkmcnt(9)
	v_add_co_u32 v20, vcc_lo, 0x3000, v2
	v_add_co_ci_u32_e32 v21, vcc_lo, 0, v3, vcc_lo
	s_waitcnt lgkmcnt(8)
	global_store_b64 v[20:21], v[18:19], off offset:2048
	s_or_b32 exec_lo, exec_lo, s0
	s_and_saveexec_b32 s0, s9
	s_cbranch_execz .LBB38_55
.LBB38_71:
	s_waitcnt lgkmcnt(8)
	v_add_co_u32 v18, vcc_lo, 0x4000, v2
	v_add_co_ci_u32_e32 v19, vcc_lo, 0, v3, vcc_lo
	s_waitcnt lgkmcnt(7)
	global_store_b64 v[18:19], v[16:17], off
	s_or_b32 exec_lo, exec_lo, s0
	s_and_saveexec_b32 s0, s10
	s_cbranch_execz .LBB38_56
.LBB38_72:
	s_waitcnt lgkmcnt(7)
	v_add_co_u32 v16, vcc_lo, 0x4000, v2
	v_add_co_ci_u32_e32 v17, vcc_lo, 0, v3, vcc_lo
	s_waitcnt lgkmcnt(6)
	global_store_b64 v[16:17], v[14:15], off offset:2048
	s_or_b32 exec_lo, exec_lo, s0
	s_and_saveexec_b32 s0, s11
	s_cbranch_execz .LBB38_57
.LBB38_73:
	s_waitcnt lgkmcnt(6)
	v_add_co_u32 v14, vcc_lo, 0x5000, v2
	v_add_co_ci_u32_e32 v15, vcc_lo, 0, v3, vcc_lo
	s_waitcnt lgkmcnt(5)
	global_store_b64 v[14:15], v[12:13], off
	s_or_b32 exec_lo, exec_lo, s0
	s_and_saveexec_b32 s0, s12
	s_cbranch_execz .LBB38_58
.LBB38_74:
	s_waitcnt lgkmcnt(5)
	v_add_co_u32 v12, vcc_lo, 0x5000, v2
	v_add_co_ci_u32_e32 v13, vcc_lo, 0, v3, vcc_lo
	s_waitcnt lgkmcnt(4)
	global_store_b64 v[12:13], v[10:11], off offset:2048
	s_or_b32 exec_lo, exec_lo, s0
	s_and_saveexec_b32 s0, s13
	s_cbranch_execz .LBB38_59
.LBB38_75:
	s_waitcnt lgkmcnt(4)
	v_add_co_u32 v10, vcc_lo, 0x6000, v2
	v_add_co_ci_u32_e32 v11, vcc_lo, 0, v3, vcc_lo
	s_waitcnt lgkmcnt(3)
	global_store_b64 v[10:11], v[8:9], off
	s_or_b32 exec_lo, exec_lo, s0
	s_and_saveexec_b32 s0, s14
	s_cbranch_execz .LBB38_60
.LBB38_76:
	s_waitcnt lgkmcnt(3)
	v_add_co_u32 v8, vcc_lo, 0x6000, v2
	v_add_co_ci_u32_e32 v9, vcc_lo, 0, v3, vcc_lo
	s_waitcnt lgkmcnt(2)
	global_store_b64 v[8:9], v[6:7], off offset:2048
	s_or_b32 exec_lo, exec_lo, s0
	s_and_saveexec_b32 s0, s15
	s_cbranch_execz .LBB38_61
.LBB38_77:
	s_waitcnt lgkmcnt(2)
	v_add_co_u32 v6, vcc_lo, 0x7000, v2
	v_add_co_ci_u32_e32 v7, vcc_lo, 0, v3, vcc_lo
	s_waitcnt lgkmcnt(1)
	global_store_b64 v[6:7], v[4:5], off
	s_or_b32 exec_lo, exec_lo, s0
	s_and_saveexec_b32 s0, s16
	s_cbranch_execz .LBB38_62
.LBB38_78:
	v_add_co_u32 v2, vcc_lo, 0x7000, v2
	v_add_co_ci_u32_e32 v3, vcc_lo, 0, v3, vcc_lo
	s_waitcnt lgkmcnt(0)
	global_store_b64 v[2:3], v[0:1], off offset:2048
	s_nop 0
	s_sendmsg sendmsg(MSG_DEALLOC_VGPRS)
	s_endpgm
	.section	.rodata,"a",@progbits
	.p2align	6, 0x0
	.amdhsa_kernel _ZN7rocprim6detail18single_scan_kernelILb0ENS0_19wrapped_scan_configINS_14default_configEyEEPyS5_N6hipcub3MinEyyEEvT1_mT4_T2_T3_
		.amdhsa_group_segment_fixed_size 33792
		.amdhsa_private_segment_fixed_size 0
		.amdhsa_kernarg_size 36
		.amdhsa_user_sgpr_count 15
		.amdhsa_user_sgpr_dispatch_ptr 0
		.amdhsa_user_sgpr_queue_ptr 0
		.amdhsa_user_sgpr_kernarg_segment_ptr 1
		.amdhsa_user_sgpr_dispatch_id 0
		.amdhsa_user_sgpr_private_segment_size 0
		.amdhsa_wavefront_size32 1
		.amdhsa_uses_dynamic_stack 0
		.amdhsa_enable_private_segment 0
		.amdhsa_system_sgpr_workgroup_id_x 1
		.amdhsa_system_sgpr_workgroup_id_y 0
		.amdhsa_system_sgpr_workgroup_id_z 0
		.amdhsa_system_sgpr_workgroup_info 0
		.amdhsa_system_vgpr_workitem_id 0
		.amdhsa_next_free_vgpr 76
		.amdhsa_next_free_sgpr 68
		.amdhsa_reserve_vcc 1
		.amdhsa_float_round_mode_32 0
		.amdhsa_float_round_mode_16_64 0
		.amdhsa_float_denorm_mode_32 3
		.amdhsa_float_denorm_mode_16_64 3
		.amdhsa_dx10_clamp 1
		.amdhsa_ieee_mode 1
		.amdhsa_fp16_overflow 0
		.amdhsa_workgroup_processor_mode 1
		.amdhsa_memory_ordered 1
		.amdhsa_forward_progress 0
		.amdhsa_shared_vgpr_count 0
		.amdhsa_exception_fp_ieee_invalid_op 0
		.amdhsa_exception_fp_denorm_src 0
		.amdhsa_exception_fp_ieee_div_zero 0
		.amdhsa_exception_fp_ieee_overflow 0
		.amdhsa_exception_fp_ieee_underflow 0
		.amdhsa_exception_fp_ieee_inexact 0
		.amdhsa_exception_int_div_zero 0
	.end_amdhsa_kernel
	.section	.text._ZN7rocprim6detail18single_scan_kernelILb0ENS0_19wrapped_scan_configINS_14default_configEyEEPyS5_N6hipcub3MinEyyEEvT1_mT4_T2_T3_,"axG",@progbits,_ZN7rocprim6detail18single_scan_kernelILb0ENS0_19wrapped_scan_configINS_14default_configEyEEPyS5_N6hipcub3MinEyyEEvT1_mT4_T2_T3_,comdat
.Lfunc_end38:
	.size	_ZN7rocprim6detail18single_scan_kernelILb0ENS0_19wrapped_scan_configINS_14default_configEyEEPyS5_N6hipcub3MinEyyEEvT1_mT4_T2_T3_, .Lfunc_end38-_ZN7rocprim6detail18single_scan_kernelILb0ENS0_19wrapped_scan_configINS_14default_configEyEEPyS5_N6hipcub3MinEyyEEvT1_mT4_T2_T3_
                                        ; -- End function
	.section	.AMDGPU.csdata,"",@progbits
; Kernel info:
; codeLenInByte = 4944
; NumSgprs: 70
; NumVgprs: 76
; ScratchSize: 0
; MemoryBound: 1
; FloatMode: 240
; IeeeMode: 1
; LDSByteSize: 33792 bytes/workgroup (compile time only)
; SGPRBlocks: 8
; VGPRBlocks: 9
; NumSGPRsForWavesPerEU: 70
; NumVGPRsForWavesPerEU: 76
; Occupancy: 6
; WaveLimiterHint : 0
; COMPUTE_PGM_RSRC2:SCRATCH_EN: 0
; COMPUTE_PGM_RSRC2:USER_SGPR: 15
; COMPUTE_PGM_RSRC2:TRAP_HANDLER: 0
; COMPUTE_PGM_RSRC2:TGID_X_EN: 1
; COMPUTE_PGM_RSRC2:TGID_Y_EN: 0
; COMPUTE_PGM_RSRC2:TGID_Z_EN: 0
; COMPUTE_PGM_RSRC2:TIDIG_COMP_CNT: 0
	.section	.text._ZN7rocprim6detail31init_lookback_scan_state_kernelINS0_19lookback_scan_stateINS_5tupleIJibEEELb1ELb1EEEEEvT_jjPNS6_10value_typeE,"axG",@progbits,_ZN7rocprim6detail31init_lookback_scan_state_kernelINS0_19lookback_scan_stateINS_5tupleIJibEEELb1ELb1EEEEEvT_jjPNS6_10value_typeE,comdat
	.protected	_ZN7rocprim6detail31init_lookback_scan_state_kernelINS0_19lookback_scan_stateINS_5tupleIJibEEELb1ELb1EEEEEvT_jjPNS6_10value_typeE ; -- Begin function _ZN7rocprim6detail31init_lookback_scan_state_kernelINS0_19lookback_scan_stateINS_5tupleIJibEEELb1ELb1EEEEEvT_jjPNS6_10value_typeE
	.globl	_ZN7rocprim6detail31init_lookback_scan_state_kernelINS0_19lookback_scan_stateINS_5tupleIJibEEELb1ELb1EEEEEvT_jjPNS6_10value_typeE
	.p2align	8
	.type	_ZN7rocprim6detail31init_lookback_scan_state_kernelINS0_19lookback_scan_stateINS_5tupleIJibEEELb1ELb1EEEEEvT_jjPNS6_10value_typeE,@function
_ZN7rocprim6detail31init_lookback_scan_state_kernelINS0_19lookback_scan_stateINS_5tupleIJibEEELb1ELb1EEEEEvT_jjPNS6_10value_typeE: ; @_ZN7rocprim6detail31init_lookback_scan_state_kernelINS0_19lookback_scan_stateINS_5tupleIJibEEELb1ELb1EEEEEvT_jjPNS6_10value_typeE
; %bb.0:
	s_clause 0x2
	s_load_b32 s6, s[0:1], 0x24
	s_load_b64 s[4:5], s[0:1], 0x10
	s_load_b128 s[0:3], s[0:1], 0x0
	s_waitcnt lgkmcnt(0)
	s_and_b32 s6, s6, 0xffff
	s_cmp_eq_u64 s[4:5], 0
	v_mad_u64_u32 v[1:2], null, s15, s6, v[0:1]
	s_cbranch_scc1 .LBB39_10
; %bb.1:
	s_cmp_lt_u32 s3, s2
	s_mov_b32 s7, 0
	s_cselect_b32 s6, s3, 0
	s_mov_b32 s8, exec_lo
	s_delay_alu instid0(VALU_DEP_1)
	v_cmpx_eq_u32_e64 s6, v1
	s_cbranch_execz .LBB39_9
; %bb.2:
	s_add_i32 s6, s3, 32
	s_mov_b32 s3, exec_lo
	s_lshl_b64 s[6:7], s[6:7], 4
	v_mov_b32_e32 v6, 0
	s_add_u32 s6, s0, s6
	s_addc_u32 s7, s1, s7
	s_delay_alu instid0(SALU_CYCLE_1) | instskip(SKIP_2) | instid1(VALU_DEP_1)
	v_dual_mov_b32 v2, s6 :: v_dual_mov_b32 v3, s7
	;;#ASMSTART
	global_load_dwordx4 v[2:5], v[2:3] off glc	
s_waitcnt vmcnt(0)
	;;#ASMEND
	v_and_b32_e32 v5, 0xff, v4
	v_cmpx_eq_u64_e32 0, v[5:6]
	s_cbranch_execz .LBB39_8
; %bb.3:
	v_dual_mov_b32 v8, s7 :: v_dual_mov_b32 v7, s6
	s_mov_b32 s7, 1
	s_mov_b32 s6, 0
	.p2align	6
.LBB39_4:                               ; =>This Loop Header: Depth=1
                                        ;     Child Loop BB39_5 Depth 2
	s_max_u32 s9, s7, 1
.LBB39_5:                               ;   Parent Loop BB39_4 Depth=1
                                        ; =>  This Inner Loop Header: Depth=2
	s_delay_alu instid0(SALU_CYCLE_1)
	s_add_i32 s9, s9, -1
	s_sleep 1
	s_cmp_eq_u32 s9, 0
	s_cbranch_scc0 .LBB39_5
; %bb.6:                                ;   in Loop: Header=BB39_4 Depth=1
	;;#ASMSTART
	global_load_dwordx4 v[2:5], v[7:8] off glc	
s_waitcnt vmcnt(0)
	;;#ASMEND
	v_and_b32_e32 v5, 0xff, v4
	s_cmp_lt_u32 s7, 32
	s_cselect_b32 s9, -1, 0
	s_delay_alu instid0(SALU_CYCLE_1) | instskip(NEXT) | instid1(VALU_DEP_1)
	s_cmp_lg_u32 s9, 0
	v_cmp_ne_u64_e32 vcc_lo, 0, v[5:6]
	s_addc_u32 s7, s7, 0
	s_or_b32 s6, vcc_lo, s6
	s_delay_alu instid0(SALU_CYCLE_1)
	s_and_not1_b32 exec_lo, exec_lo, s6
	s_cbranch_execnz .LBB39_4
; %bb.7:
	s_or_b32 exec_lo, exec_lo, s6
.LBB39_8:
	s_delay_alu instid0(SALU_CYCLE_1)
	s_or_b32 exec_lo, exec_lo, s3
	v_mov_b32_e32 v0, 0
	s_clause 0x1
	global_store_b32 v0, v2, s[4:5]
	global_store_b8 v0, v3, s[4:5] offset:4
.LBB39_9:
	s_or_b32 exec_lo, exec_lo, s8
.LBB39_10:
	s_delay_alu instid0(VALU_DEP_1)
	v_cmp_gt_u32_e32 vcc_lo, s2, v1
	s_and_saveexec_b32 s2, vcc_lo
	s_cbranch_execz .LBB39_12
; %bb.11:
	v_dual_mov_b32 v3, 0 :: v_dual_add_nc_u32 v2, 32, v1
	s_delay_alu instid0(VALU_DEP_1) | instskip(SKIP_2) | instid1(VALU_DEP_3)
	v_lshlrev_b64 v[5:6], 4, v[2:3]
	v_mov_b32_e32 v2, v3
	v_mov_b32_e32 v4, v3
	v_add_co_u32 v7, vcc_lo, s0, v5
	s_delay_alu instid0(VALU_DEP_4)
	v_add_co_ci_u32_e32 v8, vcc_lo, s1, v6, vcc_lo
	v_mov_b32_e32 v5, v3
	global_store_b128 v[7:8], v[2:5], off
.LBB39_12:
	s_or_b32 exec_lo, exec_lo, s2
	s_delay_alu instid0(SALU_CYCLE_1)
	s_mov_b32 s2, exec_lo
	v_cmpx_gt_u32_e32 32, v1
	s_cbranch_execz .LBB39_14
; %bb.13:
	v_dual_mov_b32 v2, 0 :: v_dual_mov_b32 v3, 0xff
	s_delay_alu instid0(VALU_DEP_1) | instskip(SKIP_1) | instid1(VALU_DEP_2)
	v_lshlrev_b64 v[4:5], 4, v[1:2]
	v_mov_b32_e32 v1, v2
	v_add_co_u32 v6, vcc_lo, s0, v4
	s_delay_alu instid0(VALU_DEP_3)
	v_add_co_ci_u32_e32 v7, vcc_lo, s1, v5, vcc_lo
	v_mov_b32_e32 v4, v2
	global_store_b128 v[6:7], v[1:4], off
.LBB39_14:
	s_nop 0
	s_sendmsg sendmsg(MSG_DEALLOC_VGPRS)
	s_endpgm
	.section	.rodata,"a",@progbits
	.p2align	6, 0x0
	.amdhsa_kernel _ZN7rocprim6detail31init_lookback_scan_state_kernelINS0_19lookback_scan_stateINS_5tupleIJibEEELb1ELb1EEEEEvT_jjPNS6_10value_typeE
		.amdhsa_group_segment_fixed_size 0
		.amdhsa_private_segment_fixed_size 0
		.amdhsa_kernarg_size 280
		.amdhsa_user_sgpr_count 15
		.amdhsa_user_sgpr_dispatch_ptr 0
		.amdhsa_user_sgpr_queue_ptr 0
		.amdhsa_user_sgpr_kernarg_segment_ptr 1
		.amdhsa_user_sgpr_dispatch_id 0
		.amdhsa_user_sgpr_private_segment_size 0
		.amdhsa_wavefront_size32 1
		.amdhsa_uses_dynamic_stack 0
		.amdhsa_enable_private_segment 0
		.amdhsa_system_sgpr_workgroup_id_x 1
		.amdhsa_system_sgpr_workgroup_id_y 0
		.amdhsa_system_sgpr_workgroup_id_z 0
		.amdhsa_system_sgpr_workgroup_info 0
		.amdhsa_system_vgpr_workitem_id 0
		.amdhsa_next_free_vgpr 9
		.amdhsa_next_free_sgpr 16
		.amdhsa_reserve_vcc 1
		.amdhsa_float_round_mode_32 0
		.amdhsa_float_round_mode_16_64 0
		.amdhsa_float_denorm_mode_32 3
		.amdhsa_float_denorm_mode_16_64 3
		.amdhsa_dx10_clamp 1
		.amdhsa_ieee_mode 1
		.amdhsa_fp16_overflow 0
		.amdhsa_workgroup_processor_mode 1
		.amdhsa_memory_ordered 1
		.amdhsa_forward_progress 0
		.amdhsa_shared_vgpr_count 0
		.amdhsa_exception_fp_ieee_invalid_op 0
		.amdhsa_exception_fp_denorm_src 0
		.amdhsa_exception_fp_ieee_div_zero 0
		.amdhsa_exception_fp_ieee_overflow 0
		.amdhsa_exception_fp_ieee_underflow 0
		.amdhsa_exception_fp_ieee_inexact 0
		.amdhsa_exception_int_div_zero 0
	.end_amdhsa_kernel
	.section	.text._ZN7rocprim6detail31init_lookback_scan_state_kernelINS0_19lookback_scan_stateINS_5tupleIJibEEELb1ELb1EEEEEvT_jjPNS6_10value_typeE,"axG",@progbits,_ZN7rocprim6detail31init_lookback_scan_state_kernelINS0_19lookback_scan_stateINS_5tupleIJibEEELb1ELb1EEEEEvT_jjPNS6_10value_typeE,comdat
.Lfunc_end39:
	.size	_ZN7rocprim6detail31init_lookback_scan_state_kernelINS0_19lookback_scan_stateINS_5tupleIJibEEELb1ELb1EEEEEvT_jjPNS6_10value_typeE, .Lfunc_end39-_ZN7rocprim6detail31init_lookback_scan_state_kernelINS0_19lookback_scan_stateINS_5tupleIJibEEELb1ELb1EEEEEvT_jjPNS6_10value_typeE
                                        ; -- End function
	.section	.AMDGPU.csdata,"",@progbits
; Kernel info:
; codeLenInByte = 508
; NumSgprs: 18
; NumVgprs: 9
; ScratchSize: 0
; MemoryBound: 0
; FloatMode: 240
; IeeeMode: 1
; LDSByteSize: 0 bytes/workgroup (compile time only)
; SGPRBlocks: 2
; VGPRBlocks: 1
; NumSGPRsForWavesPerEU: 18
; NumVGPRsForWavesPerEU: 9
; Occupancy: 16
; WaveLimiterHint : 0
; COMPUTE_PGM_RSRC2:SCRATCH_EN: 0
; COMPUTE_PGM_RSRC2:USER_SGPR: 15
; COMPUTE_PGM_RSRC2:TRAP_HANDLER: 0
; COMPUTE_PGM_RSRC2:TGID_X_EN: 1
; COMPUTE_PGM_RSRC2:TGID_Y_EN: 0
; COMPUTE_PGM_RSRC2:TGID_Z_EN: 0
; COMPUTE_PGM_RSRC2:TIDIG_COMP_CNT: 0
	.section	.text._ZN7rocprim6detail31init_lookback_scan_state_kernelINS0_19lookback_scan_stateINS_5tupleIJibEEELb0ELb1EEEEEvT_jjPNS6_10value_typeE,"axG",@progbits,_ZN7rocprim6detail31init_lookback_scan_state_kernelINS0_19lookback_scan_stateINS_5tupleIJibEEELb0ELb1EEEEEvT_jjPNS6_10value_typeE,comdat
	.protected	_ZN7rocprim6detail31init_lookback_scan_state_kernelINS0_19lookback_scan_stateINS_5tupleIJibEEELb0ELb1EEEEEvT_jjPNS6_10value_typeE ; -- Begin function _ZN7rocprim6detail31init_lookback_scan_state_kernelINS0_19lookback_scan_stateINS_5tupleIJibEEELb0ELb1EEEEEvT_jjPNS6_10value_typeE
	.globl	_ZN7rocprim6detail31init_lookback_scan_state_kernelINS0_19lookback_scan_stateINS_5tupleIJibEEELb0ELb1EEEEEvT_jjPNS6_10value_typeE
	.p2align	8
	.type	_ZN7rocprim6detail31init_lookback_scan_state_kernelINS0_19lookback_scan_stateINS_5tupleIJibEEELb0ELb1EEEEEvT_jjPNS6_10value_typeE,@function
_ZN7rocprim6detail31init_lookback_scan_state_kernelINS0_19lookback_scan_stateINS_5tupleIJibEEELb0ELb1EEEEEvT_jjPNS6_10value_typeE: ; @_ZN7rocprim6detail31init_lookback_scan_state_kernelINS0_19lookback_scan_stateINS_5tupleIJibEEELb0ELb1EEEEEvT_jjPNS6_10value_typeE
; %bb.0:
	s_clause 0x2
	s_load_b32 s6, s[0:1], 0x24
	s_load_b64 s[4:5], s[0:1], 0x10
	s_load_b128 s[0:3], s[0:1], 0x0
	s_waitcnt lgkmcnt(0)
	s_and_b32 s6, s6, 0xffff
	s_cmp_eq_u64 s[4:5], 0
	v_mad_u64_u32 v[1:2], null, s15, s6, v[0:1]
	s_cbranch_scc1 .LBB40_8
; %bb.1:
	s_cmp_lt_u32 s3, s2
	s_mov_b32 s7, 0
	s_cselect_b32 s6, s3, 0
	s_mov_b32 s8, exec_lo
	s_delay_alu instid0(VALU_DEP_1)
	v_cmpx_eq_u32_e64 s6, v1
	s_cbranch_execz .LBB40_7
; %bb.2:
	s_add_i32 s6, s3, 32
	s_mov_b32 s3, exec_lo
	s_lshl_b64 s[6:7], s[6:7], 4
	v_mov_b32_e32 v6, 0
	s_add_u32 s6, s0, s6
	s_addc_u32 s7, s1, s7
	s_delay_alu instid0(SALU_CYCLE_1) | instskip(SKIP_2) | instid1(VALU_DEP_1)
	v_dual_mov_b32 v2, s6 :: v_dual_mov_b32 v3, s7
	;;#ASMSTART
	global_load_dwordx4 v[2:5], v[2:3] off glc	
s_waitcnt vmcnt(0)
	;;#ASMEND
	v_and_b32_e32 v5, 0xff, v4
	v_cmpx_eq_u64_e32 0, v[5:6]
	s_cbranch_execz .LBB40_6
; %bb.3:
	v_dual_mov_b32 v8, s7 :: v_dual_mov_b32 v7, s6
	s_mov_b32 s6, 0
.LBB40_4:                               ; =>This Inner Loop Header: Depth=1
	;;#ASMSTART
	global_load_dwordx4 v[2:5], v[7:8] off glc	
s_waitcnt vmcnt(0)
	;;#ASMEND
	v_and_b32_e32 v5, 0xff, v4
	s_delay_alu instid0(VALU_DEP_1) | instskip(SKIP_1) | instid1(SALU_CYCLE_1)
	v_cmp_ne_u64_e32 vcc_lo, 0, v[5:6]
	s_or_b32 s6, vcc_lo, s6
	s_and_not1_b32 exec_lo, exec_lo, s6
	s_cbranch_execnz .LBB40_4
; %bb.5:
	s_or_b32 exec_lo, exec_lo, s6
.LBB40_6:
	s_delay_alu instid0(SALU_CYCLE_1)
	s_or_b32 exec_lo, exec_lo, s3
	v_mov_b32_e32 v0, 0
	s_clause 0x1
	global_store_b32 v0, v2, s[4:5]
	global_store_b8 v0, v3, s[4:5] offset:4
.LBB40_7:
	s_or_b32 exec_lo, exec_lo, s8
.LBB40_8:
	s_delay_alu instid0(VALU_DEP_1)
	v_cmp_gt_u32_e32 vcc_lo, s2, v1
	s_and_saveexec_b32 s2, vcc_lo
	s_cbranch_execz .LBB40_10
; %bb.9:
	v_dual_mov_b32 v3, 0 :: v_dual_add_nc_u32 v2, 32, v1
	s_delay_alu instid0(VALU_DEP_1) | instskip(SKIP_2) | instid1(VALU_DEP_3)
	v_lshlrev_b64 v[5:6], 4, v[2:3]
	v_mov_b32_e32 v2, v3
	v_mov_b32_e32 v4, v3
	v_add_co_u32 v7, vcc_lo, s0, v5
	s_delay_alu instid0(VALU_DEP_4)
	v_add_co_ci_u32_e32 v8, vcc_lo, s1, v6, vcc_lo
	v_mov_b32_e32 v5, v3
	global_store_b128 v[7:8], v[2:5], off
.LBB40_10:
	s_or_b32 exec_lo, exec_lo, s2
	s_delay_alu instid0(SALU_CYCLE_1)
	s_mov_b32 s2, exec_lo
	v_cmpx_gt_u32_e32 32, v1
	s_cbranch_execz .LBB40_12
; %bb.11:
	v_dual_mov_b32 v2, 0 :: v_dual_mov_b32 v3, 0xff
	s_delay_alu instid0(VALU_DEP_1) | instskip(SKIP_1) | instid1(VALU_DEP_2)
	v_lshlrev_b64 v[4:5], 4, v[1:2]
	v_mov_b32_e32 v1, v2
	v_add_co_u32 v6, vcc_lo, s0, v4
	s_delay_alu instid0(VALU_DEP_3)
	v_add_co_ci_u32_e32 v7, vcc_lo, s1, v5, vcc_lo
	v_mov_b32_e32 v4, v2
	global_store_b128 v[6:7], v[1:4], off
.LBB40_12:
	s_nop 0
	s_sendmsg sendmsg(MSG_DEALLOC_VGPRS)
	s_endpgm
	.section	.rodata,"a",@progbits
	.p2align	6, 0x0
	.amdhsa_kernel _ZN7rocprim6detail31init_lookback_scan_state_kernelINS0_19lookback_scan_stateINS_5tupleIJibEEELb0ELb1EEEEEvT_jjPNS6_10value_typeE
		.amdhsa_group_segment_fixed_size 0
		.amdhsa_private_segment_fixed_size 0
		.amdhsa_kernarg_size 280
		.amdhsa_user_sgpr_count 15
		.amdhsa_user_sgpr_dispatch_ptr 0
		.amdhsa_user_sgpr_queue_ptr 0
		.amdhsa_user_sgpr_kernarg_segment_ptr 1
		.amdhsa_user_sgpr_dispatch_id 0
		.amdhsa_user_sgpr_private_segment_size 0
		.amdhsa_wavefront_size32 1
		.amdhsa_uses_dynamic_stack 0
		.amdhsa_enable_private_segment 0
		.amdhsa_system_sgpr_workgroup_id_x 1
		.amdhsa_system_sgpr_workgroup_id_y 0
		.amdhsa_system_sgpr_workgroup_id_z 0
		.amdhsa_system_sgpr_workgroup_info 0
		.amdhsa_system_vgpr_workitem_id 0
		.amdhsa_next_free_vgpr 9
		.amdhsa_next_free_sgpr 16
		.amdhsa_reserve_vcc 1
		.amdhsa_float_round_mode_32 0
		.amdhsa_float_round_mode_16_64 0
		.amdhsa_float_denorm_mode_32 3
		.amdhsa_float_denorm_mode_16_64 3
		.amdhsa_dx10_clamp 1
		.amdhsa_ieee_mode 1
		.amdhsa_fp16_overflow 0
		.amdhsa_workgroup_processor_mode 1
		.amdhsa_memory_ordered 1
		.amdhsa_forward_progress 0
		.amdhsa_shared_vgpr_count 0
		.amdhsa_exception_fp_ieee_invalid_op 0
		.amdhsa_exception_fp_denorm_src 0
		.amdhsa_exception_fp_ieee_div_zero 0
		.amdhsa_exception_fp_ieee_overflow 0
		.amdhsa_exception_fp_ieee_underflow 0
		.amdhsa_exception_fp_ieee_inexact 0
		.amdhsa_exception_int_div_zero 0
	.end_amdhsa_kernel
	.section	.text._ZN7rocprim6detail31init_lookback_scan_state_kernelINS0_19lookback_scan_stateINS_5tupleIJibEEELb0ELb1EEEEEvT_jjPNS6_10value_typeE,"axG",@progbits,_ZN7rocprim6detail31init_lookback_scan_state_kernelINS0_19lookback_scan_stateINS_5tupleIJibEEELb0ELb1EEEEEvT_jjPNS6_10value_typeE,comdat
.Lfunc_end40:
	.size	_ZN7rocprim6detail31init_lookback_scan_state_kernelINS0_19lookback_scan_stateINS_5tupleIJibEEELb0ELb1EEEEEvT_jjPNS6_10value_typeE, .Lfunc_end40-_ZN7rocprim6detail31init_lookback_scan_state_kernelINS0_19lookback_scan_stateINS_5tupleIJibEEELb0ELb1EEEEEvT_jjPNS6_10value_typeE
                                        ; -- End function
	.section	.AMDGPU.csdata,"",@progbits
; Kernel info:
; codeLenInByte = 460
; NumSgprs: 18
; NumVgprs: 9
; ScratchSize: 0
; MemoryBound: 0
; FloatMode: 240
; IeeeMode: 1
; LDSByteSize: 0 bytes/workgroup (compile time only)
; SGPRBlocks: 2
; VGPRBlocks: 1
; NumSGPRsForWavesPerEU: 18
; NumVGPRsForWavesPerEU: 9
; Occupancy: 16
; WaveLimiterHint : 0
; COMPUTE_PGM_RSRC2:SCRATCH_EN: 0
; COMPUTE_PGM_RSRC2:USER_SGPR: 15
; COMPUTE_PGM_RSRC2:TRAP_HANDLER: 0
; COMPUTE_PGM_RSRC2:TGID_X_EN: 1
; COMPUTE_PGM_RSRC2:TGID_Y_EN: 0
; COMPUTE_PGM_RSRC2:TGID_Z_EN: 0
; COMPUTE_PGM_RSRC2:TIDIG_COMP_CNT: 0
	.section	.text._ZN7rocprim6detail25device_scan_by_key_kernelILNS0_25lookback_scan_determinismE0ELb0ENS0_26wrapped_scan_by_key_configINS_14default_configEiiEEPiN6hipcub22TransformInputIteratorIiNS7_6CastOpIiEES6_lEEPliNS7_8EqualityENS7_3SumENS0_19lookback_scan_stateINS_5tupleIJibEEELb1ELb1EEEiEEvT2_T3_T4_T5_T6_T7_T8_mmmPKNSG_IJT9_bEEE,"axG",@progbits,_ZN7rocprim6detail25device_scan_by_key_kernelILNS0_25lookback_scan_determinismE0ELb0ENS0_26wrapped_scan_by_key_configINS_14default_configEiiEEPiN6hipcub22TransformInputIteratorIiNS7_6CastOpIiEES6_lEEPliNS7_8EqualityENS7_3SumENS0_19lookback_scan_stateINS_5tupleIJibEEELb1ELb1EEEiEEvT2_T3_T4_T5_T6_T7_T8_mmmPKNSG_IJT9_bEEE,comdat
	.protected	_ZN7rocprim6detail25device_scan_by_key_kernelILNS0_25lookback_scan_determinismE0ELb0ENS0_26wrapped_scan_by_key_configINS_14default_configEiiEEPiN6hipcub22TransformInputIteratorIiNS7_6CastOpIiEES6_lEEPliNS7_8EqualityENS7_3SumENS0_19lookback_scan_stateINS_5tupleIJibEEELb1ELb1EEEiEEvT2_T3_T4_T5_T6_T7_T8_mmmPKNSG_IJT9_bEEE ; -- Begin function _ZN7rocprim6detail25device_scan_by_key_kernelILNS0_25lookback_scan_determinismE0ELb0ENS0_26wrapped_scan_by_key_configINS_14default_configEiiEEPiN6hipcub22TransformInputIteratorIiNS7_6CastOpIiEES6_lEEPliNS7_8EqualityENS7_3SumENS0_19lookback_scan_stateINS_5tupleIJibEEELb1ELb1EEEiEEvT2_T3_T4_T5_T6_T7_T8_mmmPKNSG_IJT9_bEEE
	.globl	_ZN7rocprim6detail25device_scan_by_key_kernelILNS0_25lookback_scan_determinismE0ELb0ENS0_26wrapped_scan_by_key_configINS_14default_configEiiEEPiN6hipcub22TransformInputIteratorIiNS7_6CastOpIiEES6_lEEPliNS7_8EqualityENS7_3SumENS0_19lookback_scan_stateINS_5tupleIJibEEELb1ELb1EEEiEEvT2_T3_T4_T5_T6_T7_T8_mmmPKNSG_IJT9_bEEE
	.p2align	8
	.type	_ZN7rocprim6detail25device_scan_by_key_kernelILNS0_25lookback_scan_determinismE0ELb0ENS0_26wrapped_scan_by_key_configINS_14default_configEiiEEPiN6hipcub22TransformInputIteratorIiNS7_6CastOpIiEES6_lEEPliNS7_8EqualityENS7_3SumENS0_19lookback_scan_stateINS_5tupleIJibEEELb1ELb1EEEiEEvT2_T3_T4_T5_T6_T7_T8_mmmPKNSG_IJT9_bEEE,@function
_ZN7rocprim6detail25device_scan_by_key_kernelILNS0_25lookback_scan_determinismE0ELb0ENS0_26wrapped_scan_by_key_configINS_14default_configEiiEEPiN6hipcub22TransformInputIteratorIiNS7_6CastOpIiEES6_lEEPliNS7_8EqualityENS7_3SumENS0_19lookback_scan_stateINS_5tupleIJibEEELb1ELb1EEEiEEvT2_T3_T4_T5_T6_T7_T8_mmmPKNSG_IJT9_bEEE: ; @_ZN7rocprim6detail25device_scan_by_key_kernelILNS0_25lookback_scan_determinismE0ELb0ENS0_26wrapped_scan_by_key_configINS_14default_configEiiEEPiN6hipcub22TransformInputIteratorIiNS7_6CastOpIiEES6_lEEPliNS7_8EqualityENS7_3SumENS0_19lookback_scan_stateINS_5tupleIJibEEELb1ELb1EEEiEEvT2_T3_T4_T5_T6_T7_T8_mmmPKNSG_IJT9_bEEE
; %bb.0:
	s_endpgm
	.section	.rodata,"a",@progbits
	.p2align	6, 0x0
	.amdhsa_kernel _ZN7rocprim6detail25device_scan_by_key_kernelILNS0_25lookback_scan_determinismE0ELb0ENS0_26wrapped_scan_by_key_configINS_14default_configEiiEEPiN6hipcub22TransformInputIteratorIiNS7_6CastOpIiEES6_lEEPliNS7_8EqualityENS7_3SumENS0_19lookback_scan_stateINS_5tupleIJibEEELb1ELb1EEEiEEvT2_T3_T4_T5_T6_T7_T8_mmmPKNSG_IJT9_bEEE
		.amdhsa_group_segment_fixed_size 0
		.amdhsa_private_segment_fixed_size 0
		.amdhsa_kernarg_size 80
		.amdhsa_user_sgpr_count 15
		.amdhsa_user_sgpr_dispatch_ptr 0
		.amdhsa_user_sgpr_queue_ptr 0
		.amdhsa_user_sgpr_kernarg_segment_ptr 1
		.amdhsa_user_sgpr_dispatch_id 0
		.amdhsa_user_sgpr_private_segment_size 0
		.amdhsa_wavefront_size32 1
		.amdhsa_uses_dynamic_stack 0
		.amdhsa_enable_private_segment 0
		.amdhsa_system_sgpr_workgroup_id_x 1
		.amdhsa_system_sgpr_workgroup_id_y 0
		.amdhsa_system_sgpr_workgroup_id_z 0
		.amdhsa_system_sgpr_workgroup_info 0
		.amdhsa_system_vgpr_workitem_id 0
		.amdhsa_next_free_vgpr 1
		.amdhsa_next_free_sgpr 1
		.amdhsa_reserve_vcc 0
		.amdhsa_float_round_mode_32 0
		.amdhsa_float_round_mode_16_64 0
		.amdhsa_float_denorm_mode_32 3
		.amdhsa_float_denorm_mode_16_64 3
		.amdhsa_dx10_clamp 1
		.amdhsa_ieee_mode 1
		.amdhsa_fp16_overflow 0
		.amdhsa_workgroup_processor_mode 1
		.amdhsa_memory_ordered 1
		.amdhsa_forward_progress 0
		.amdhsa_shared_vgpr_count 0
		.amdhsa_exception_fp_ieee_invalid_op 0
		.amdhsa_exception_fp_denorm_src 0
		.amdhsa_exception_fp_ieee_div_zero 0
		.amdhsa_exception_fp_ieee_overflow 0
		.amdhsa_exception_fp_ieee_underflow 0
		.amdhsa_exception_fp_ieee_inexact 0
		.amdhsa_exception_int_div_zero 0
	.end_amdhsa_kernel
	.section	.text._ZN7rocprim6detail25device_scan_by_key_kernelILNS0_25lookback_scan_determinismE0ELb0ENS0_26wrapped_scan_by_key_configINS_14default_configEiiEEPiN6hipcub22TransformInputIteratorIiNS7_6CastOpIiEES6_lEEPliNS7_8EqualityENS7_3SumENS0_19lookback_scan_stateINS_5tupleIJibEEELb1ELb1EEEiEEvT2_T3_T4_T5_T6_T7_T8_mmmPKNSG_IJT9_bEEE,"axG",@progbits,_ZN7rocprim6detail25device_scan_by_key_kernelILNS0_25lookback_scan_determinismE0ELb0ENS0_26wrapped_scan_by_key_configINS_14default_configEiiEEPiN6hipcub22TransformInputIteratorIiNS7_6CastOpIiEES6_lEEPliNS7_8EqualityENS7_3SumENS0_19lookback_scan_stateINS_5tupleIJibEEELb1ELb1EEEiEEvT2_T3_T4_T5_T6_T7_T8_mmmPKNSG_IJT9_bEEE,comdat
.Lfunc_end41:
	.size	_ZN7rocprim6detail25device_scan_by_key_kernelILNS0_25lookback_scan_determinismE0ELb0ENS0_26wrapped_scan_by_key_configINS_14default_configEiiEEPiN6hipcub22TransformInputIteratorIiNS7_6CastOpIiEES6_lEEPliNS7_8EqualityENS7_3SumENS0_19lookback_scan_stateINS_5tupleIJibEEELb1ELb1EEEiEEvT2_T3_T4_T5_T6_T7_T8_mmmPKNSG_IJT9_bEEE, .Lfunc_end41-_ZN7rocprim6detail25device_scan_by_key_kernelILNS0_25lookback_scan_determinismE0ELb0ENS0_26wrapped_scan_by_key_configINS_14default_configEiiEEPiN6hipcub22TransformInputIteratorIiNS7_6CastOpIiEES6_lEEPliNS7_8EqualityENS7_3SumENS0_19lookback_scan_stateINS_5tupleIJibEEELb1ELb1EEEiEEvT2_T3_T4_T5_T6_T7_T8_mmmPKNSG_IJT9_bEEE
                                        ; -- End function
	.section	.AMDGPU.csdata,"",@progbits
; Kernel info:
; codeLenInByte = 4
; NumSgprs: 0
; NumVgprs: 0
; ScratchSize: 0
; MemoryBound: 0
; FloatMode: 240
; IeeeMode: 1
; LDSByteSize: 0 bytes/workgroup (compile time only)
; SGPRBlocks: 0
; VGPRBlocks: 0
; NumSGPRsForWavesPerEU: 1
; NumVGPRsForWavesPerEU: 1
; Occupancy: 16
; WaveLimiterHint : 0
; COMPUTE_PGM_RSRC2:SCRATCH_EN: 0
; COMPUTE_PGM_RSRC2:USER_SGPR: 15
; COMPUTE_PGM_RSRC2:TRAP_HANDLER: 0
; COMPUTE_PGM_RSRC2:TGID_X_EN: 1
; COMPUTE_PGM_RSRC2:TGID_Y_EN: 0
; COMPUTE_PGM_RSRC2:TGID_Z_EN: 0
; COMPUTE_PGM_RSRC2:TIDIG_COMP_CNT: 0
	.section	.text._ZN7rocprim6detail25device_scan_by_key_kernelILNS0_25lookback_scan_determinismE0ELb0ENS0_26wrapped_scan_by_key_configINS_14default_configEiiEEPiN6hipcub22TransformInputIteratorIiNS7_6CastOpIiEES6_lEEPliNS7_8EqualityENS7_3SumENS0_19lookback_scan_stateINS_5tupleIJibEEELb0ELb1EEEiEEvT2_T3_T4_T5_T6_T7_T8_mmmPKNSG_IJT9_bEEE,"axG",@progbits,_ZN7rocprim6detail25device_scan_by_key_kernelILNS0_25lookback_scan_determinismE0ELb0ENS0_26wrapped_scan_by_key_configINS_14default_configEiiEEPiN6hipcub22TransformInputIteratorIiNS7_6CastOpIiEES6_lEEPliNS7_8EqualityENS7_3SumENS0_19lookback_scan_stateINS_5tupleIJibEEELb0ELb1EEEiEEvT2_T3_T4_T5_T6_T7_T8_mmmPKNSG_IJT9_bEEE,comdat
	.protected	_ZN7rocprim6detail25device_scan_by_key_kernelILNS0_25lookback_scan_determinismE0ELb0ENS0_26wrapped_scan_by_key_configINS_14default_configEiiEEPiN6hipcub22TransformInputIteratorIiNS7_6CastOpIiEES6_lEEPliNS7_8EqualityENS7_3SumENS0_19lookback_scan_stateINS_5tupleIJibEEELb0ELb1EEEiEEvT2_T3_T4_T5_T6_T7_T8_mmmPKNSG_IJT9_bEEE ; -- Begin function _ZN7rocprim6detail25device_scan_by_key_kernelILNS0_25lookback_scan_determinismE0ELb0ENS0_26wrapped_scan_by_key_configINS_14default_configEiiEEPiN6hipcub22TransformInputIteratorIiNS7_6CastOpIiEES6_lEEPliNS7_8EqualityENS7_3SumENS0_19lookback_scan_stateINS_5tupleIJibEEELb0ELb1EEEiEEvT2_T3_T4_T5_T6_T7_T8_mmmPKNSG_IJT9_bEEE
	.globl	_ZN7rocprim6detail25device_scan_by_key_kernelILNS0_25lookback_scan_determinismE0ELb0ENS0_26wrapped_scan_by_key_configINS_14default_configEiiEEPiN6hipcub22TransformInputIteratorIiNS7_6CastOpIiEES6_lEEPliNS7_8EqualityENS7_3SumENS0_19lookback_scan_stateINS_5tupleIJibEEELb0ELb1EEEiEEvT2_T3_T4_T5_T6_T7_T8_mmmPKNSG_IJT9_bEEE
	.p2align	8
	.type	_ZN7rocprim6detail25device_scan_by_key_kernelILNS0_25lookback_scan_determinismE0ELb0ENS0_26wrapped_scan_by_key_configINS_14default_configEiiEEPiN6hipcub22TransformInputIteratorIiNS7_6CastOpIiEES6_lEEPliNS7_8EqualityENS7_3SumENS0_19lookback_scan_stateINS_5tupleIJibEEELb0ELb1EEEiEEvT2_T3_T4_T5_T6_T7_T8_mmmPKNSG_IJT9_bEEE,@function
_ZN7rocprim6detail25device_scan_by_key_kernelILNS0_25lookback_scan_determinismE0ELb0ENS0_26wrapped_scan_by_key_configINS_14default_configEiiEEPiN6hipcub22TransformInputIteratorIiNS7_6CastOpIiEES6_lEEPliNS7_8EqualityENS7_3SumENS0_19lookback_scan_stateINS_5tupleIJibEEELb0ELb1EEEiEEvT2_T3_T4_T5_T6_T7_T8_mmmPKNSG_IJT9_bEEE: ; @_ZN7rocprim6detail25device_scan_by_key_kernelILNS0_25lookback_scan_determinismE0ELb0ENS0_26wrapped_scan_by_key_configINS_14default_configEiiEEPiN6hipcub22TransformInputIteratorIiNS7_6CastOpIiEES6_lEEPliNS7_8EqualityENS7_3SumENS0_19lookback_scan_stateINS_5tupleIJibEEELb0ELb1EEEiEEvT2_T3_T4_T5_T6_T7_T8_mmmPKNSG_IJT9_bEEE
; %bb.0:
	s_clause 0x1
	s_load_b128 s[4:7], s[0:1], 0x0
	s_load_b256 s[16:23], s[0:1], 0x28
	s_mov_b32 s35, 0
	s_mul_i32 s34, s15, 0x900
	s_load_b64 s[12:13], s[0:1], 0x48
	s_lshl_b64 s[2:3], s[34:35], 2
	v_lshlrev_b32_e32 v29, 2, v0
	s_waitcnt lgkmcnt(0)
	s_add_u32 s38, s4, s2
	s_addc_u32 s39, s5, s3
	s_add_u32 s36, s6, s2
	s_addc_u32 s37, s7, s3
	;; [unrolled: 2-line block ×3, first 2 shown]
	s_add_u32 s4, s22, -1
	s_addc_u32 s5, s23, -1
	s_mul_i32 s19, s4, 0xfffff700
	v_cmp_ge_u64_e64 s22, s[2:3], s[4:5]
	s_delay_alu instid0(VALU_DEP_1)
	s_and_b32 vcc_lo, exec_lo, s22
	s_cbranch_vccz .LBB42_29
; %bb.1:
	s_load_b32 s10, s[38:39], 0x0
	s_add_i32 s14, s19, s18
	v_add_co_u32 v1, s2, s38, v29
	s_delay_alu instid0(VALU_DEP_1)
	v_add_co_ci_u32_e64 v2, null, s39, 0, s2
	v_cmp_gt_u32_e32 vcc_lo, s14, v0
	s_waitcnt lgkmcnt(0)
	v_mov_b32_e32 v3, s10
	s_and_saveexec_b32 s2, vcc_lo
	s_cbranch_execz .LBB42_3
; %bb.2:
	global_load_b32 v3, v[1:2], off
.LBB42_3:
	s_or_b32 exec_lo, exec_lo, s2
	v_or_b32_e32 v4, 0x100, v0
	s_delay_alu instid0(VALU_DEP_1) | instskip(SKIP_1) | instid1(VALU_DEP_2)
	v_cmp_gt_u32_e64 s2, s14, v4
	v_mov_b32_e32 v4, s10
	s_and_saveexec_b32 s3, s2
	s_cbranch_execz .LBB42_5
; %bb.4:
	global_load_b32 v4, v[1:2], off offset:1024
.LBB42_5:
	s_or_b32 exec_lo, exec_lo, s3
	v_or_b32_e32 v5, 0x200, v0
	s_delay_alu instid0(VALU_DEP_1) | instskip(SKIP_1) | instid1(VALU_DEP_2)
	v_cmp_gt_u32_e64 s3, s14, v5
	v_mov_b32_e32 v5, s10
	s_and_saveexec_b32 s4, s3
	s_cbranch_execz .LBB42_7
; %bb.6:
	global_load_b32 v5, v[1:2], off offset:2048
.LBB42_7:
	;; [unrolled: 10-line block ×3, first 2 shown]
	s_or_b32 exec_lo, exec_lo, s5
	v_or_b32_e32 v7, 0x400, v0
	s_delay_alu instid0(VALU_DEP_1) | instskip(SKIP_1) | instid1(VALU_DEP_2)
	v_cmp_gt_u32_e64 s5, s14, v7
	v_mov_b32_e32 v7, s10
	s_and_saveexec_b32 s7, s5
	s_cbranch_execz .LBB42_11
; %bb.10:
	v_add_co_u32 v7, s6, 0x1000, v1
	s_delay_alu instid0(VALU_DEP_1)
	v_add_co_ci_u32_e64 v8, s6, 0, v2, s6
	global_load_b32 v7, v[7:8], off
.LBB42_11:
	s_or_b32 exec_lo, exec_lo, s7
	v_or_b32_e32 v8, 0x500, v0
	s_delay_alu instid0(VALU_DEP_1) | instskip(SKIP_1) | instid1(VALU_DEP_2)
	v_cmp_gt_u32_e64 s6, s14, v8
	v_mov_b32_e32 v8, s10
	s_and_saveexec_b32 s8, s6
	s_cbranch_execz .LBB42_13
; %bb.12:
	v_add_co_u32 v8, s7, 0x1000, v1
	s_delay_alu instid0(VALU_DEP_1)
	v_add_co_ci_u32_e64 v9, s7, 0, v2, s7
	global_load_b32 v8, v[8:9], off offset:1024
.LBB42_13:
	s_or_b32 exec_lo, exec_lo, s8
	v_or_b32_e32 v9, 0x600, v0
	s_delay_alu instid0(VALU_DEP_1) | instskip(SKIP_1) | instid1(VALU_DEP_2)
	v_cmp_gt_u32_e64 s7, s14, v9
	v_mov_b32_e32 v9, s10
	s_and_saveexec_b32 s9, s7
	s_cbranch_execz .LBB42_15
; %bb.14:
	v_add_co_u32 v9, s8, 0x1000, v1
	s_delay_alu instid0(VALU_DEP_1)
	v_add_co_ci_u32_e64 v10, s8, 0, v2, s8
	global_load_b32 v9, v[9:10], off offset:2048
.LBB42_15:
	;; [unrolled: 13-line block ×3, first 2 shown]
	s_or_b32 exec_lo, exec_lo, s11
	v_or_b32_e32 v11, 0x800, v0
	s_delay_alu instid0(VALU_DEP_1) | instskip(SKIP_1) | instid1(VALU_DEP_2)
	v_cmp_gt_u32_e64 s9, s14, v11
	v_mov_b32_e32 v11, s10
	s_and_saveexec_b32 s11, s9
	s_cbranch_execz .LBB42_19
; %bb.18:
	v_add_co_u32 v1, s10, 0x2000, v1
	s_delay_alu instid0(VALU_DEP_1)
	v_add_co_ci_u32_e64 v2, s10, 0, v2, s10
	global_load_b32 v11, v[1:2], off
.LBB42_19:
	s_or_b32 exec_lo, exec_lo, s11
	s_sub_u32 s10, 0, s15
	s_subb_u32 s11, 0, 0
	s_waitcnt vmcnt(0)
	ds_store_2addr_stride64_b32 v29, v3, v4 offset1:4
	ds_store_2addr_stride64_b32 v29, v5, v6 offset0:8 offset1:12
	ds_store_2addr_stride64_b32 v29, v7, v8 offset0:16 offset1:20
	;; [unrolled: 1-line block ×3, first 2 shown]
	ds_store_b32 v29, v11 offset:8192
	s_cmp_eq_u64 s[10:11], s[20:21]
	s_waitcnt lgkmcnt(0)
	s_cselect_b32 s10, 0, -4
	s_cselect_b32 s11, 0, -1
	s_add_u32 s10, s38, s10
	s_addc_u32 s11, s39, s11
	s_barrier
	buffer_gl0_inv
	s_load_b32 s11, s[10:11], 0x0
	s_waitcnt lgkmcnt(0)
	v_dual_mov_b32 v26, s11 :: v_dual_lshlrev_b32 v1, 5, v0
	s_delay_alu instid0(VALU_DEP_1)
	v_add_nc_u32_e32 v28, v29, v1
	s_mov_b32 s11, exec_lo
	ds_load_b32 v30, v28 offset:32
	ds_load_2addr_b32 v[24:25], v28 offset1:1
	ds_load_2addr_b32 v[22:23], v28 offset0:2 offset1:3
	ds_load_2addr_b32 v[11:12], v28 offset0:4 offset1:5
	;; [unrolled: 1-line block ×3, first 2 shown]
	s_waitcnt lgkmcnt(4)
	ds_store_b32 v29, v30 offset:9216
	s_waitcnt lgkmcnt(0)
	s_barrier
	buffer_gl0_inv
	v_cmpx_ne_u32_e32 0, v0
	s_cbranch_execz .LBB42_21
; %bb.20:
	v_sub_nc_u32_e32 v1, 0, v1
	s_delay_alu instid0(VALU_DEP_1)
	v_add_nc_u32_e32 v1, v28, v1
	ds_load_b32 v26, v1 offset:9212
.LBB42_21:
	s_or_b32 exec_lo, exec_lo, s11
	v_add_co_u32 v1, s10, s36, v29
	s_delay_alu instid0(VALU_DEP_1)
	v_add_co_ci_u32_e64 v2, null, s37, 0, s10
	s_waitcnt lgkmcnt(0)
	s_barrier
	buffer_gl0_inv
                                        ; implicit-def: $vgpr3
	s_and_saveexec_b32 s10, vcc_lo
	s_cbranch_execz .LBB42_30
; %bb.22:
	global_load_b32 v3, v[1:2], off
	s_or_b32 exec_lo, exec_lo, s10
                                        ; implicit-def: $vgpr4
	s_and_saveexec_b32 s10, s2
	s_cbranch_execnz .LBB42_31
.LBB42_23:
	s_or_b32 exec_lo, exec_lo, s10
                                        ; implicit-def: $vgpr5
	s_and_saveexec_b32 s2, s3
	s_cbranch_execz .LBB42_32
.LBB42_24:
	global_load_b32 v5, v[1:2], off offset:2048
	s_or_b32 exec_lo, exec_lo, s2
                                        ; implicit-def: $vgpr6
	s_and_saveexec_b32 s2, s4
	s_cbranch_execnz .LBB42_33
.LBB42_25:
	s_or_b32 exec_lo, exec_lo, s2
                                        ; implicit-def: $vgpr7
	s_and_saveexec_b32 s2, s5
	s_cbranch_execz .LBB42_34
.LBB42_26:
	v_add_co_u32 v7, vcc_lo, 0x1000, v1
	v_add_co_ci_u32_e32 v8, vcc_lo, 0, v2, vcc_lo
	global_load_b32 v7, v[7:8], off
	s_or_b32 exec_lo, exec_lo, s2
                                        ; implicit-def: $vgpr8
	s_and_saveexec_b32 s2, s6
	s_cbranch_execnz .LBB42_35
.LBB42_27:
	s_or_b32 exec_lo, exec_lo, s2
                                        ; implicit-def: $vgpr13
	s_and_saveexec_b32 s2, s7
	s_cbranch_execz .LBB42_36
.LBB42_28:
	v_add_co_u32 v13, vcc_lo, 0x1000, v1
	v_add_co_ci_u32_e32 v14, vcc_lo, 0, v2, vcc_lo
	global_load_b32 v13, v[13:14], off offset:2048
	s_or_b32 exec_lo, exec_lo, s2
                                        ; implicit-def: $vgpr14
	s_and_saveexec_b32 s2, s8
	s_cbranch_execz .LBB42_38
	s_branch .LBB42_37
.LBB42_29:
	s_mov_b32 s3, s35
                                        ; implicit-def: $sgpr8
                                        ; implicit-def: $vgpr1_vgpr2_vgpr3_vgpr4_vgpr5_vgpr6_vgpr7_vgpr8
                                        ; implicit-def: $vgpr13
                                        ; implicit-def: $vgpr14_vgpr15
                                        ; implicit-def: $vgpr16_vgpr17
                                        ; implicit-def: $vgpr18_vgpr19
                                        ; implicit-def: $vgpr20_vgpr21
                                        ; implicit-def: $sgpr6_sgpr7
	v_lshlrev_b32_e32 v28, 5, v0
	v_cmp_ne_u32_e64 s2, 0, v0
	s_cbranch_execz .LBB42_60
	s_branch .LBB42_57
.LBB42_30:
	s_or_b32 exec_lo, exec_lo, s10
                                        ; implicit-def: $vgpr4
	s_and_saveexec_b32 s10, s2
	s_cbranch_execz .LBB42_23
.LBB42_31:
	global_load_b32 v4, v[1:2], off offset:1024
	s_or_b32 exec_lo, exec_lo, s10
                                        ; implicit-def: $vgpr5
	s_and_saveexec_b32 s2, s3
	s_cbranch_execnz .LBB42_24
.LBB42_32:
	s_or_b32 exec_lo, exec_lo, s2
                                        ; implicit-def: $vgpr6
	s_and_saveexec_b32 s2, s4
	s_cbranch_execz .LBB42_25
.LBB42_33:
	global_load_b32 v6, v[1:2], off offset:3072
	s_or_b32 exec_lo, exec_lo, s2
                                        ; implicit-def: $vgpr7
	s_and_saveexec_b32 s2, s5
	s_cbranch_execnz .LBB42_26
.LBB42_34:
	s_or_b32 exec_lo, exec_lo, s2
                                        ; implicit-def: $vgpr8
	s_and_saveexec_b32 s2, s6
	s_cbranch_execz .LBB42_27
.LBB42_35:
	v_add_co_u32 v13, vcc_lo, 0x1000, v1
	v_add_co_ci_u32_e32 v14, vcc_lo, 0, v2, vcc_lo
	global_load_b32 v8, v[13:14], off offset:1024
	s_or_b32 exec_lo, exec_lo, s2
                                        ; implicit-def: $vgpr13
	s_and_saveexec_b32 s2, s7
	s_cbranch_execnz .LBB42_28
.LBB42_36:
	s_or_b32 exec_lo, exec_lo, s2
                                        ; implicit-def: $vgpr14
	s_and_saveexec_b32 s2, s8
	s_cbranch_execz .LBB42_38
.LBB42_37:
	v_add_co_u32 v14, vcc_lo, 0x1000, v1
	v_add_co_ci_u32_e32 v15, vcc_lo, 0, v2, vcc_lo
	global_load_b32 v14, v[14:15], off offset:3072
.LBB42_38:
	s_or_b32 exec_lo, exec_lo, s2
	v_mul_u32_u24_e32 v31, 9, v0
                                        ; implicit-def: $vgpr15
	s_and_saveexec_b32 s2, s9
	s_cbranch_execz .LBB42_40
; %bb.39:
	v_add_co_u32 v1, vcc_lo, 0x2000, v1
	v_add_co_ci_u32_e32 v2, vcc_lo, 0, v2, vcc_lo
	global_load_b32 v15, v[1:2], off
.LBB42_40:
	s_or_b32 exec_lo, exec_lo, s2
	s_mov_b32 s4, 0
	s_waitcnt vmcnt(0)
	ds_store_2addr_stride64_b32 v29, v3, v4 offset1:4
	ds_store_2addr_stride64_b32 v29, v5, v6 offset0:8 offset1:12
	ds_store_2addr_stride64_b32 v29, v7, v8 offset0:16 offset1:20
	;; [unrolled: 1-line block ×3, first 2 shown]
	ds_store_b32 v29, v15 offset:8192
	s_mov_b32 s5, s4
	s_mov_b32 s6, s4
	;; [unrolled: 1-line block ×7, first 2 shown]
	v_dual_mov_b32 v14, 0 :: v_dual_mov_b32 v1, s4
	v_dual_mov_b32 v15, 0 :: v_dual_mov_b32 v2, s5
	;; [unrolled: 1-line block ×5, first 2 shown]
	s_delay_alu instid0(VALU_DEP_4)
	v_dual_mov_b32 v17, v15 :: v_dual_mov_b32 v16, v14
	v_dual_mov_b32 v19, v15 :: v_dual_mov_b32 v18, v14
	;; [unrolled: 1-line block ×3, first 2 shown]
	s_mov_b64 s[6:7], 0
	s_mov_b32 s3, 0
	s_mov_b32 s5, exec_lo
	s_waitcnt lgkmcnt(0)
	s_barrier
	buffer_gl0_inv
                                        ; implicit-def: $sgpr8
                                        ; implicit-def: $vgpr13
	v_cmpx_gt_u32_e64 s14, v31
	s_cbranch_execz .LBB42_56
; %bb.41:
	ds_load_b32 v14, v28
	s_mov_b32 s24, 0
	v_dual_mov_b32 v16, 0 :: v_dual_add_nc_u32 v1, 1, v31
	v_cmp_ne_u32_e32 vcc_lo, v26, v24
	s_mov_b32 s25, s24
	s_mov_b32 s26, s24
	;; [unrolled: 1-line block ×7, first 2 shown]
	v_mov_b32_e32 v17, 0
	v_cndmask_b32_e64 v15, 0, 1, vcc_lo
	v_cmp_gt_u32_e32 vcc_lo, s14, v1
	v_dual_mov_b32 v1, s24 :: v_dual_mov_b32 v4, s27
	s_delay_alu instid0(VALU_DEP_4)
	v_dual_mov_b32 v2, s25 :: v_dual_mov_b32 v19, v17
	v_dual_mov_b32 v21, v17 :: v_dual_mov_b32 v20, v16
	;; [unrolled: 1-line block ×5, first 2 shown]
                                        ; implicit-def: $sgpr2
                                        ; implicit-def: $vgpr13
	s_and_saveexec_b32 s8, vcc_lo
	s_cbranch_execz .LBB42_55
; %bb.42:
	ds_load_2addr_b32 v[26:27], v28 offset0:1 offset1:2
	v_dual_mov_b32 v18, 0 :: v_dual_add_nc_u32 v13, 2, v31
	s_mov_b32 s25, s24
	s_mov_b32 s26, s24
	;; [unrolled: 1-line block ×7, first 2 shown]
	v_mov_b32_e32 v19, 0
	v_cmp_ne_u32_e32 vcc_lo, v24, v25
	v_dual_mov_b32 v1, s24 :: v_dual_mov_b32 v4, s27
	v_dual_mov_b32 v2, s25 :: v_dual_mov_b32 v3, s26
	v_mov_b32_e32 v6, s29
	v_cndmask_b32_e64 v17, 0, 1, vcc_lo
	v_dual_mov_b32 v5, s28 :: v_dual_mov_b32 v8, s31
	s_waitcnt lgkmcnt(0)
	v_dual_mov_b32 v7, s30 :: v_dual_mov_b32 v16, v26
	v_cmp_gt_u32_e32 vcc_lo, s14, v13
	v_dual_mov_b32 v21, v19 :: v_dual_mov_b32 v20, v18
                                        ; implicit-def: $sgpr2
                                        ; implicit-def: $vgpr13
	s_and_saveexec_b32 s9, vcc_lo
	s_cbranch_execz .LBB42_54
; %bb.43:
	v_dual_mov_b32 v18, v27 :: v_dual_add_nc_u32 v1, 3, v31
	v_cmp_ne_u32_e32 vcc_lo, v25, v22
	s_mov_b32 s25, s24
	s_mov_b32 s26, s24
	;; [unrolled: 1-line block ×7, first 2 shown]
	v_cndmask_b32_e64 v19, 0, 1, vcc_lo
	v_cmp_gt_u32_e32 vcc_lo, s14, v1
	v_dual_mov_b32 v20, 0 :: v_dual_mov_b32 v1, s24
	v_dual_mov_b32 v21, 0 :: v_dual_mov_b32 v2, s25
	;; [unrolled: 1-line block ×5, first 2 shown]
                                        ; implicit-def: $sgpr2
                                        ; implicit-def: $vgpr13
	s_and_saveexec_b32 s10, vcc_lo
	s_cbranch_execz .LBB42_53
; %bb.44:
	ds_load_2addr_b32 v[24:25], v28 offset0:3 offset1:4
	v_add_nc_u32_e32 v1, 4, v31
	v_cmp_ne_u32_e32 vcc_lo, v22, v23
	s_mov_b32 s25, s24
	s_mov_b32 s26, s24
	;; [unrolled: 1-line block ×7, first 2 shown]
	v_cndmask_b32_e64 v21, 0, 1, vcc_lo
                                        ; implicit-def: $sgpr3
                                        ; implicit-def: $vgpr13
	s_waitcnt lgkmcnt(0)
	v_mov_b32_e32 v20, v24
	v_cmp_gt_u32_e32 vcc_lo, s14, v1
	v_dual_mov_b32 v1, s24 :: v_dual_mov_b32 v2, s25
	v_dual_mov_b32 v3, s26 :: v_dual_mov_b32 v4, s27
	v_dual_mov_b32 v5, s28 :: v_dual_mov_b32 v6, s29
	v_dual_mov_b32 v7, s30 :: v_dual_mov_b32 v8, s31
	s_and_saveexec_b32 s11, vcc_lo
	s_cbranch_execz .LBB42_52
; %bb.45:
	v_mov_b32_e32 v5, 0
	v_add_nc_u32_e32 v3, 5, v31
	v_cmp_ne_u32_e32 vcc_lo, v23, v11
	v_mov_b32_e32 v1, v25
	s_mov_b32 s2, 0
	v_mov_b32_e32 v4, v5
	v_mov_b32_e32 v6, v5
	v_cndmask_b32_e64 v2, 0, 1, vcc_lo
	v_cmp_gt_u32_e32 vcc_lo, s14, v3
	v_mov_b32_e32 v3, v5
	v_mov_b32_e32 v7, v5
	;; [unrolled: 1-line block ×3, first 2 shown]
                                        ; implicit-def: $sgpr3
                                        ; implicit-def: $vgpr13
	s_and_saveexec_b32 s23, vcc_lo
	s_cbranch_execz .LBB42_51
; %bb.46:
	ds_load_2addr_b32 v[22:23], v28 offset0:5 offset1:6
	v_dual_mov_b32 v6, v5 :: v_dual_add_nc_u32 v3, 6, v31
	v_cmp_ne_u32_e32 vcc_lo, v11, v12
	v_mov_b32_e32 v1, v25
	v_mov_b32_e32 v7, v5
                                        ; implicit-def: $sgpr3
                                        ; implicit-def: $vgpr13
	v_mov_b32_e32 v8, v5
	v_cndmask_b32_e64 v4, 0, 1, vcc_lo
	v_cmp_gt_u32_e32 vcc_lo, s14, v3
	s_waitcnt lgkmcnt(0)
	v_mov_b32_e32 v3, v22
	s_and_saveexec_b32 s24, vcc_lo
	s_cbranch_execz .LBB42_50
; %bb.47:
	v_dual_mov_b32 v8, s2 :: v_dual_add_nc_u32 v7, 7, v31
	v_cmp_ne_u32_e32 vcc_lo, v12, v9
	v_mov_b32_e32 v5, v23
                                        ; implicit-def: $sgpr3
                                        ; implicit-def: $vgpr13
	v_cndmask_b32_e64 v6, 0, 1, vcc_lo
	s_delay_alu instid0(VALU_DEP_4) | instskip(SKIP_2) | instid1(SALU_CYCLE_1)
	v_cmp_gt_u32_e32 vcc_lo, s14, v7
	v_mov_b32_e32 v7, s2
	s_and_saveexec_b32 s25, vcc_lo
	s_xor_b32 s25, exec_lo, s25
	s_cbranch_execz .LBB42_49
; %bb.48:
	ds_load_2addr_b32 v[12:13], v28 offset0:7 offset1:8
	v_add_nc_u32_e32 v7, 8, v31
	v_cmp_ne_u32_e64 s3, v9, v10
	v_cmp_ne_u32_e32 vcc_lo, v10, v30
	s_delay_alu instid0(VALU_DEP_3) | instskip(NEXT) | instid1(VALU_DEP_3)
	v_cmp_gt_u32_e64 s2, s14, v7
	v_cndmask_b32_e64 v8, 0, 1, s3
	s_and_b32 s3, vcc_lo, exec_lo
	s_delay_alu instid0(VALU_DEP_2)
	s_and_b32 s2, s2, exec_lo
	s_waitcnt lgkmcnt(0)
	v_mov_b32_e32 v7, v12
.LBB42_49:
	s_or_b32 exec_lo, exec_lo, s25
	s_delay_alu instid0(SALU_CYCLE_1)
	s_and_b32 s3, s3, exec_lo
	s_and_b32 s2, s2, exec_lo
.LBB42_50:
	s_or_b32 exec_lo, exec_lo, s24
	s_delay_alu instid0(SALU_CYCLE_1)
	s_and_b32 s3, s3, exec_lo
	s_and_b32 s2, s2, exec_lo
.LBB42_51:
	s_or_b32 exec_lo, exec_lo, s23
	s_delay_alu instid0(SALU_CYCLE_1)
	s_and_b32 s3, s3, exec_lo
	s_and_b32 s24, s2, exec_lo
.LBB42_52:
	s_or_b32 exec_lo, exec_lo, s11
	s_delay_alu instid0(SALU_CYCLE_1)
	s_and_b32 s2, s3, exec_lo
	s_and_b32 s24, s24, exec_lo
.LBB42_53:
	s_or_b32 exec_lo, exec_lo, s10
	s_delay_alu instid0(SALU_CYCLE_1)
	s_and_b32 s2, s2, exec_lo
	s_and_b32 s24, s24, exec_lo
.LBB42_54:
	s_or_b32 exec_lo, exec_lo, s9
	s_delay_alu instid0(SALU_CYCLE_1)
	s_and_b32 s2, s2, exec_lo
	s_and_b32 s24, s24, exec_lo
.LBB42_55:
	s_or_b32 exec_lo, exec_lo, s8
	s_delay_alu instid0(SALU_CYCLE_1)
	s_and_b32 s8, s2, exec_lo
	s_and_b32 s3, s24, exec_lo
.LBB42_56:
	s_or_b32 exec_lo, exec_lo, s5
	v_lshlrev_b32_e32 v28, 5, v0
	v_cmp_ne_u32_e64 s2, 0, v0
	s_and_b32 vcc_lo, exec_lo, s4
	s_cbranch_vccz .LBB42_60
.LBB42_57:
	v_add_co_u32 v3, s3, s38, v29
	s_delay_alu instid0(VALU_DEP_1)
	v_add_co_ci_u32_e64 v4, null, s39, 0, s3
	s_clause 0x1
	global_load_b32 v5, v29, s[38:39] offset:1024
	global_load_b32 v6, v29, s[38:39] offset:2048
	v_add_co_u32 v1, vcc_lo, 0x1000, v3
	v_add_co_ci_u32_e32 v2, vcc_lo, 0, v4, vcc_lo
	v_add_co_u32 v3, vcc_lo, v3, 0x2000
	v_add_co_ci_u32_e32 v4, vcc_lo, 0, v4, vcc_lo
	s_clause 0x6
	global_load_b32 v7, v29, s[38:39] offset:3072
	global_load_b32 v8, v[1:2], off offset:1024
	global_load_b32 v10, v[1:2], off offset:2048
	global_load_b32 v11, v29, s[38:39]
	global_load_b32 v12, v[3:4], off
	global_load_b32 v3, v[3:4], off offset:-4096
	global_load_b32 v1, v[1:2], off offset:3072
	s_sub_u32 s4, 0, s15
	s_subb_u32 s5, 0, 0
	v_add_nc_u32_e32 v9, v29, v28
	s_cmp_eq_u64 s[4:5], s[20:21]
	s_waitcnt vmcnt(3)
	ds_store_2addr_stride64_b32 v29, v11, v5 offset1:4
	ds_store_2addr_stride64_b32 v29, v6, v7 offset0:8 offset1:12
	s_waitcnt vmcnt(1)
	ds_store_2addr_stride64_b32 v29, v3, v8 offset0:16 offset1:20
	s_waitcnt vmcnt(0)
	ds_store_2addr_stride64_b32 v29, v10, v1 offset0:24 offset1:28
	ds_store_b32 v29, v12 offset:8192
	s_cselect_b32 s3, 0, -4
	s_cselect_b32 s5, 0, -1
	s_add_u32 s4, s38, s3
	s_addc_u32 s5, s39, s5
	s_waitcnt lgkmcnt(0)
	s_barrier
	buffer_gl0_inv
	s_load_b32 s4, s[4:5], 0x0
	ds_load_2addr_b32 v[5:6], v9 offset0:7 offset1:8
	ds_load_2addr_b32 v[7:8], v9 offset1:1
	ds_load_b32 v10, v9 offset:8
	ds_load_2addr_b32 v[3:4], v9 offset0:5 offset1:6
	ds_load_2addr_b32 v[1:2], v9 offset0:3 offset1:4
	s_mov_b32 s3, -1
	s_waitcnt lgkmcnt(0)
	ds_store_b32 v29, v6 offset:9216
	s_waitcnt lgkmcnt(0)
	s_barrier
	v_mov_b32_e32 v11, s4
	buffer_gl0_inv
	s_and_saveexec_b32 s4, s2
	s_cbranch_execz .LBB42_59
; %bb.58:
	v_sub_nc_u32_e32 v11, 0, v28
	s_delay_alu instid0(VALU_DEP_1)
	v_add_nc_u32_e32 v11, v9, v11
	ds_load_b32 v11, v11 offset:9212
.LBB42_59:
	s_or_b32 exec_lo, exec_lo, s4
	v_add_co_u32 v14, s2, s36, v29
	s_delay_alu instid0(VALU_DEP_1) | instskip(SKIP_1) | instid1(VALU_DEP_2)
	v_add_co_ci_u32_e64 v15, null, s37, 0, s2
	s_waitcnt lgkmcnt(0)
	v_add_co_u32 v12, vcc_lo, 0x1000, v14
	s_delay_alu instid0(VALU_DEP_2)
	v_add_co_ci_u32_e32 v13, vcc_lo, 0, v15, vcc_lo
	v_add_co_u32 v14, vcc_lo, v14, 0x2000
	v_add_co_ci_u32_e32 v15, vcc_lo, 0, v15, vcc_lo
	s_barrier
	buffer_gl0_inv
	s_clause 0x8
	global_load_b32 v16, v29, s[36:37] offset:1024
	global_load_b32 v17, v29, s[36:37] offset:2048
	;; [unrolled: 1-line block ×3, first 2 shown]
	global_load_b32 v19, v[12:13], off offset:1024
	global_load_b32 v20, v[12:13], off offset:2048
	global_load_b32 v21, v29, s[36:37]
	global_load_b32 v22, v[14:15], off
	global_load_b32 v14, v[14:15], off offset:-4096
	global_load_b32 v12, v[12:13], off offset:3072
	v_cmp_ne_u32_e32 vcc_lo, v11, v7
	v_cmp_ne_u32_e64 s8, v5, v6
                                        ; implicit-def: $sgpr6_sgpr7
	s_waitcnt vmcnt(3)
	ds_store_2addr_stride64_b32 v29, v21, v16 offset1:4
	ds_store_2addr_stride64_b32 v29, v17, v18 offset0:8 offset1:12
	s_waitcnt vmcnt(1)
	ds_store_2addr_stride64_b32 v29, v14, v19 offset0:16 offset1:20
	s_waitcnt vmcnt(0)
	ds_store_2addr_stride64_b32 v29, v20, v12 offset0:24 offset1:28
	ds_store_b32 v29, v22 offset:8192
	v_cndmask_b32_e64 v15, 0, 1, vcc_lo
	v_cmp_ne_u32_e32 vcc_lo, v7, v8
	s_waitcnt lgkmcnt(0)
	s_barrier
	buffer_gl0_inv
	ds_load_2addr_b32 v[22:23], v9 offset1:1
	v_cndmask_b32_e64 v17, 0, 1, vcc_lo
	v_cmp_ne_u32_e32 vcc_lo, v8, v10
	ds_load_2addr_b32 v[11:12], v9 offset0:2 offset1:3
	ds_load_2addr_b32 v[24:25], v9 offset0:6 offset1:7
	;; [unrolled: 1-line block ×3, first 2 shown]
	ds_load_b32 v13, v9 offset:32
	v_cndmask_b32_e64 v19, 0, 1, vcc_lo
	v_cmp_ne_u32_e32 vcc_lo, v10, v1
	v_cndmask_b32_e64 v21, 0, 1, vcc_lo
	v_cmp_ne_u32_e32 vcc_lo, v4, v5
	;; [unrolled: 2-line block ×3, first 2 shown]
	s_waitcnt lgkmcnt(4)
	v_mov_b32_e32 v14, v22
	v_mov_b32_e32 v16, v23
	s_waitcnt lgkmcnt(2)
	v_dual_mov_b32 v18, v11 :: v_dual_mov_b32 v5, v24
	v_cndmask_b32_e64 v6, 0, 1, vcc_lo
	v_cmp_ne_u32_e32 vcc_lo, v2, v3
	v_dual_mov_b32 v20, v12 :: v_dual_mov_b32 v7, v25
	s_waitcnt lgkmcnt(1)
	v_mov_b32_e32 v3, v27
	v_cndmask_b32_e64 v4, 0, 1, vcc_lo
	v_cmp_ne_u32_e32 vcc_lo, v1, v2
	v_mov_b32_e32 v1, v26
	v_cndmask_b32_e64 v2, 0, 1, vcc_lo
.LBB42_60:
	v_dual_mov_b32 v23, s7 :: v_dual_mov_b32 v22, s6
	s_and_saveexec_b32 s2, s3
	s_cbranch_execz .LBB42_62
; %bb.61:
	v_cndmask_b32_e64 v23, 0, 1, s8
	s_waitcnt lgkmcnt(0)
	v_mov_b32_e32 v22, v13
.LBB42_62:
	s_or_b32 exec_lo, exec_lo, s2
	v_mbcnt_lo_u32_b32 v29, -1, 0
	s_cmp_lg_u32 s15, 0
	s_mov_b32 s10, 0
	s_waitcnt lgkmcnt(0)
	s_barrier
	buffer_gl0_inv
	s_cbranch_scc0 .LBB42_98
; %bb.63:
	v_or_b32_e32 v10, v23, v8
	s_mov_b32 s11, 1
	s_delay_alu instid0(SALU_CYCLE_1) | instskip(SKIP_1) | instid1(VALU_DEP_3)
	v_cmp_gt_u64_e64 s2, s[10:11], v[16:17]
	v_cmp_gt_u64_e64 s3, s[10:11], v[18:19]
	v_or3_b32 v10, v10, v6, v4
	v_cmp_gt_u64_e64 s4, s[10:11], v[20:21]
	v_cmp_gt_u64_e64 s5, s[10:11], v[1:2]
	;; [unrolled: 1-line block ×3, first 2 shown]
	v_cndmask_b32_e64 v9, 0, v14, s2
	v_or3_b32 v10, v10, v2, v21
	v_cmp_gt_u64_e64 s7, s[10:11], v[5:6]
	v_cmp_gt_u64_e64 s8, s[10:11], v[7:8]
	;; [unrolled: 1-line block ×3, first 2 shown]
	s_mov_b32 s11, exec_lo
	v_or3_b32 v10, v10, v19, v17
	s_delay_alu instid0(VALU_DEP_1) | instskip(NEXT) | instid1(VALU_DEP_1)
	v_and_b32_e32 v10, 1, v10
	v_cmp_eq_u32_e32 vcc_lo, 1, v10
	v_cndmask_b32_e64 v10, v15, 1, vcc_lo
	s_delay_alu instid0(VALU_DEP_1) | instskip(SKIP_1) | instid1(VALU_DEP_2)
	v_and_b32_e32 v11, 0xff, v10
	v_and_b32_e32 v13, 1, v10
	v_mov_b32_dpp v12, v11 row_shr:1 row_mask:0xf bank_mask:0xf
	s_delay_alu instid0(VALU_DEP_2) | instskip(NEXT) | instid1(VALU_DEP_2)
	v_cmp_eq_u32_e32 vcc_lo, 1, v13
	v_and_b32_e32 v24, 1, v12
	v_and_b32_e32 v12, 15, v29
	s_delay_alu instid0(VALU_DEP_2) | instskip(SKIP_2) | instid1(VALU_DEP_2)
	v_cndmask_b32_e64 v24, v24, 1, vcc_lo
	v_add_nc_u32_e32 v9, v9, v16
	v_cmp_eq_u16_e32 vcc_lo, 0, v11
	v_cndmask_b32_e64 v9, 0, v9, s3
	s_delay_alu instid0(VALU_DEP_1) | instskip(NEXT) | instid1(VALU_DEP_1)
	v_add_nc_u32_e32 v9, v9, v18
	v_cndmask_b32_e64 v9, 0, v9, s4
	s_delay_alu instid0(VALU_DEP_1) | instskip(NEXT) | instid1(VALU_DEP_1)
	v_add_nc_u32_e32 v9, v9, v20
	;; [unrolled: 3-line block ×7, first 2 shown]
	v_mov_b32_dpp v25, v9 row_shr:1 row_mask:0xf bank_mask:0xf
	s_delay_alu instid0(VALU_DEP_1) | instskip(SKIP_2) | instid1(VALU_DEP_3)
	v_cndmask_b32_e32 v13, 0, v25, vcc_lo
	v_cmp_eq_u32_e32 vcc_lo, 0, v12
	v_dual_cndmask_b32 v10, v24, v10 :: v_dual_and_b32 v25, 0xffff, v24
	v_cndmask_b32_e64 v13, v13, 0, vcc_lo
	s_delay_alu instid0(VALU_DEP_2) | instskip(NEXT) | instid1(VALU_DEP_2)
	v_cndmask_b32_e32 v11, v25, v11, vcc_lo
	v_add_nc_u32_e32 v9, v13, v9
	s_delay_alu instid0(VALU_DEP_2) | instskip(SKIP_1) | instid1(VALU_DEP_3)
	v_mov_b32_dpp v26, v11 row_shr:2 row_mask:0xf bank_mask:0xf
	v_mov_b32_e32 v13, v11
	v_mov_b32_dpp v25, v9 row_shr:2 row_mask:0xf bank_mask:0xf
	v_cmpx_lt_u32_e32 1, v12
; %bb.64:
	v_cmp_eq_u16_e32 vcc_lo, 0, v24
	v_and_b32_e32 v10, 1, v24
	v_and_b32_e32 v11, 1, v26
	v_cndmask_b32_e32 v13, 0, v25, vcc_lo
	s_delay_alu instid0(VALU_DEP_3) | instskip(NEXT) | instid1(VALU_DEP_2)
	v_cmp_eq_u32_e32 vcc_lo, 1, v10
	v_add_nc_u32_e32 v9, v13, v9
	s_delay_alu instid0(VALU_DEP_4) | instskip(NEXT) | instid1(VALU_DEP_1)
	v_cndmask_b32_e64 v10, v11, 1, vcc_lo
	v_and_b32_e32 v13, 0xffff, v10
	v_mov_b32_e32 v11, v10
; %bb.65:
	s_or_b32 exec_lo, exec_lo, s11
	v_mov_b32_dpp v24, v9 row_shr:4 row_mask:0xf bank_mask:0xf
	s_delay_alu instid0(VALU_DEP_3)
	v_mov_b32_dpp v25, v13 row_shr:4 row_mask:0xf bank_mask:0xf
	s_mov_b32 s10, exec_lo
	v_cmpx_lt_u32_e32 3, v12
; %bb.66:
	v_cmp_eq_u16_e32 vcc_lo, 0, v11
	v_and_b32_e32 v10, 1, v11
	v_and_b32_e32 v13, 1, v25
	v_cndmask_b32_e32 v11, 0, v24, vcc_lo
	s_delay_alu instid0(VALU_DEP_3) | instskip(NEXT) | instid1(VALU_DEP_2)
	v_cmp_eq_u32_e32 vcc_lo, 1, v10
	v_add_nc_u32_e32 v9, v11, v9
	s_delay_alu instid0(VALU_DEP_4) | instskip(NEXT) | instid1(VALU_DEP_1)
	v_cndmask_b32_e64 v10, v13, 1, vcc_lo
	v_and_b32_e32 v13, 0xffff, v10
	v_mov_b32_e32 v11, v10
; %bb.67:
	s_or_b32 exec_lo, exec_lo, s10
	v_mov_b32_dpp v24, v9 row_shr:8 row_mask:0xf bank_mask:0xf
	s_delay_alu instid0(VALU_DEP_3)
	v_mov_b32_dpp v25, v13 row_shr:8 row_mask:0xf bank_mask:0xf
	s_mov_b32 s10, exec_lo
	v_cmpx_lt_u32_e32 7, v12
; %bb.68:
	v_cmp_eq_u16_e32 vcc_lo, 0, v11
	v_and_b32_e32 v10, 1, v11
	v_dual_cndmask_b32 v11, 0, v24 :: v_dual_and_b32 v12, 1, v25
	s_delay_alu instid0(VALU_DEP_2) | instskip(NEXT) | instid1(VALU_DEP_2)
	v_cmp_eq_u32_e32 vcc_lo, 1, v10
	v_add_nc_u32_e32 v9, v11, v9
	s_delay_alu instid0(VALU_DEP_3) | instskip(NEXT) | instid1(VALU_DEP_1)
	v_cndmask_b32_e64 v10, v12, 1, vcc_lo
	v_mov_b32_e32 v11, v10
	v_and_b32_e32 v13, 0xffff, v10
; %bb.69:
	s_or_b32 exec_lo, exec_lo, s10
	ds_swizzle_b32 v12, v9 offset:swizzle(BROADCAST,32,15)
	ds_swizzle_b32 v13, v13 offset:swizzle(BROADCAST,32,15)
	v_cmp_eq_u16_e32 vcc_lo, 0, v11
	v_bfe_i32 v24, v29, 4, 1
	v_and_b32_e32 v25, 16, v29
	v_or_b32_e32 v26, 31, v0
	s_mov_b32 s10, exec_lo
	s_waitcnt lgkmcnt(1)
	v_dual_cndmask_b32 v12, 0, v12 :: v_dual_and_b32 v11, 1, v11
	s_waitcnt lgkmcnt(0)
	v_and_b32_e32 v13, 1, v13
	s_delay_alu instid0(VALU_DEP_2) | instskip(NEXT) | instid1(VALU_DEP_3)
	v_cmp_eq_u32_e32 vcc_lo, 1, v11
	v_and_b32_e32 v12, v24, v12
	s_delay_alu instid0(VALU_DEP_3) | instskip(SKIP_2) | instid1(VALU_DEP_4)
	v_cndmask_b32_e64 v24, v13, 1, vcc_lo
	v_cmp_eq_u32_e32 vcc_lo, 0, v25
	v_lshrrev_b32_e32 v13, 5, v0
	v_add_nc_u32_e32 v11, v12, v9
	s_delay_alu instid0(VALU_DEP_4)
	v_cndmask_b32_e32 v12, v24, v10, vcc_lo
	v_cmpx_eq_u32_e64 v26, v0
	s_cbranch_execz .LBB42_71
; %bb.70:
	v_lshlrev_b32_e32 v9, 3, v13
	ds_store_b32 v9, v11
	ds_store_b8 v9, v12 offset:4
.LBB42_71:
	s_or_b32 exec_lo, exec_lo, s10
	s_delay_alu instid0(SALU_CYCLE_1)
	s_mov_b32 s11, exec_lo
	s_waitcnt lgkmcnt(0)
	s_barrier
	buffer_gl0_inv
	v_cmpx_gt_u32_e32 8, v0
	s_cbranch_execz .LBB42_77
; %bb.72:
	v_lshlrev_b32_e32 v24, 3, v0
	v_and_b32_e32 v25, 7, v29
	s_mov_b32 s10, exec_lo
	ds_load_b64 v[9:10], v24
	s_waitcnt lgkmcnt(0)
	v_dual_mov_b32 v27, v10 :: v_dual_and_b32 v26, 0xffffff00, v10
	v_mov_b32_dpp v30, v9 row_shr:1 row_mask:0xf bank_mask:0xf
	v_mov_b32_dpp v31, v10 row_shr:1 row_mask:0xf bank_mask:0xf
	v_cmpx_ne_u32_e32 0, v25
; %bb.73:
	v_and_b32_e32 v27, 1, v10
	s_delay_alu instid0(VALU_DEP_3) | instskip(SKIP_1) | instid1(VALU_DEP_3)
	v_and_b32_e32 v31, 1, v31
	v_and_b32_e32 v32, 0xff, v10
	v_cmp_eq_u32_e32 vcc_lo, 1, v27
	s_delay_alu instid0(VALU_DEP_3) | instskip(NEXT) | instid1(VALU_DEP_3)
	v_cndmask_b32_e64 v10, v31, 1, vcc_lo
	v_cmp_eq_u16_e32 vcc_lo, 0, v32
	v_cndmask_b32_e32 v27, 0, v30, vcc_lo
	s_delay_alu instid0(VALU_DEP_3) | instskip(NEXT) | instid1(VALU_DEP_2)
	v_and_b32_e32 v30, 0xffff, v10
	v_add_nc_u32_e32 v9, v27, v9
	s_delay_alu instid0(VALU_DEP_2)
	v_or_b32_e32 v27, v26, v30
; %bb.74:
	s_or_b32 exec_lo, exec_lo, s10
	s_delay_alu instid0(VALU_DEP_2) | instskip(NEXT) | instid1(VALU_DEP_2)
	v_mov_b32_dpp v30, v9 row_shr:2 row_mask:0xf bank_mask:0xf
	v_mov_b32_dpp v32, v27 row_shr:2 row_mask:0xf bank_mask:0xf
	v_mov_b32_e32 v31, v27
	s_mov_b32 s10, exec_lo
	v_cmpx_lt_u32_e32 1, v25
; %bb.75:
	v_and_b32_e32 v10, 1, v27
	v_and_b32_e32 v31, 1, v32
	;; [unrolled: 1-line block ×3, first 2 shown]
	s_delay_alu instid0(VALU_DEP_3) | instskip(NEXT) | instid1(VALU_DEP_3)
	v_cmp_eq_u32_e32 vcc_lo, 1, v10
	v_cndmask_b32_e64 v10, v31, 1, vcc_lo
	s_delay_alu instid0(VALU_DEP_3) | instskip(NEXT) | instid1(VALU_DEP_2)
	v_cmp_eq_u16_e32 vcc_lo, 0, v27
	v_mov_b32_e32 v31, v10
	v_cndmask_b32_e32 v27, 0, v30, vcc_lo
	v_and_b32_e32 v30, 0xffff, v10
	s_delay_alu instid0(VALU_DEP_2) | instskip(NEXT) | instid1(VALU_DEP_2)
	v_add_nc_u32_e32 v9, v27, v9
	v_or_b32_e32 v27, v26, v30
; %bb.76:
	s_or_b32 exec_lo, exec_lo, s10
	s_delay_alu instid0(VALU_DEP_1) | instskip(SKIP_2) | instid1(VALU_DEP_3)
	v_mov_b32_dpp v26, v27 row_shr:4 row_mask:0xf bank_mask:0xf
	v_and_b32_e32 v30, 1, v31
	v_and_b32_e32 v27, 0xff, v31
	;; [unrolled: 1-line block ×3, first 2 shown]
	s_delay_alu instid0(VALU_DEP_3) | instskip(NEXT) | instid1(VALU_DEP_3)
	v_cmp_eq_u32_e64 s10, 1, v30
	v_cmp_eq_u16_e32 vcc_lo, 0, v27
	s_delay_alu instid0(VALU_DEP_2) | instskip(SKIP_2) | instid1(VALU_DEP_2)
	v_cndmask_b32_e64 v26, v26, 1, s10
	v_cmp_lt_u32_e64 s10, 3, v25
	v_mov_b32_dpp v25, v9 row_shr:4 row_mask:0xf bank_mask:0xf
	s_and_b32 vcc_lo, s10, vcc_lo
	s_delay_alu instid0(VALU_DEP_3) | instskip(NEXT) | instid1(VALU_DEP_2)
	v_cndmask_b32_e64 v10, v10, v26, s10
	v_cndmask_b32_e32 v25, 0, v25, vcc_lo
	s_delay_alu instid0(VALU_DEP_1)
	v_add_nc_u32_e32 v9, v25, v9
	ds_store_b32 v24, v9
	ds_store_b8 v24, v10 offset:4
.LBB42_77:
	s_or_b32 exec_lo, exec_lo, s11
	v_cmp_gt_u32_e32 vcc_lo, 32, v0
	v_dual_mov_b32 v30, 0 :: v_dual_mov_b32 v31, 0
	s_mov_b32 s11, exec_lo
	s_waitcnt lgkmcnt(0)
	s_barrier
	buffer_gl0_inv
	v_cmpx_lt_u32_e32 31, v0
	s_cbranch_execz .LBB42_79
; %bb.78:
	v_lshl_add_u32 v9, v13, 3, -8
	v_and_b32_e32 v10, 1, v12
	ds_load_b32 v30, v9
	ds_load_u8 v31, v9 offset:4
	v_and_b32_e32 v9, 0xff, v12
	s_delay_alu instid0(VALU_DEP_1) | instskip(SKIP_1) | instid1(VALU_DEP_1)
	v_cmp_eq_u16_e64 s10, 0, v9
	s_waitcnt lgkmcnt(1)
	v_cndmask_b32_e64 v9, 0, v30, s10
	v_cmp_eq_u32_e64 s10, 1, v10
	s_delay_alu instid0(VALU_DEP_2) | instskip(SKIP_1) | instid1(VALU_DEP_2)
	v_add_nc_u32_e32 v11, v9, v11
	s_waitcnt lgkmcnt(0)
	v_cndmask_b32_e64 v12, v31, 1, s10
.LBB42_79:
	s_or_b32 exec_lo, exec_lo, s11
	v_add_nc_u32_e32 v9, -1, v29
	s_delay_alu instid0(VALU_DEP_2) | instskip(NEXT) | instid1(VALU_DEP_2)
	v_and_b32_e32 v10, 0xff, v12
	v_cmp_gt_i32_e64 s10, 0, v9
	s_delay_alu instid0(VALU_DEP_1) | instskip(SKIP_1) | instid1(VALU_DEP_2)
	v_cndmask_b32_e64 v9, v9, v29, s10
	v_cmp_eq_u32_e64 s10, 0, v29
	v_lshlrev_b32_e32 v9, 2, v9
	ds_bpermute_b32 v32, v9, v11
	ds_bpermute_b32 v33, v9, v10
	s_and_saveexec_b32 s14, vcc_lo
	s_cbranch_execz .LBB42_97
; %bb.80:
	v_mov_b32_e32 v12, 0
	ds_load_b64 v[9:10], v12 offset:56
	s_waitcnt lgkmcnt(0)
	v_readfirstlane_b32 s23, v10
	s_and_saveexec_b32 s11, s10
	s_cbranch_execz .LBB42_82
; %bb.81:
	s_add_i32 s20, s15, 32
	s_mov_b32 s21, 0
	v_mov_b32_e32 v11, 1
	s_lshl_b64 s[24:25], s[20:21], 4
	s_mov_b32 s26, s21
	s_add_u32 s24, s16, s24
	s_addc_u32 s25, s17, s25
	s_and_b32 s27, s23, 0xff000000
	s_and_b32 s29, s23, 0xff0000
	s_mov_b32 s28, s21
	v_dual_mov_b32 v24, s24 :: v_dual_mov_b32 v25, s25
	s_or_b64 s[26:27], s[28:29], s[26:27]
	s_and_b32 s29, s23, 0xff00
	s_delay_alu instid0(SALU_CYCLE_1) | instskip(SKIP_1) | instid1(SALU_CYCLE_1)
	s_or_b64 s[26:27], s[26:27], s[28:29]
	s_and_b32 s29, s23, 0xff
	s_or_b64 s[20:21], s[26:27], s[28:29]
	s_delay_alu instid0(SALU_CYCLE_1)
	v_mov_b32_e32 v10, s21
	;;#ASMSTART
	global_store_dwordx4 v[24:25], v[9:12] off	
s_waitcnt vmcnt(0)
	;;#ASMEND
.LBB42_82:
	s_or_b32 exec_lo, exec_lo, s11
	v_xad_u32 v24, v29, -1, s15
	s_mov_b32 s20, 0
	s_mov_b32 s11, exec_lo
	s_delay_alu instid0(VALU_DEP_1) | instskip(NEXT) | instid1(VALU_DEP_1)
	v_add_nc_u32_e32 v11, 32, v24
	v_lshlrev_b64 v[10:11], 4, v[11:12]
	s_delay_alu instid0(VALU_DEP_1) | instskip(NEXT) | instid1(VALU_DEP_2)
	v_add_co_u32 v25, vcc_lo, s16, v10
	v_add_co_ci_u32_e32 v26, vcc_lo, s17, v11, vcc_lo
	;;#ASMSTART
	global_load_dwordx4 v[10:13], v[25:26] off glc	
s_waitcnt vmcnt(0)
	;;#ASMEND
	v_and_b32_e32 v13, 0xff, v12
	s_delay_alu instid0(VALU_DEP_1)
	v_cmpx_eq_u16_e32 0, v13
	s_cbranch_execz .LBB42_85
.LBB42_83:                              ; =>This Inner Loop Header: Depth=1
	;;#ASMSTART
	global_load_dwordx4 v[10:13], v[25:26] off glc	
s_waitcnt vmcnt(0)
	;;#ASMEND
	v_and_b32_e32 v13, 0xff, v12
	s_delay_alu instid0(VALU_DEP_1) | instskip(SKIP_1) | instid1(SALU_CYCLE_1)
	v_cmp_ne_u16_e32 vcc_lo, 0, v13
	s_or_b32 s20, vcc_lo, s20
	s_and_not1_b32 exec_lo, exec_lo, s20
	s_cbranch_execnz .LBB42_83
; %bb.84:
	s_or_b32 exec_lo, exec_lo, s20
.LBB42_85:
	s_delay_alu instid0(SALU_CYCLE_1)
	s_or_b32 exec_lo, exec_lo, s11
	v_cmp_ne_u32_e32 vcc_lo, 31, v29
	v_and_b32_e32 v26, 0xff, v11
	v_and_b32_e32 v25, 0xff, v12
	v_lshlrev_b32_e64 v35, v29, -1
	v_and_b32_e32 v11, 1, v11
	v_add_co_ci_u32_e32 v13, vcc_lo, 0, v29, vcc_lo
	s_delay_alu instid0(VALU_DEP_4) | instskip(SKIP_2) | instid1(VALU_DEP_2)
	v_cmp_eq_u16_e32 vcc_lo, 2, v25
	s_mov_b32 s20, 0
	s_mov_b32 s21, 1
	v_lshlrev_b32_e32 v34, 2, v13
	v_add_nc_u32_e32 v46, 16, v29
	v_and_or_b32 v25, vcc_lo, v35, 0x80000000
	v_cmp_gt_u32_e32 vcc_lo, 30, v29
	ds_bpermute_b32 v13, v34, v26
	v_cndmask_b32_e64 v27, 0, 1, vcc_lo
	v_cmp_eq_u32_e32 vcc_lo, 1, v11
	s_waitcnt lgkmcnt(0)
	v_and_b32_e32 v13, 1, v13
	s_delay_alu instid0(VALU_DEP_1) | instskip(SKIP_2) | instid1(VALU_DEP_3)
	v_cndmask_b32_e64 v11, v13, 1, vcc_lo
	v_ctz_i32_b32_e32 v13, v25
	v_lshlrev_b32_e32 v25, 1, v27
	v_and_b32_e32 v27, 0xffff, v11
	s_delay_alu instid0(VALU_DEP_2) | instskip(SKIP_1) | instid1(VALU_DEP_1)
	v_add_lshl_u32 v37, v25, v29, 2
	v_dual_mov_b32 v25, v10 :: v_dual_add_nc_u32 v36, 1, v29
	v_cmp_gt_u64_e64 s11, s[20:21], v[25:26]
	s_delay_alu instid0(VALU_DEP_2)
	v_cmp_gt_u32_e32 vcc_lo, v36, v13
	v_cndmask_b32_e32 v27, v27, v26, vcc_lo
	v_cndmask_b32_e32 v11, v11, v26, vcc_lo
	ds_bpermute_b32 v38, v34, v10
	ds_bpermute_b32 v39, v37, v27
	v_and_b32_e32 v26, 1, v11
	s_waitcnt lgkmcnt(1)
	v_cndmask_b32_e64 v25, 0, v38, s11
	v_cmp_eq_u16_e64 s11, 0, v11
	s_waitcnt lgkmcnt(0)
	v_and_b32_e32 v38, 1, v39
	s_delay_alu instid0(VALU_DEP_3) | instskip(SKIP_3) | instid1(VALU_DEP_2)
	v_cndmask_b32_e64 v25, v25, 0, vcc_lo
	v_cmp_gt_u32_e32 vcc_lo, 28, v29
	v_cndmask_b32_e64 v39, 0, 1, vcc_lo
	v_cmp_eq_u32_e32 vcc_lo, 1, v26
	v_lshlrev_b32_e32 v39, 2, v39
	v_cndmask_b32_e64 v26, v38, 1, vcc_lo
	v_add_nc_u32_e32 v38, 2, v29
	s_delay_alu instid0(VALU_DEP_3) | instskip(NEXT) | instid1(VALU_DEP_3)
	v_add_lshl_u32 v39, v39, v29, 2
	v_and_b32_e32 v40, 0xffff, v26
	s_delay_alu instid0(VALU_DEP_3) | instskip(NEXT) | instid1(VALU_DEP_2)
	v_cmp_gt_u32_e32 vcc_lo, v38, v13
	v_dual_cndmask_b32 v27, v40, v27 :: v_dual_add_nc_u32 v10, v25, v10
	ds_bpermute_b32 v25, v37, v10
	v_cndmask_b32_e32 v26, v26, v11, vcc_lo
	v_add_nc_u32_e32 v40, 4, v29
	s_delay_alu instid0(VALU_DEP_2)
	v_and_b32_e32 v41, 1, v26
	s_waitcnt lgkmcnt(0)
	v_cndmask_b32_e64 v11, 0, v25, s11
	ds_bpermute_b32 v25, v39, v27
	v_cmp_eq_u16_e64 s11, 0, v26
	v_cndmask_b32_e64 v11, v11, 0, vcc_lo
	v_cmp_gt_u32_e32 vcc_lo, 24, v29
	s_delay_alu instid0(VALU_DEP_2)
	v_add_nc_u32_e32 v10, v11, v10
	v_cndmask_b32_e64 v42, 0, 1, vcc_lo
	v_cmp_eq_u32_e32 vcc_lo, 1, v41
	ds_bpermute_b32 v11, v39, v10
	v_lshlrev_b32_e32 v41, 3, v42
	s_waitcnt lgkmcnt(1)
	v_and_b32_e32 v25, 1, v25
	s_delay_alu instid0(VALU_DEP_2) | instskip(NEXT) | instid1(VALU_DEP_2)
	v_add_lshl_u32 v41, v41, v29, 2
	v_cndmask_b32_e64 v25, v25, 1, vcc_lo
	v_cmp_gt_u32_e32 vcc_lo, v40, v13
	s_delay_alu instid0(VALU_DEP_2) | instskip(SKIP_2) | instid1(VALU_DEP_2)
	v_dual_cndmask_b32 v25, v25, v26 :: v_dual_and_b32 v42, 0xffff, v25
	s_waitcnt lgkmcnt(0)
	v_cndmask_b32_e64 v11, 0, v11, s11
	v_dual_cndmask_b32 v26, v42, v27 :: v_dual_and_b32 v43, 1, v25
	v_add_nc_u32_e32 v42, 8, v29
	s_delay_alu instid0(VALU_DEP_3)
	v_cndmask_b32_e64 v11, v11, 0, vcc_lo
	ds_bpermute_b32 v27, v41, v26
	v_cmp_gt_u32_e32 vcc_lo, 16, v29
	v_add_nc_u32_e32 v10, v11, v10
	v_cndmask_b32_e64 v44, 0, 1, vcc_lo
	v_cmp_eq_u32_e32 vcc_lo, 1, v43
	ds_bpermute_b32 v11, v41, v10
	v_lshlrev_b32_e32 v43, 4, v44
	s_delay_alu instid0(VALU_DEP_1) | instskip(SKIP_2) | instid1(VALU_DEP_1)
	v_add_lshl_u32 v45, v43, v29, 2
	s_waitcnt lgkmcnt(1)
	v_and_b32_e32 v27, 1, v27
	v_cndmask_b32_e64 v27, v27, 1, vcc_lo
	v_cmp_eq_u16_e32 vcc_lo, 0, v25
	s_delay_alu instid0(VALU_DEP_2) | instskip(SKIP_3) | instid1(VALU_DEP_2)
	v_and_b32_e32 v44, 0xffff, v27
	s_waitcnt lgkmcnt(0)
	v_cndmask_b32_e32 v11, 0, v11, vcc_lo
	v_cmp_gt_u32_e32 vcc_lo, v42, v13
	v_cndmask_b32_e64 v11, v11, 0, vcc_lo
	v_dual_cndmask_b32 v26, v44, v26 :: v_dual_cndmask_b32 v25, v27, v25
	s_delay_alu instid0(VALU_DEP_2)
	v_add_nc_u32_e32 v10, v11, v10
	ds_bpermute_b32 v11, v45, v26
	v_and_b32_e32 v27, 0xff, v25
	v_and_b32_e32 v43, 1, v25
	ds_bpermute_b32 v26, v45, v10
	v_cmp_eq_u16_e32 vcc_lo, 0, v27
	s_waitcnt lgkmcnt(0)
	v_dual_cndmask_b32 v26, 0, v26 :: v_dual_and_b32 v11, 1, v11
	v_cmp_eq_u32_e32 vcc_lo, 1, v43
	s_delay_alu instid0(VALU_DEP_2) | instskip(SKIP_1) | instid1(VALU_DEP_4)
	v_cndmask_b32_e64 v11, v11, 1, vcc_lo
	v_cmp_gt_u32_e32 vcc_lo, v46, v13
	v_cndmask_b32_e64 v13, v26, 0, vcc_lo
	s_delay_alu instid0(VALU_DEP_3) | instskip(NEXT) | instid1(VALU_DEP_2)
	v_cndmask_b32_e32 v11, v11, v25, vcc_lo
	v_dual_mov_b32 v25, 0 :: v_dual_add_nc_u32 v10, v13, v10
	s_branch .LBB42_87
.LBB42_86:                              ;   in Loop: Header=BB42_87 Depth=1
	s_or_b32 exec_lo, exec_lo, s11
	v_and_b32_e32 v27, 0xff, v11
	v_and_b32_e32 v26, 0xff, v12
	;; [unrolled: 1-line block ×3, first 2 shown]
	ds_bpermute_b32 v47, v34, v10
	v_subrev_nc_u32_e32 v24, 32, v24
	ds_bpermute_b32 v13, v34, v27
	v_cmp_eq_u16_e32 vcc_lo, 2, v26
	v_and_or_b32 v26, vcc_lo, v35, 0x80000000
	v_cmp_eq_u32_e32 vcc_lo, 1, v11
	s_waitcnt lgkmcnt(0)
	v_and_b32_e32 v13, 1, v13
	s_delay_alu instid0(VALU_DEP_1) | instskip(SKIP_2) | instid1(VALU_DEP_3)
	v_cndmask_b32_e64 v11, v13, 1, vcc_lo
	v_ctz_i32_b32_e32 v13, v26
	v_mov_b32_e32 v26, v10
	v_and_b32_e32 v48, 0xffff, v11
	s_delay_alu instid0(VALU_DEP_3) | instskip(NEXT) | instid1(VALU_DEP_3)
	v_cmp_gt_u32_e32 vcc_lo, v36, v13
	v_cmp_gt_u64_e64 s11, s[20:21], v[26:27]
	s_delay_alu instid0(VALU_DEP_3) | instskip(SKIP_1) | instid1(VALU_DEP_3)
	v_cndmask_b32_e32 v48, v48, v27, vcc_lo
	v_cndmask_b32_e32 v11, v11, v27, vcc_lo
	v_cndmask_b32_e64 v26, 0, v47, s11
	ds_bpermute_b32 v27, v37, v48
	v_and_b32_e32 v47, 1, v11
	v_cndmask_b32_e64 v26, v26, 0, vcc_lo
	v_cmp_eq_u16_e64 s11, 0, v11
	s_delay_alu instid0(VALU_DEP_3) | instskip(SKIP_2) | instid1(VALU_DEP_1)
	v_cmp_eq_u32_e32 vcc_lo, 1, v47
	s_waitcnt lgkmcnt(0)
	v_and_b32_e32 v27, 1, v27
	v_cndmask_b32_e64 v27, v27, 1, vcc_lo
	v_cmp_gt_u32_e32 vcc_lo, v38, v13
	v_add_nc_u32_e32 v10, v26, v10
	s_delay_alu instid0(VALU_DEP_3) | instskip(SKIP_4) | instid1(VALU_DEP_1)
	v_and_b32_e32 v47, 0xffff, v27
	v_cndmask_b32_e32 v11, v27, v11, vcc_lo
	ds_bpermute_b32 v26, v37, v10
	s_waitcnt lgkmcnt(0)
	v_cndmask_b32_e64 v26, 0, v26, s11
	v_cndmask_b32_e64 v26, v26, 0, vcc_lo
	v_dual_cndmask_b32 v27, v47, v48 :: v_dual_and_b32 v48, 1, v11
	s_delay_alu instid0(VALU_DEP_2)
	v_add_nc_u32_e32 v10, v26, v10
	ds_bpermute_b32 v47, v39, v27
	v_cmp_eq_u32_e32 vcc_lo, 1, v48
	ds_bpermute_b32 v26, v39, v10
	s_waitcnt lgkmcnt(1)
	v_and_b32_e32 v47, 1, v47
	s_delay_alu instid0(VALU_DEP_1) | instskip(SKIP_1) | instid1(VALU_DEP_2)
	v_cndmask_b32_e64 v47, v47, 1, vcc_lo
	v_cmp_eq_u16_e32 vcc_lo, 0, v11
	v_and_b32_e32 v48, 0xffff, v47
	s_waitcnt lgkmcnt(0)
	v_cndmask_b32_e32 v26, 0, v26, vcc_lo
	v_cmp_gt_u32_e32 vcc_lo, v40, v13
	s_delay_alu instid0(VALU_DEP_2) | instskip(SKIP_1) | instid1(VALU_DEP_2)
	v_cndmask_b32_e64 v26, v26, 0, vcc_lo
	v_cndmask_b32_e32 v11, v47, v11, vcc_lo
	v_dual_cndmask_b32 v27, v48, v27 :: v_dual_add_nc_u32 v10, v26, v10
	s_delay_alu instid0(VALU_DEP_2)
	v_and_b32_e32 v48, 1, v11
	ds_bpermute_b32 v26, v41, v27
	v_cmp_eq_u16_e32 vcc_lo, 0, v11
	ds_bpermute_b32 v47, v41, v10
	s_waitcnt lgkmcnt(0)
	v_dual_cndmask_b32 v47, 0, v47 :: v_dual_and_b32 v26, 1, v26
	v_cmp_eq_u32_e32 vcc_lo, 1, v48
	s_delay_alu instid0(VALU_DEP_2) | instskip(SKIP_1) | instid1(VALU_DEP_2)
	v_cndmask_b32_e64 v26, v26, 1, vcc_lo
	v_cmp_gt_u32_e32 vcc_lo, v42, v13
	v_dual_cndmask_b32 v11, v26, v11 :: v_dual_and_b32 v26, 0xffff, v26
	v_cndmask_b32_e64 v47, v47, 0, vcc_lo
	s_delay_alu instid0(VALU_DEP_2) | instskip(NEXT) | instid1(VALU_DEP_2)
	v_cndmask_b32_e32 v26, v26, v27, vcc_lo
	v_add_nc_u32_e32 v10, v47, v10
	s_delay_alu instid0(VALU_DEP_4)
	v_and_b32_e32 v47, 0xff, v11
	v_and_b32_e32 v48, 1, v11
	ds_bpermute_b32 v26, v45, v26
	ds_bpermute_b32 v27, v45, v10
	v_cmp_eq_u16_e32 vcc_lo, 0, v47
	s_waitcnt lgkmcnt(0)
	v_cndmask_b32_e32 v27, 0, v27, vcc_lo
	v_cmp_eq_u32_e32 vcc_lo, 1, v48
	v_cndmask_b32_e64 v26, v26, 1, vcc_lo
	v_cmp_gt_u32_e32 vcc_lo, v46, v13
	s_delay_alu instid0(VALU_DEP_2) | instskip(SKIP_2) | instid1(VALU_DEP_3)
	v_cndmask_b32_e32 v11, v26, v11, vcc_lo
	v_cndmask_b32_e64 v13, v27, 0, vcc_lo
	v_and_b32_e32 v26, 0xff, v43
	v_and_b32_e32 v11, 1, v11
	s_delay_alu instid0(VALU_DEP_3) | instskip(NEXT) | instid1(VALU_DEP_3)
	v_add_nc_u32_e32 v10, v13, v10
	v_cmp_eq_u16_e32 vcc_lo, 0, v26
	s_delay_alu instid0(VALU_DEP_2) | instskip(NEXT) | instid1(VALU_DEP_1)
	v_dual_cndmask_b32 v10, 0, v10 :: v_dual_and_b32 v13, 1, v43
	v_cmp_eq_u32_e32 vcc_lo, 1, v13
	s_delay_alu instid0(VALU_DEP_2)
	v_add_nc_u32_e32 v10, v10, v44
	v_cndmask_b32_e64 v11, v11, 1, vcc_lo
.LBB42_87:                              ; =>This Loop Header: Depth=1
                                        ;     Child Loop BB42_90 Depth 2
	s_delay_alu instid0(VALU_DEP_1) | instskip(NEXT) | instid1(VALU_DEP_2)
	v_dual_mov_b32 v43, v11 :: v_dual_and_b32 v12, 0xff, v12
	v_mov_b32_e32 v44, v10
	s_delay_alu instid0(VALU_DEP_2) | instskip(SKIP_2) | instid1(VALU_DEP_1)
	v_cmp_ne_u16_e32 vcc_lo, 2, v12
	v_cndmask_b32_e64 v12, 0, 1, vcc_lo
	;;#ASMSTART
	;;#ASMEND
	v_cmp_ne_u32_e32 vcc_lo, 0, v12
	s_cmp_lg_u32 vcc_lo, exec_lo
	s_cbranch_scc1 .LBB42_92
; %bb.88:                               ;   in Loop: Header=BB42_87 Depth=1
	v_lshlrev_b64 v[10:11], 4, v[24:25]
	s_mov_b32 s11, exec_lo
	s_delay_alu instid0(VALU_DEP_1) | instskip(NEXT) | instid1(VALU_DEP_2)
	v_add_co_u32 v26, vcc_lo, s16, v10
	v_add_co_ci_u32_e32 v27, vcc_lo, s17, v11, vcc_lo
	;;#ASMSTART
	global_load_dwordx4 v[10:13], v[26:27] off glc	
s_waitcnt vmcnt(0)
	;;#ASMEND
	v_and_b32_e32 v13, 0xff, v12
	s_delay_alu instid0(VALU_DEP_1)
	v_cmpx_eq_u16_e32 0, v13
	s_cbranch_execz .LBB42_86
; %bb.89:                               ;   in Loop: Header=BB42_87 Depth=1
	s_mov_b32 s24, 0
.LBB42_90:                              ;   Parent Loop BB42_87 Depth=1
                                        ; =>  This Inner Loop Header: Depth=2
	;;#ASMSTART
	global_load_dwordx4 v[10:13], v[26:27] off glc	
s_waitcnt vmcnt(0)
	;;#ASMEND
	v_and_b32_e32 v13, 0xff, v12
	s_delay_alu instid0(VALU_DEP_1) | instskip(SKIP_1) | instid1(SALU_CYCLE_1)
	v_cmp_ne_u16_e32 vcc_lo, 0, v13
	s_or_b32 s24, vcc_lo, s24
	s_and_not1_b32 exec_lo, exec_lo, s24
	s_cbranch_execnz .LBB42_90
; %bb.91:                               ;   in Loop: Header=BB42_87 Depth=1
	s_or_b32 exec_lo, exec_lo, s24
	s_branch .LBB42_86
.LBB42_92:                              ;   in Loop: Header=BB42_87 Depth=1
                                        ; implicit-def: $vgpr11
                                        ; implicit-def: $vgpr10
                                        ; implicit-def: $vgpr12
	s_cbranch_execz .LBB42_87
; %bb.93:
	s_and_saveexec_b32 s11, s10
	s_cbranch_execz .LBB42_95
; %bb.94:
	s_and_b32 s20, s23, 0xff
	s_mov_b32 s21, 0
	s_cmp_eq_u32 s20, 0
	v_and_b32_e32 v11, 1, v43
	s_cselect_b32 vcc_lo, -1, 0
	s_bitcmp1_b32 s23, 0
	v_cndmask_b32_e32 v10, 0, v44, vcc_lo
	s_cselect_b32 s23, -1, 0
	s_add_i32 s20, s15, 32
	v_mov_b32_e32 v12, 0
	s_lshl_b64 s[20:21], s[20:21], 4
	v_add_nc_u32_e32 v9, v10, v9
	s_add_u32 s20, s16, s20
	s_addc_u32 s21, s17, s21
	v_cndmask_b32_e64 v10, v11, 1, s23
	v_mov_b32_e32 v25, s21
	v_dual_mov_b32 v11, 2 :: v_dual_mov_b32 v24, s20
	;;#ASMSTART
	global_store_dwordx4 v[24:25], v[9:12] off	
s_waitcnt vmcnt(0)
	;;#ASMEND
.LBB42_95:
	s_or_b32 exec_lo, exec_lo, s11
	v_cmp_eq_u32_e32 vcc_lo, 0, v0
	s_and_b32 exec_lo, exec_lo, vcc_lo
	s_cbranch_execz .LBB42_97
; %bb.96:
	v_mov_b32_e32 v9, 0
	ds_store_b32 v9, v44 offset:56
	ds_store_b8 v9, v43 offset:60
.LBB42_97:
	s_or_b32 exec_lo, exec_lo, s14
	s_waitcnt lgkmcnt(0)
	v_cndmask_b32_e64 v9, v33, v31, s10
	v_dual_mov_b32 v10, 0 :: v_dual_and_b32 v11, 1, v15
	s_barrier
	s_delay_alu instid0(VALU_DEP_2)
	v_and_b32_e32 v9, 1, v9
	buffer_gl0_inv
	v_cmp_eq_u32_e32 vcc_lo, 1, v11
	ds_load_b32 v10, v10 offset:56
	s_mov_b32 s14, 0
	s_mov_b32 s15, 1
	v_cndmask_b32_e64 v11, v32, v30, s10
	v_cndmask_b32_e64 v9, v9, 1, vcc_lo
	v_cmp_eq_u32_e32 vcc_lo, 0, v0
	v_cmp_gt_u64_e64 s10, s[14:15], v[14:15]
	s_delay_alu instid0(VALU_DEP_3) | instskip(NEXT) | instid1(VALU_DEP_2)
	v_cndmask_b32_e32 v9, v9, v15, vcc_lo
	v_cndmask_b32_e64 v11, 0, v11, s10
	s_delay_alu instid0(VALU_DEP_2) | instskip(NEXT) | instid1(VALU_DEP_2)
	v_and_b32_e32 v9, 0xff, v9
	v_cndmask_b32_e64 v11, v11, 0, vcc_lo
	s_delay_alu instid0(VALU_DEP_2) | instskip(SKIP_2) | instid1(VALU_DEP_1)
	v_cmp_eq_u16_e32 vcc_lo, 0, v9
	s_waitcnt lgkmcnt(0)
	v_cndmask_b32_e32 v9, 0, v10, vcc_lo
	v_add3_u32 v9, v11, v14, v9
	s_delay_alu instid0(VALU_DEP_1) | instskip(NEXT) | instid1(VALU_DEP_1)
	v_cndmask_b32_e64 v10, 0, v9, s2
	v_add_nc_u32_e32 v24, v10, v16
	s_delay_alu instid0(VALU_DEP_1) | instskip(NEXT) | instid1(VALU_DEP_1)
	v_cndmask_b32_e64 v10, 0, v24, s3
	v_add_nc_u32_e32 v25, v10, v18
	;; [unrolled: 3-line block ×8, first 2 shown]
	s_branch .LBB42_122
.LBB42_98:
                                        ; implicit-def: $vgpr9_vgpr10
                                        ; implicit-def: $vgpr24
                                        ; implicit-def: $vgpr25
                                        ; implicit-def: $vgpr26
                                        ; implicit-def: $vgpr27
                                        ; implicit-def: $vgpr30
                                        ; implicit-def: $vgpr31
                                        ; implicit-def: $vgpr32
                                        ; implicit-def: $vgpr33
	s_cbranch_execz .LBB42_122
; %bb.99:
	v_cmp_eq_u32_e32 vcc_lo, 0, v0
	s_cmp_lg_u64 s[12:13], 0
	v_cmp_ne_u32_e64 s2, 0, v0
	s_cselect_b32 s3, -1, 0
	s_mov_b32 s14, 0
	s_and_b32 s3, vcc_lo, s3
	s_delay_alu instid0(SALU_CYCLE_1)
	s_and_saveexec_b32 s4, s3
	s_cbranch_execz .LBB42_101
; %bb.100:
	v_dual_mov_b32 v9, 0 :: v_dual_and_b32 v10, 1, v15
	s_mov_b32 s15, 1
	s_load_b32 s5, s[12:13], 0x0
	v_cmp_gt_u64_e64 s3, s[14:15], v[14:15]
	global_load_u8 v11, v9, s[12:13] offset:4
	s_waitcnt lgkmcnt(0)
	v_cndmask_b32_e64 v12, 0, s5, s3
	v_cmp_eq_u64_e64 s3, 0, v[9:10]
	s_delay_alu instid0(VALU_DEP_2) | instskip(SKIP_2) | instid1(VALU_DEP_1)
	v_add_nc_u32_e32 v14, v12, v14
	s_waitcnt vmcnt(0)
	v_and_b32_e32 v11, 1, v11
	v_cndmask_b32_e64 v15, 1, v11, s3
.LBB42_101:
	s_or_b32 exec_lo, exec_lo, s4
	s_mov_b32 s15, 1
	v_and_b32_e32 v12, 1, v4
	v_cmp_gt_u64_e64 s3, s[14:15], v[16:17]
	v_cmp_gt_u64_e64 s4, s[14:15], v[18:19]
	;; [unrolled: 1-line block ×4, first 2 shown]
	s_mov_b32 s13, exec_lo
	s_delay_alu instid0(VALU_DEP_4) | instskip(NEXT) | instid1(VALU_DEP_1)
	v_cndmask_b32_e64 v9, 0, v14, s3
	v_dual_mov_b32 v9, 0 :: v_dual_add_nc_u32 v24, v9, v16
	v_and_b32_e32 v10, 1, v2
	v_and_b32_e32 v27, 1, v6
	;; [unrolled: 1-line block ×3, first 2 shown]
	s_delay_alu instid0(VALU_DEP_4)
	v_cndmask_b32_e64 v13, 0, v24, s4
	v_mov_b32_e32 v30, v9
	v_mov_b32_e32 v11, v9
	;; [unrolled: 1-line block ×3, first 2 shown]
	v_cmp_ne_u64_e64 s5, 0, v[9:10]
	v_add_nc_u32_e32 v25, v13, v18
	s_delay_alu instid0(VALU_DEP_4) | instskip(NEXT) | instid1(VALU_DEP_3)
	v_cmp_ne_u64_e64 s6, 0, v[11:12]
	v_cndmask_b32_e64 v9, 0, 1, s5
	v_cmp_gt_u64_e64 s5, s[14:15], v[20:21]
	s_delay_alu instid0(VALU_DEP_3) | instskip(SKIP_1) | instid1(VALU_DEP_3)
	v_cndmask_b32_e64 v11, 0, 1, s6
	v_cmp_ne_u64_e64 s6, 0, v[26:27]
	v_cndmask_b32_e64 v10, 0, v25, s5
	s_delay_alu instid0(VALU_DEP_3) | instskip(NEXT) | instid1(VALU_DEP_3)
	v_lshlrev_b16 v11, 1, v11
	v_cndmask_b32_e64 v12, 0, 1, s6
	v_cmp_ne_u64_e64 s6, 0, v[30:31]
	s_delay_alu instid0(VALU_DEP_4) | instskip(NEXT) | instid1(VALU_DEP_4)
	v_add_nc_u32_e32 v26, v10, v20
	v_or_b32_e32 v9, v9, v11
	s_delay_alu instid0(VALU_DEP_4) | instskip(NEXT) | instid1(VALU_DEP_4)
	v_lshlrev_b16 v12, 2, v12
	v_cndmask_b32_e64 v10, 0, 1, s6
	v_cmp_gt_u64_e64 s6, s[14:15], v[1:2]
	s_delay_alu instid0(VALU_DEP_4) | instskip(NEXT) | instid1(VALU_DEP_3)
	v_and_b32_e32 v9, 3, v9
	v_lshlrev_b16 v10, 3, v10
	s_delay_alu instid0(VALU_DEP_3) | instskip(NEXT) | instid1(VALU_DEP_1)
	v_cndmask_b32_e64 v2, 0, v26, s6
	v_add_nc_u32_e32 v27, v2, v1
	s_delay_alu instid0(VALU_DEP_3) | instskip(SKIP_1) | instid1(VALU_DEP_3)
	v_or_b32_e32 v2, v10, v12
	v_or3_b32 v10, v23, v21, v19
	v_cndmask_b32_e64 v4, 0, v27, s7
	s_delay_alu instid0(VALU_DEP_3) | instskip(SKIP_1) | instid1(VALU_DEP_3)
	v_or_b32_e32 v2, v9, v2
	v_and_b32_e32 v9, 1, v17
	v_add_nc_u32_e32 v30, v4, v3
	v_and_b32_e32 v4, 1, v10
	s_delay_alu instid0(VALU_DEP_4) | instskip(NEXT) | instid1(VALU_DEP_4)
	v_and_b32_e32 v2, 15, v2
	v_cmp_eq_u32_e64 s11, 1, v9
	s_delay_alu instid0(VALU_DEP_4) | instskip(NEXT) | instid1(VALU_DEP_4)
	v_cndmask_b32_e64 v6, 0, v30, s8
	v_cmp_eq_u32_e64 s9, 1, v4
	s_delay_alu instid0(VALU_DEP_4) | instskip(NEXT) | instid1(VALU_DEP_3)
	v_cmp_ne_u16_e64 s10, 0, v2
	v_add_nc_u32_e32 v31, v6, v5
	s_delay_alu instid0(VALU_DEP_2) | instskip(SKIP_2) | instid1(SALU_CYCLE_1)
	s_or_b32 s10, s9, s10
	v_cmp_gt_u64_e64 s9, s[14:15], v[7:8]
	s_or_b32 s10, s10, s11
	v_cndmask_b32_e64 v6, v15, 1, s10
	v_cmp_gt_u64_e64 s10, s[14:15], v[22:23]
	s_delay_alu instid0(VALU_DEP_3) | instskip(NEXT) | instid1(VALU_DEP_1)
	v_cndmask_b32_e64 v2, 0, v31, s9
	v_add_nc_u32_e32 v32, v2, v7
	s_delay_alu instid0(VALU_DEP_4) | instskip(NEXT) | instid1(VALU_DEP_2)
	v_and_b32_e32 v2, 0xff, v6
	v_cndmask_b32_e64 v4, 0, v32, s10
	s_delay_alu instid0(VALU_DEP_2) | instskip(NEXT) | instid1(VALU_DEP_2)
	v_mov_b32_dpp v8, v2 row_shr:1 row_mask:0xf bank_mask:0xf
	v_add_nc_u32_e32 v33, v4, v22
	v_and_b32_e32 v4, 1, v6
	s_delay_alu instid0(VALU_DEP_3) | instskip(SKIP_1) | instid1(VALU_DEP_4)
	v_and_b32_e32 v9, 1, v8
	v_and_b32_e32 v8, 15, v29
	v_mov_b32_dpp v11, v33 row_shr:1 row_mask:0xf bank_mask:0xf
	s_delay_alu instid0(VALU_DEP_4) | instskip(NEXT) | instid1(VALU_DEP_1)
	v_cmp_eq_u32_e64 s11, 1, v4
	v_cndmask_b32_e64 v10, v9, 1, s11
	v_cmp_eq_u16_e64 s11, 0, v2
	s_delay_alu instid0(VALU_DEP_2) | instskip(NEXT) | instid1(VALU_DEP_2)
	v_and_b32_e32 v9, 0xffff, v10
	v_cndmask_b32_e64 v4, 0, v11, s11
	v_cmp_eq_u32_e64 s11, 0, v8
	s_delay_alu instid0(VALU_DEP_1) | instskip(NEXT) | instid1(VALU_DEP_4)
	v_cndmask_b32_e64 v11, v4, 0, s11
	v_cndmask_b32_e64 v4, v9, v2, s11
	;; [unrolled: 1-line block ×3, first 2 shown]
	s_delay_alu instid0(VALU_DEP_3) | instskip(NEXT) | instid1(VALU_DEP_3)
	v_add_nc_u32_e32 v2, v33, v11
	v_mov_b32_dpp v12, v4 row_shr:2 row_mask:0xf bank_mask:0xf
	v_mov_b32_e32 v9, v4
	s_delay_alu instid0(VALU_DEP_3)
	v_mov_b32_dpp v11, v2 row_shr:2 row_mask:0xf bank_mask:0xf
	v_cmpx_lt_u32_e32 1, v8
; %bb.102:
	v_and_b32_e32 v4, 1, v10
	v_cmp_eq_u16_e64 s11, 0, v10
	v_and_b32_e32 v6, 1, v12
	s_delay_alu instid0(VALU_DEP_2) | instskip(NEXT) | instid1(VALU_DEP_4)
	v_cndmask_b32_e64 v9, 0, v11, s11
	v_cmp_eq_u32_e64 s11, 1, v4
	s_delay_alu instid0(VALU_DEP_2) | instskip(NEXT) | instid1(VALU_DEP_2)
	v_add_nc_u32_e32 v2, v2, v9
	v_cndmask_b32_e64 v6, v6, 1, s11
	s_delay_alu instid0(VALU_DEP_1)
	v_dual_mov_b32 v4, v6 :: v_dual_and_b32 v9, 0xffff, v6
; %bb.103:
	s_or_b32 exec_lo, exec_lo, s13
	s_delay_alu instid0(VALU_DEP_3) | instskip(NEXT) | instid1(VALU_DEP_2)
	v_mov_b32_dpp v10, v2 row_shr:4 row_mask:0xf bank_mask:0xf
	v_mov_b32_dpp v11, v9 row_shr:4 row_mask:0xf bank_mask:0xf
	s_mov_b32 s12, exec_lo
	v_cmpx_lt_u32_e32 3, v8
; %bb.104:
	v_and_b32_e32 v6, 1, v4
	v_cmp_eq_u16_e64 s11, 0, v4
	v_and_b32_e32 v9, 1, v11
	s_delay_alu instid0(VALU_DEP_2) | instskip(NEXT) | instid1(VALU_DEP_4)
	v_cndmask_b32_e64 v4, 0, v10, s11
	v_cmp_eq_u32_e64 s11, 1, v6
	s_delay_alu instid0(VALU_DEP_2) | instskip(NEXT) | instid1(VALU_DEP_2)
	v_add_nc_u32_e32 v2, v4, v2
	v_cndmask_b32_e64 v6, v9, 1, s11
	s_delay_alu instid0(VALU_DEP_1)
	v_dual_mov_b32 v4, v6 :: v_dual_and_b32 v9, 0xffff, v6
; %bb.105:
	s_or_b32 exec_lo, exec_lo, s12
	s_delay_alu instid0(VALU_DEP_3) | instskip(NEXT) | instid1(VALU_DEP_2)
	v_mov_b32_dpp v10, v2 row_shr:8 row_mask:0xf bank_mask:0xf
	v_mov_b32_dpp v11, v9 row_shr:8 row_mask:0xf bank_mask:0xf
	s_mov_b32 s12, exec_lo
	v_cmpx_lt_u32_e32 7, v8
; %bb.106:
	v_and_b32_e32 v6, 1, v4
	v_cmp_eq_u16_e64 s11, 0, v4
	v_and_b32_e32 v8, 1, v11
	s_delay_alu instid0(VALU_DEP_2) | instskip(NEXT) | instid1(VALU_DEP_4)
	v_cndmask_b32_e64 v4, 0, v10, s11
	v_cmp_eq_u32_e64 s11, 1, v6
	s_delay_alu instid0(VALU_DEP_2) | instskip(NEXT) | instid1(VALU_DEP_2)
	v_add_nc_u32_e32 v2, v4, v2
	v_cndmask_b32_e64 v6, v8, 1, s11
	s_delay_alu instid0(VALU_DEP_1)
	v_dual_mov_b32 v4, v6 :: v_dual_and_b32 v9, 0xffff, v6
; %bb.107:
	s_or_b32 exec_lo, exec_lo, s12
	ds_swizzle_b32 v8, v2 offset:swizzle(BROADCAST,32,15)
	ds_swizzle_b32 v9, v9 offset:swizzle(BROADCAST,32,15)
	v_cmp_eq_u16_e64 s11, 0, v4
	v_and_b32_e32 v4, 1, v4
	v_bfe_i32 v10, v29, 4, 1
	v_and_b32_e32 v11, 16, v29
	s_mov_b32 s12, exec_lo
	s_waitcnt lgkmcnt(1)
	v_cndmask_b32_e64 v8, 0, v8, s11
	s_waitcnt lgkmcnt(0)
	v_and_b32_e32 v9, 1, v9
	v_cmp_eq_u32_e64 s11, 1, v4
	v_lshrrev_b32_e32 v4, 5, v0
	v_and_b32_e32 v8, v10, v8
	v_or_b32_e32 v10, 31, v0
	s_delay_alu instid0(VALU_DEP_4) | instskip(SKIP_1) | instid1(VALU_DEP_4)
	v_cndmask_b32_e64 v9, v9, 1, s11
	v_cmp_eq_u32_e64 s11, 0, v11
	v_add_nc_u32_e32 v2, v8, v2
	s_delay_alu instid0(VALU_DEP_2)
	v_cndmask_b32_e64 v6, v9, v6, s11
	v_cmpx_eq_u32_e64 v10, v0
	s_cbranch_execz .LBB42_109
; %bb.108:
	v_lshlrev_b32_e32 v8, 3, v4
	ds_store_b32 v8, v2
	ds_store_b8 v8, v6 offset:4
.LBB42_109:
	s_or_b32 exec_lo, exec_lo, s12
	s_delay_alu instid0(SALU_CYCLE_1)
	s_mov_b32 s13, exec_lo
	s_waitcnt lgkmcnt(0)
	s_barrier
	buffer_gl0_inv
	v_cmpx_gt_u32_e32 8, v0
	s_cbranch_execz .LBB42_115
; %bb.110:
	v_lshlrev_b32_e32 v10, 3, v0
	v_and_b32_e32 v11, 7, v29
	s_mov_b32 s12, exec_lo
	ds_load_b64 v[8:9], v10
	s_waitcnt lgkmcnt(0)
	v_dual_mov_b32 v13, v9 :: v_dual_and_b32 v12, 0xffffff00, v9
	v_mov_b32_dpp v17, v8 row_shr:1 row_mask:0xf bank_mask:0xf
	v_mov_b32_dpp v19, v9 row_shr:1 row_mask:0xf bank_mask:0xf
	v_cmpx_ne_u32_e32 0, v11
; %bb.111:
	v_and_b32_e32 v13, 1, v9
	s_delay_alu instid0(VALU_DEP_3) | instskip(SKIP_1) | instid1(VALU_DEP_3)
	v_and_b32_e32 v19, 1, v19
	v_and_b32_e32 v21, 0xff, v9
	v_cmp_eq_u32_e64 s11, 1, v13
	s_delay_alu instid0(VALU_DEP_1) | instskip(NEXT) | instid1(VALU_DEP_3)
	v_cndmask_b32_e64 v9, v19, 1, s11
	v_cmp_eq_u16_e64 s11, 0, v21
	s_delay_alu instid0(VALU_DEP_1) | instskip(NEXT) | instid1(VALU_DEP_3)
	v_cndmask_b32_e64 v13, 0, v17, s11
	v_and_b32_e32 v17, 0xffff, v9
	s_delay_alu instid0(VALU_DEP_2) | instskip(NEXT) | instid1(VALU_DEP_2)
	v_add_nc_u32_e32 v8, v13, v8
	v_or_b32_e32 v13, v12, v17
; %bb.112:
	s_or_b32 exec_lo, exec_lo, s12
	s_delay_alu instid0(VALU_DEP_2) | instskip(NEXT) | instid1(VALU_DEP_2)
	v_mov_b32_dpp v17, v8 row_shr:2 row_mask:0xf bank_mask:0xf
	v_mov_b32_dpp v21, v13 row_shr:2 row_mask:0xf bank_mask:0xf
	v_mov_b32_e32 v19, v13
	s_mov_b32 s12, exec_lo
	v_cmpx_lt_u32_e32 1, v11
; %bb.113:
	v_and_b32_e32 v9, 1, v13
	v_and_b32_e32 v19, 1, v21
	;; [unrolled: 1-line block ×3, first 2 shown]
	s_delay_alu instid0(VALU_DEP_3) | instskip(NEXT) | instid1(VALU_DEP_1)
	v_cmp_eq_u32_e64 s11, 1, v9
	v_cndmask_b32_e64 v9, v19, 1, s11
	s_delay_alu instid0(VALU_DEP_3) | instskip(NEXT) | instid1(VALU_DEP_2)
	v_cmp_eq_u16_e64 s11, 0, v13
	v_mov_b32_e32 v19, v9
	s_delay_alu instid0(VALU_DEP_2) | instskip(SKIP_1) | instid1(VALU_DEP_2)
	v_cndmask_b32_e64 v13, 0, v17, s11
	v_and_b32_e32 v17, 0xffff, v9
	v_add_nc_u32_e32 v8, v13, v8
	s_delay_alu instid0(VALU_DEP_2)
	v_or_b32_e32 v13, v12, v17
; %bb.114:
	s_or_b32 exec_lo, exec_lo, s12
	s_delay_alu instid0(VALU_DEP_1) | instskip(SKIP_2) | instid1(VALU_DEP_3)
	v_mov_b32_dpp v12, v13 row_shr:4 row_mask:0xf bank_mask:0xf
	v_and_b32_e32 v17, 1, v19
	v_and_b32_e32 v13, 0xff, v19
	;; [unrolled: 1-line block ×3, first 2 shown]
	s_delay_alu instid0(VALU_DEP_3) | instskip(NEXT) | instid1(VALU_DEP_3)
	v_cmp_eq_u32_e64 s12, 1, v17
	v_cmp_eq_u16_e64 s11, 0, v13
	s_delay_alu instid0(VALU_DEP_2) | instskip(SKIP_2) | instid1(VALU_DEP_2)
	v_cndmask_b32_e64 v12, v12, 1, s12
	v_cmp_lt_u32_e64 s12, 3, v11
	v_mov_b32_dpp v11, v8 row_shr:4 row_mask:0xf bank_mask:0xf
	s_and_b32 s11, s12, s11
	s_delay_alu instid0(VALU_DEP_3) | instskip(NEXT) | instid1(VALU_DEP_2)
	v_cndmask_b32_e64 v9, v9, v12, s12
	v_cndmask_b32_e64 v11, 0, v11, s11
	s_delay_alu instid0(VALU_DEP_1)
	v_add_nc_u32_e32 v8, v11, v8
	ds_store_b32 v10, v8
	ds_store_b8 v10, v9 offset:4
.LBB42_115:
	s_or_b32 exec_lo, exec_lo, s13
	v_mov_b32_e32 v8, 0
	s_mov_b32 s12, exec_lo
	s_waitcnt lgkmcnt(0)
	s_barrier
	buffer_gl0_inv
	v_cmpx_lt_u32_e32 31, v0
	s_cbranch_execz .LBB42_117
; %bb.116:
	v_lshl_add_u32 v4, v4, 3, -8
	ds_load_b32 v8, v4
	v_and_b32_e32 v4, 0xff, v6
	s_delay_alu instid0(VALU_DEP_1) | instskip(SKIP_1) | instid1(VALU_DEP_1)
	v_cmp_eq_u16_e64 s11, 0, v4
	s_waitcnt lgkmcnt(0)
	v_cndmask_b32_e64 v4, 0, v8, s11
	s_delay_alu instid0(VALU_DEP_1)
	v_add_nc_u32_e32 v2, v4, v2
.LBB42_117:
	s_or_b32 exec_lo, exec_lo, s12
	v_add_nc_u32_e32 v4, -1, v29
	s_mov_b32 s12, 0
	s_delay_alu instid0(VALU_DEP_1) | instskip(NEXT) | instid1(VALU_DEP_1)
	v_cmp_gt_i32_e64 s11, 0, v4
	v_cndmask_b32_e64 v4, v4, v29, s11
	s_delay_alu instid0(VALU_DEP_1)
	v_lshlrev_b32_e32 v4, 2, v4
	ds_bpermute_b32 v2, v4, v2
	s_and_saveexec_b32 s11, s2
	s_cbranch_execz .LBB42_119
; %bb.118:
	v_cmp_eq_u32_e64 s2, 0, v29
	s_mov_b32 s13, 1
	s_waitcnt lgkmcnt(0)
	s_delay_alu instid0(VALU_DEP_1) | instskip(SKIP_1) | instid1(VALU_DEP_1)
	v_cndmask_b32_e64 v2, v2, v8, s2
	v_cmp_gt_u64_e64 s2, s[12:13], v[14:15]
	v_cndmask_b32_e64 v2, 0, v2, s2
	s_delay_alu instid0(VALU_DEP_1) | instskip(NEXT) | instid1(VALU_DEP_1)
	v_add_nc_u32_e32 v14, v2, v14
	v_cndmask_b32_e64 v2, 0, v14, s3
	s_delay_alu instid0(VALU_DEP_1) | instskip(NEXT) | instid1(VALU_DEP_1)
	v_add_nc_u32_e32 v24, v2, v16
	;; [unrolled: 3-line block ×8, first 2 shown]
	v_cndmask_b32_e64 v1, 0, v32, s10
	s_delay_alu instid0(VALU_DEP_1)
	v_add_nc_u32_e32 v33, v1, v22
.LBB42_119:
	s_or_b32 exec_lo, exec_lo, s11
	s_and_saveexec_b32 s2, vcc_lo
	s_cbranch_execz .LBB42_121
; %bb.120:
	v_dual_mov_b32 v4, 0 :: v_dual_mov_b32 v3, 2
	s_add_u32 s4, s16, 0x200
	s_addc_u32 s5, s17, 0
	ds_load_b32 v1, v4 offset:56
	s_waitcnt lgkmcnt(1)
	ds_load_u8 v2, v4 offset:60
	v_dual_mov_b32 v6, s5 :: v_dual_mov_b32 v5, s4
	s_waitcnt lgkmcnt(0)
	;;#ASMSTART
	global_store_dwordx4 v[5:6], v[1:4] off	
s_waitcnt vmcnt(0)
	;;#ASMEND
.LBB42_121:
	s_or_b32 exec_lo, exec_lo, s2
	v_dual_mov_b32 v9, v14 :: v_dual_mov_b32 v10, v15
.LBB42_122:
	s_load_b64 s[0:1], s[0:1], 0x18
	s_lshl_b64 s[2:3], s[34:35], 3
	v_lshlrev_b32_e32 v8, 3, v0
	s_waitcnt lgkmcnt(0)
	s_add_u32 s0, s0, s2
	s_addc_u32 s1, s1, s3
	s_and_b32 vcc_lo, exec_lo, s22
	s_cbranch_vccz .LBB42_140
; %bb.123:
	v_mul_u32_u24_e32 v1, 9, v0
	s_barrier
	buffer_gl0_inv
	v_add_co_u32 v4, s2, s0, v8
	v_lshlrev_b32_e32 v14, 2, v1
	v_add_co_ci_u32_e64 v5, null, s1, 0, s2
	s_add_i32 s19, s19, s18
	ds_store_2addr_b32 v14, v9, v24 offset1:1
	ds_store_2addr_b32 v14, v25, v26 offset0:2 offset1:3
	ds_store_2addr_b32 v14, v27, v30 offset0:4 offset1:5
	;; [unrolled: 1-line block ×3, first 2 shown]
	v_sub_nc_u32_e32 v1, v14, v28
	ds_store_b32 v14, v33 offset:32
	s_waitcnt lgkmcnt(0)
	s_barrier
	buffer_gl0_inv
	ds_load_2addr_stride64_b32 v[12:13], v1 offset0:4 offset1:8
	ds_load_2addr_stride64_b32 v[10:11], v1 offset0:12 offset1:16
	;; [unrolled: 1-line block ×4, first 2 shown]
	v_mov_b32_e32 v1, 0
	s_mov_b32 s2, exec_lo
	v_cmpx_gt_u32_e64 s19, v0
	s_cbranch_execz .LBB42_125
; %bb.124:
	v_sub_nc_u32_e32 v15, 0, v28
	s_delay_alu instid0(VALU_DEP_1)
	v_add_nc_u32_e32 v14, v14, v15
	ds_load_b32 v14, v14
	s_waitcnt lgkmcnt(0)
	v_ashrrev_i32_e32 v15, 31, v14
	global_store_b64 v[4:5], v[14:15], off
.LBB42_125:
	s_or_b32 exec_lo, exec_lo, s2
	v_or_b32_e32 v14, 0x100, v0
	s_mov_b32 s2, exec_lo
	s_delay_alu instid0(VALU_DEP_1)
	v_cmpx_gt_u32_e64 s19, v14
	s_cbranch_execz .LBB42_127
; %bb.126:
	s_waitcnt lgkmcnt(3)
	v_ashrrev_i32_e32 v15, 31, v12
	v_mov_b32_e32 v14, v12
	global_store_b64 v[4:5], v[14:15], off offset:2048
.LBB42_127:
	s_or_b32 exec_lo, exec_lo, s2
	s_waitcnt lgkmcnt(3)
	v_or_b32_e32 v12, 0x200, v0
	s_mov_b32 s2, exec_lo
	s_delay_alu instid0(VALU_DEP_1)
	v_cmpx_gt_u32_e64 s19, v12
	s_cbranch_execz .LBB42_129
; %bb.128:
	v_add_co_u32 v15, vcc_lo, 0x1000, v4
	v_ashrrev_i32_e32 v14, 31, v13
	v_add_co_ci_u32_e32 v16, vcc_lo, 0, v5, vcc_lo
	global_store_b64 v[15:16], v[13:14], off
.LBB42_129:
	s_or_b32 exec_lo, exec_lo, s2
	v_or_b32_e32 v12, 0x300, v0
	s_mov_b32 s2, exec_lo
	s_delay_alu instid0(VALU_DEP_1)
	v_cmpx_gt_u32_e64 s19, v12
	s_cbranch_execz .LBB42_131
; %bb.130:
	v_add_co_u32 v14, vcc_lo, 0x1000, v4
	s_waitcnt lgkmcnt(2)
	v_ashrrev_i32_e32 v13, 31, v10
	v_mov_b32_e32 v12, v10
	v_add_co_ci_u32_e32 v15, vcc_lo, 0, v5, vcc_lo
	global_store_b64 v[14:15], v[12:13], off offset:2048
.LBB42_131:
	s_or_b32 exec_lo, exec_lo, s2
	s_waitcnt lgkmcnt(2)
	v_or_b32_e32 v10, 0x400, v0
	s_mov_b32 s2, exec_lo
	s_delay_alu instid0(VALU_DEP_1)
	v_cmpx_gt_u32_e64 s19, v10
	s_cbranch_execz .LBB42_133
; %bb.132:
	v_add_co_u32 v13, vcc_lo, 0x2000, v4
	v_ashrrev_i32_e32 v12, 31, v11
	v_add_co_ci_u32_e32 v14, vcc_lo, 0, v5, vcc_lo
	global_store_b64 v[13:14], v[11:12], off
.LBB42_133:
	s_or_b32 exec_lo, exec_lo, s2
	v_or_b32_e32 v10, 0x500, v0
	s_mov_b32 s2, exec_lo
	s_delay_alu instid0(VALU_DEP_1)
	v_cmpx_gt_u32_e64 s19, v10
	s_cbranch_execz .LBB42_135
; %bb.134:
	v_add_co_u32 v12, vcc_lo, 0x2000, v4
	s_waitcnt lgkmcnt(1)
	v_ashrrev_i32_e32 v11, 31, v6
	v_mov_b32_e32 v10, v6
	v_add_co_ci_u32_e32 v13, vcc_lo, 0, v5, vcc_lo
	global_store_b64 v[12:13], v[10:11], off offset:2048
.LBB42_135:
	s_or_b32 exec_lo, exec_lo, s2
	s_waitcnt lgkmcnt(1)
	v_or_b32_e32 v6, 0x600, v0
	s_mov_b32 s2, exec_lo
	s_delay_alu instid0(VALU_DEP_1)
	v_cmpx_gt_u32_e64 s19, v6
	s_cbranch_execz .LBB42_137
; %bb.136:
	v_add_co_u32 v6, vcc_lo, 0x3000, v4
	v_ashrrev_i32_e32 v11, 31, v7
	v_mov_b32_e32 v10, v7
	v_add_co_ci_u32_e32 v7, vcc_lo, 0, v5, vcc_lo
	global_store_b64 v[6:7], v[10:11], off
.LBB42_137:
	s_or_b32 exec_lo, exec_lo, s2
	v_or_b32_e32 v6, 0x700, v0
	s_mov_b32 s2, exec_lo
	s_delay_alu instid0(VALU_DEP_1)
	v_cmpx_gt_u32_e64 s19, v6
	s_cbranch_execz .LBB42_139
; %bb.138:
	v_add_co_u32 v4, vcc_lo, 0x3000, v4
	s_waitcnt lgkmcnt(0)
	v_ashrrev_i32_e32 v7, 31, v2
	v_mov_b32_e32 v6, v2
	v_add_co_ci_u32_e32 v5, vcc_lo, 0, v5, vcc_lo
	global_store_b64 v[4:5], v[6:7], off offset:2048
.LBB42_139:
	s_or_b32 exec_lo, exec_lo, s2
	s_waitcnt lgkmcnt(0)
	v_or_b32_e32 v2, 0x800, v0
	s_delay_alu instid0(VALU_DEP_1)
	v_cmp_gt_u32_e64 s2, s19, v2
	s_branch .LBB42_142
.LBB42_140:
	s_mov_b32 s2, 0
                                        ; implicit-def: $vgpr3
	s_cbranch_execz .LBB42_142
; %bb.141:
	v_mul_u32_u24_e32 v1, 36, v0
	s_waitcnt_vscnt null, 0x0
	s_barrier
	buffer_gl0_inv
	s_or_b32 s2, s2, exec_lo
	v_sub_nc_u32_e32 v23, v1, v28
	ds_store_2addr_b32 v1, v9, v24 offset1:1
	ds_store_2addr_b32 v1, v25, v26 offset0:2 offset1:3
	ds_store_2addr_b32 v1, v27, v30 offset0:4 offset1:5
	;; [unrolled: 1-line block ×3, first 2 shown]
	ds_store_b32 v1, v33 offset:32
	s_waitcnt lgkmcnt(0)
	s_barrier
	buffer_gl0_inv
	ds_load_2addr_stride64_b32 v[2:3], v23 offset1:4
	ds_load_2addr_stride64_b32 v[4:5], v23 offset0:8 offset1:12
	ds_load_2addr_stride64_b32 v[6:7], v23 offset0:16 offset1:20
	;; [unrolled: 1-line block ×3, first 2 shown]
	v_mov_b32_e32 v1, 0
	s_waitcnt lgkmcnt(3)
	v_ashrrev_i32_e32 v12, 31, v2
	v_mov_b32_e32 v11, v2
	v_ashrrev_i32_e32 v14, 31, v3
	v_mov_b32_e32 v13, v3
	ds_load_b32 v3, v23 offset:8192
	v_add_co_u32 v2, s3, s0, v8
	s_delay_alu instid0(VALU_DEP_1)
	v_add_co_ci_u32_e64 v24, null, s1, 0, s3
	s_waitcnt lgkmcnt(3)
	v_ashrrev_i32_e32 v16, 31, v4
	v_mov_b32_e32 v15, v4
	v_ashrrev_i32_e32 v18, 31, v5
	v_mov_b32_e32 v17, v5
	s_waitcnt lgkmcnt(2)
	v_ashrrev_i32_e32 v5, 31, v6
	v_mov_b32_e32 v4, v6
	s_waitcnt lgkmcnt(1)
	v_mov_b32_e32 v6, v9
	v_ashrrev_i32_e32 v20, 31, v7
	v_mov_b32_e32 v19, v7
	v_ashrrev_i32_e32 v7, 31, v9
	v_add_co_u32 v9, vcc_lo, v2, 0x2000
	v_ashrrev_i32_e32 v22, 31, v10
	v_mov_b32_e32 v21, v10
	v_add_co_ci_u32_e32 v10, vcc_lo, 0, v24, vcc_lo
	global_store_b64 v8, v[13:14], s[0:1] offset:2048
	v_add_co_u32 v13, vcc_lo, 0x1000, v2
	global_store_b64 v[9:10], v[15:16], off offset:-4096
	v_add_co_ci_u32_e32 v14, vcc_lo, 0, v24, vcc_lo
	v_add_co_u32 v15, vcc_lo, 0x2000, v2
	v_add_co_ci_u32_e32 v16, vcc_lo, 0, v24, vcc_lo
	v_add_co_u32 v23, vcc_lo, 0x3000, v2
	v_add_co_ci_u32_e32 v24, vcc_lo, 0, v24, vcc_lo
	s_clause 0x5
	global_store_b64 v8, v[11:12], s[0:1]
	global_store_b64 v[9:10], v[4:5], off
	global_store_b64 v[13:14], v[17:18], off offset:2048
	global_store_b64 v[15:16], v[19:20], off offset:2048
	global_store_b64 v[23:24], v[6:7], off
	global_store_b64 v[23:24], v[21:22], off offset:2048
.LBB42_142:
	s_delay_alu instid0(VALU_DEP_1)
	s_and_saveexec_b32 s3, s2
	s_cbranch_execz .LBB42_144
; %bb.143:
	v_lshlrev_b64 v[0:1], 3, v[0:1]
	s_waitcnt lgkmcnt(0)
	v_ashrrev_i32_e32 v2, 31, v3
	s_delay_alu instid0(VALU_DEP_2) | instskip(NEXT) | instid1(VALU_DEP_3)
	v_add_co_u32 v0, vcc_lo, s0, v0
	v_add_co_ci_u32_e32 v4, vcc_lo, s1, v1, vcc_lo
	v_mov_b32_e32 v1, v3
	s_delay_alu instid0(VALU_DEP_3) | instskip(NEXT) | instid1(VALU_DEP_3)
	v_add_co_u32 v3, vcc_lo, 0x4000, v0
	v_add_co_ci_u32_e32 v4, vcc_lo, 0, v4, vcc_lo
	global_store_b64 v[3:4], v[1:2], off
	s_nop 0
	s_sendmsg sendmsg(MSG_DEALLOC_VGPRS)
	s_endpgm
.LBB42_144:
	s_nop 0
	s_sendmsg sendmsg(MSG_DEALLOC_VGPRS)
	s_endpgm
	.section	.rodata,"a",@progbits
	.p2align	6, 0x0
	.amdhsa_kernel _ZN7rocprim6detail25device_scan_by_key_kernelILNS0_25lookback_scan_determinismE0ELb0ENS0_26wrapped_scan_by_key_configINS_14default_configEiiEEPiN6hipcub22TransformInputIteratorIiNS7_6CastOpIiEES6_lEEPliNS7_8EqualityENS7_3SumENS0_19lookback_scan_stateINS_5tupleIJibEEELb0ELb1EEEiEEvT2_T3_T4_T5_T6_T7_T8_mmmPKNSG_IJT9_bEEE
		.amdhsa_group_segment_fixed_size 11264
		.amdhsa_private_segment_fixed_size 0
		.amdhsa_kernarg_size 80
		.amdhsa_user_sgpr_count 15
		.amdhsa_user_sgpr_dispatch_ptr 0
		.amdhsa_user_sgpr_queue_ptr 0
		.amdhsa_user_sgpr_kernarg_segment_ptr 1
		.amdhsa_user_sgpr_dispatch_id 0
		.amdhsa_user_sgpr_private_segment_size 0
		.amdhsa_wavefront_size32 1
		.amdhsa_uses_dynamic_stack 0
		.amdhsa_enable_private_segment 0
		.amdhsa_system_sgpr_workgroup_id_x 1
		.amdhsa_system_sgpr_workgroup_id_y 0
		.amdhsa_system_sgpr_workgroup_id_z 0
		.amdhsa_system_sgpr_workgroup_info 0
		.amdhsa_system_vgpr_workitem_id 0
		.amdhsa_next_free_vgpr 49
		.amdhsa_next_free_sgpr 40
		.amdhsa_reserve_vcc 1
		.amdhsa_float_round_mode_32 0
		.amdhsa_float_round_mode_16_64 0
		.amdhsa_float_denorm_mode_32 3
		.amdhsa_float_denorm_mode_16_64 3
		.amdhsa_dx10_clamp 1
		.amdhsa_ieee_mode 1
		.amdhsa_fp16_overflow 0
		.amdhsa_workgroup_processor_mode 1
		.amdhsa_memory_ordered 1
		.amdhsa_forward_progress 0
		.amdhsa_shared_vgpr_count 0
		.amdhsa_exception_fp_ieee_invalid_op 0
		.amdhsa_exception_fp_denorm_src 0
		.amdhsa_exception_fp_ieee_div_zero 0
		.amdhsa_exception_fp_ieee_overflow 0
		.amdhsa_exception_fp_ieee_underflow 0
		.amdhsa_exception_fp_ieee_inexact 0
		.amdhsa_exception_int_div_zero 0
	.end_amdhsa_kernel
	.section	.text._ZN7rocprim6detail25device_scan_by_key_kernelILNS0_25lookback_scan_determinismE0ELb0ENS0_26wrapped_scan_by_key_configINS_14default_configEiiEEPiN6hipcub22TransformInputIteratorIiNS7_6CastOpIiEES6_lEEPliNS7_8EqualityENS7_3SumENS0_19lookback_scan_stateINS_5tupleIJibEEELb0ELb1EEEiEEvT2_T3_T4_T5_T6_T7_T8_mmmPKNSG_IJT9_bEEE,"axG",@progbits,_ZN7rocprim6detail25device_scan_by_key_kernelILNS0_25lookback_scan_determinismE0ELb0ENS0_26wrapped_scan_by_key_configINS_14default_configEiiEEPiN6hipcub22TransformInputIteratorIiNS7_6CastOpIiEES6_lEEPliNS7_8EqualityENS7_3SumENS0_19lookback_scan_stateINS_5tupleIJibEEELb0ELb1EEEiEEvT2_T3_T4_T5_T6_T7_T8_mmmPKNSG_IJT9_bEEE,comdat
.Lfunc_end42:
	.size	_ZN7rocprim6detail25device_scan_by_key_kernelILNS0_25lookback_scan_determinismE0ELb0ENS0_26wrapped_scan_by_key_configINS_14default_configEiiEEPiN6hipcub22TransformInputIteratorIiNS7_6CastOpIiEES6_lEEPliNS7_8EqualityENS7_3SumENS0_19lookback_scan_stateINS_5tupleIJibEEELb0ELb1EEEiEEvT2_T3_T4_T5_T6_T7_T8_mmmPKNSG_IJT9_bEEE, .Lfunc_end42-_ZN7rocprim6detail25device_scan_by_key_kernelILNS0_25lookback_scan_determinismE0ELb0ENS0_26wrapped_scan_by_key_configINS_14default_configEiiEEPiN6hipcub22TransformInputIteratorIiNS7_6CastOpIiEES6_lEEPliNS7_8EqualityENS7_3SumENS0_19lookback_scan_stateINS_5tupleIJibEEELb0ELb1EEEiEEvT2_T3_T4_T5_T6_T7_T8_mmmPKNSG_IJT9_bEEE
                                        ; -- End function
	.section	.AMDGPU.csdata,"",@progbits
; Kernel info:
; codeLenInByte = 9920
; NumSgprs: 42
; NumVgprs: 49
; ScratchSize: 0
; MemoryBound: 0
; FloatMode: 240
; IeeeMode: 1
; LDSByteSize: 11264 bytes/workgroup (compile time only)
; SGPRBlocks: 5
; VGPRBlocks: 6
; NumSGPRsForWavesPerEU: 42
; NumVGPRsForWavesPerEU: 49
; Occupancy: 16
; WaveLimiterHint : 1
; COMPUTE_PGM_RSRC2:SCRATCH_EN: 0
; COMPUTE_PGM_RSRC2:USER_SGPR: 15
; COMPUTE_PGM_RSRC2:TRAP_HANDLER: 0
; COMPUTE_PGM_RSRC2:TGID_X_EN: 1
; COMPUTE_PGM_RSRC2:TGID_Y_EN: 0
; COMPUTE_PGM_RSRC2:TGID_Z_EN: 0
; COMPUTE_PGM_RSRC2:TIDIG_COMP_CNT: 0
	.section	.text._ZN7rocprim6detail31init_lookback_scan_state_kernelINS0_19lookback_scan_stateINS_5tupleIJ6__halfbEEELb1ELb1EEEEEvT_jjPNS7_10value_typeE,"axG",@progbits,_ZN7rocprim6detail31init_lookback_scan_state_kernelINS0_19lookback_scan_stateINS_5tupleIJ6__halfbEEELb1ELb1EEEEEvT_jjPNS7_10value_typeE,comdat
	.protected	_ZN7rocprim6detail31init_lookback_scan_state_kernelINS0_19lookback_scan_stateINS_5tupleIJ6__halfbEEELb1ELb1EEEEEvT_jjPNS7_10value_typeE ; -- Begin function _ZN7rocprim6detail31init_lookback_scan_state_kernelINS0_19lookback_scan_stateINS_5tupleIJ6__halfbEEELb1ELb1EEEEEvT_jjPNS7_10value_typeE
	.globl	_ZN7rocprim6detail31init_lookback_scan_state_kernelINS0_19lookback_scan_stateINS_5tupleIJ6__halfbEEELb1ELb1EEEEEvT_jjPNS7_10value_typeE
	.p2align	8
	.type	_ZN7rocprim6detail31init_lookback_scan_state_kernelINS0_19lookback_scan_stateINS_5tupleIJ6__halfbEEELb1ELb1EEEEEvT_jjPNS7_10value_typeE,@function
_ZN7rocprim6detail31init_lookback_scan_state_kernelINS0_19lookback_scan_stateINS_5tupleIJ6__halfbEEELb1ELb1EEEEEvT_jjPNS7_10value_typeE: ; @_ZN7rocprim6detail31init_lookback_scan_state_kernelINS0_19lookback_scan_stateINS_5tupleIJ6__halfbEEELb1ELb1EEEEEvT_jjPNS7_10value_typeE
; %bb.0:
	s_clause 0x2
	s_load_b32 s6, s[0:1], 0x24
	s_load_b64 s[4:5], s[0:1], 0x10
	s_load_b128 s[0:3], s[0:1], 0x0
	s_waitcnt lgkmcnt(0)
	s_and_b32 s6, s6, 0xffff
	s_cmp_eq_u64 s[4:5], 0
	v_mad_u64_u32 v[1:2], null, s15, s6, v[0:1]
	s_cbranch_scc1 .LBB43_9
; %bb.1:
	s_cmp_lt_u32 s3, s2
	s_mov_b32 s7, 0
	s_cselect_b32 s6, s3, 0
	s_mov_b32 s8, exec_lo
	s_delay_alu instid0(VALU_DEP_1)
	v_cmpx_eq_u32_e64 s6, v1
	s_cbranch_execz .LBB43_8
; %bb.2:
	s_add_i32 s6, s3, 32
	v_mov_b32_e32 v2, 0
	s_lshl_b64 s[6:7], s[6:7], 3
	s_delay_alu instid0(SALU_CYCLE_1) | instskip(SKIP_4) | instid1(VALU_DEP_1)
	s_add_u32 s6, s0, s6
	s_addc_u32 s7, s1, s7
	global_load_b64 v[4:5], v2, s[6:7] glc
	s_waitcnt vmcnt(0)
	v_and_b32_e32 v3, 0xff, v5
	v_cmp_ne_u64_e32 vcc_lo, 0, v[2:3]
	s_cbranch_vccnz .LBB43_7
; %bb.3:
	s_mov_b32 s3, 1
.LBB43_4:                               ; =>This Loop Header: Depth=1
                                        ;     Child Loop BB43_5 Depth 2
	s_delay_alu instid0(SALU_CYCLE_1)
	s_max_u32 s9, s3, 1
.LBB43_5:                               ;   Parent Loop BB43_4 Depth=1
                                        ; =>  This Inner Loop Header: Depth=2
	s_delay_alu instid0(SALU_CYCLE_1)
	s_add_i32 s9, s9, -1
	s_sleep 1
	s_cmp_eq_u32 s9, 0
	s_cbranch_scc0 .LBB43_5
; %bb.6:                                ;   in Loop: Header=BB43_4 Depth=1
	global_load_b64 v[4:5], v2, s[6:7] glc
	s_cmp_lt_u32 s3, 32
	s_cselect_b32 s9, -1, 0
	s_delay_alu instid0(SALU_CYCLE_1) | instskip(SKIP_3) | instid1(VALU_DEP_1)
	s_cmp_lg_u32 s9, 0
	s_addc_u32 s3, s3, 0
	s_waitcnt vmcnt(0)
	v_and_b32_e32 v3, 0xff, v5
	v_cmp_ne_u64_e32 vcc_lo, 0, v[2:3]
	s_cbranch_vccz .LBB43_4
.LBB43_7:
	v_mov_b32_e32 v0, 0
	s_clause 0x1
	global_store_b16 v0, v4, s[4:5]
	global_store_d16_hi_b8 v0, v4, s[4:5] offset:2
.LBB43_8:
	s_or_b32 exec_lo, exec_lo, s8
.LBB43_9:
	s_delay_alu instid0(VALU_DEP_1)
	v_cmp_gt_u32_e32 vcc_lo, s2, v1
	s_and_saveexec_b32 s2, vcc_lo
	s_cbranch_execz .LBB43_11
; %bb.10:
	v_dual_mov_b32 v3, 0 :: v_dual_add_nc_u32 v2, 32, v1
	s_delay_alu instid0(VALU_DEP_1) | instskip(SKIP_1) | instid1(VALU_DEP_2)
	v_lshlrev_b64 v[4:5], 3, v[2:3]
	v_mov_b32_e32 v2, v3
	v_add_co_u32 v4, vcc_lo, s0, v4
	s_delay_alu instid0(VALU_DEP_3)
	v_add_co_ci_u32_e32 v5, vcc_lo, s1, v5, vcc_lo
	global_store_b64 v[4:5], v[2:3], off
.LBB43_11:
	s_or_b32 exec_lo, exec_lo, s2
	s_delay_alu instid0(SALU_CYCLE_1)
	s_mov_b32 s2, exec_lo
	v_cmpx_gt_u32_e32 32, v1
	s_cbranch_execz .LBB43_13
; %bb.12:
	v_dual_mov_b32 v2, 0 :: v_dual_mov_b32 v3, 0xff
	s_delay_alu instid0(VALU_DEP_1) | instskip(NEXT) | instid1(VALU_DEP_1)
	v_lshlrev_b64 v[0:1], 3, v[1:2]
	v_add_co_u32 v0, vcc_lo, s0, v0
	s_delay_alu instid0(VALU_DEP_2)
	v_add_co_ci_u32_e32 v1, vcc_lo, s1, v1, vcc_lo
	global_store_b64 v[0:1], v[2:3], off
.LBB43_13:
	s_nop 0
	s_sendmsg sendmsg(MSG_DEALLOC_VGPRS)
	s_endpgm
	.section	.rodata,"a",@progbits
	.p2align	6, 0x0
	.amdhsa_kernel _ZN7rocprim6detail31init_lookback_scan_state_kernelINS0_19lookback_scan_stateINS_5tupleIJ6__halfbEEELb1ELb1EEEEEvT_jjPNS7_10value_typeE
		.amdhsa_group_segment_fixed_size 0
		.amdhsa_private_segment_fixed_size 0
		.amdhsa_kernarg_size 280
		.amdhsa_user_sgpr_count 15
		.amdhsa_user_sgpr_dispatch_ptr 0
		.amdhsa_user_sgpr_queue_ptr 0
		.amdhsa_user_sgpr_kernarg_segment_ptr 1
		.amdhsa_user_sgpr_dispatch_id 0
		.amdhsa_user_sgpr_private_segment_size 0
		.amdhsa_wavefront_size32 1
		.amdhsa_uses_dynamic_stack 0
		.amdhsa_enable_private_segment 0
		.amdhsa_system_sgpr_workgroup_id_x 1
		.amdhsa_system_sgpr_workgroup_id_y 0
		.amdhsa_system_sgpr_workgroup_id_z 0
		.amdhsa_system_sgpr_workgroup_info 0
		.amdhsa_system_vgpr_workitem_id 0
		.amdhsa_next_free_vgpr 6
		.amdhsa_next_free_sgpr 16
		.amdhsa_reserve_vcc 1
		.amdhsa_float_round_mode_32 0
		.amdhsa_float_round_mode_16_64 0
		.amdhsa_float_denorm_mode_32 3
		.amdhsa_float_denorm_mode_16_64 3
		.amdhsa_dx10_clamp 1
		.amdhsa_ieee_mode 1
		.amdhsa_fp16_overflow 0
		.amdhsa_workgroup_processor_mode 1
		.amdhsa_memory_ordered 1
		.amdhsa_forward_progress 0
		.amdhsa_shared_vgpr_count 0
		.amdhsa_exception_fp_ieee_invalid_op 0
		.amdhsa_exception_fp_denorm_src 0
		.amdhsa_exception_fp_ieee_div_zero 0
		.amdhsa_exception_fp_ieee_overflow 0
		.amdhsa_exception_fp_ieee_underflow 0
		.amdhsa_exception_fp_ieee_inexact 0
		.amdhsa_exception_int_div_zero 0
	.end_amdhsa_kernel
	.section	.text._ZN7rocprim6detail31init_lookback_scan_state_kernelINS0_19lookback_scan_stateINS_5tupleIJ6__halfbEEELb1ELb1EEEEEvT_jjPNS7_10value_typeE,"axG",@progbits,_ZN7rocprim6detail31init_lookback_scan_state_kernelINS0_19lookback_scan_stateINS_5tupleIJ6__halfbEEELb1ELb1EEEEEvT_jjPNS7_10value_typeE,comdat
.Lfunc_end43:
	.size	_ZN7rocprim6detail31init_lookback_scan_state_kernelINS0_19lookback_scan_stateINS_5tupleIJ6__halfbEEELb1ELb1EEEEEvT_jjPNS7_10value_typeE, .Lfunc_end43-_ZN7rocprim6detail31init_lookback_scan_state_kernelINS0_19lookback_scan_stateINS_5tupleIJ6__halfbEEELb1ELb1EEEEEvT_jjPNS7_10value_typeE
                                        ; -- End function
	.section	.AMDGPU.csdata,"",@progbits
; Kernel info:
; codeLenInByte = 392
; NumSgprs: 18
; NumVgprs: 6
; ScratchSize: 0
; MemoryBound: 0
; FloatMode: 240
; IeeeMode: 1
; LDSByteSize: 0 bytes/workgroup (compile time only)
; SGPRBlocks: 2
; VGPRBlocks: 0
; NumSGPRsForWavesPerEU: 18
; NumVGPRsForWavesPerEU: 6
; Occupancy: 16
; WaveLimiterHint : 0
; COMPUTE_PGM_RSRC2:SCRATCH_EN: 0
; COMPUTE_PGM_RSRC2:USER_SGPR: 15
; COMPUTE_PGM_RSRC2:TRAP_HANDLER: 0
; COMPUTE_PGM_RSRC2:TGID_X_EN: 1
; COMPUTE_PGM_RSRC2:TGID_Y_EN: 0
; COMPUTE_PGM_RSRC2:TGID_Z_EN: 0
; COMPUTE_PGM_RSRC2:TIDIG_COMP_CNT: 0
	.section	.text._ZN7rocprim6detail31init_lookback_scan_state_kernelINS0_19lookback_scan_stateINS_5tupleIJ6__halfbEEELb0ELb1EEEEEvT_jjPNS7_10value_typeE,"axG",@progbits,_ZN7rocprim6detail31init_lookback_scan_state_kernelINS0_19lookback_scan_stateINS_5tupleIJ6__halfbEEELb0ELb1EEEEEvT_jjPNS7_10value_typeE,comdat
	.protected	_ZN7rocprim6detail31init_lookback_scan_state_kernelINS0_19lookback_scan_stateINS_5tupleIJ6__halfbEEELb0ELb1EEEEEvT_jjPNS7_10value_typeE ; -- Begin function _ZN7rocprim6detail31init_lookback_scan_state_kernelINS0_19lookback_scan_stateINS_5tupleIJ6__halfbEEELb0ELb1EEEEEvT_jjPNS7_10value_typeE
	.globl	_ZN7rocprim6detail31init_lookback_scan_state_kernelINS0_19lookback_scan_stateINS_5tupleIJ6__halfbEEELb0ELb1EEEEEvT_jjPNS7_10value_typeE
	.p2align	8
	.type	_ZN7rocprim6detail31init_lookback_scan_state_kernelINS0_19lookback_scan_stateINS_5tupleIJ6__halfbEEELb0ELb1EEEEEvT_jjPNS7_10value_typeE,@function
_ZN7rocprim6detail31init_lookback_scan_state_kernelINS0_19lookback_scan_stateINS_5tupleIJ6__halfbEEELb0ELb1EEEEEvT_jjPNS7_10value_typeE: ; @_ZN7rocprim6detail31init_lookback_scan_state_kernelINS0_19lookback_scan_stateINS_5tupleIJ6__halfbEEELb0ELb1EEEEEvT_jjPNS7_10value_typeE
; %bb.0:
	s_clause 0x2
	s_load_b32 s6, s[0:1], 0x24
	s_load_b64 s[4:5], s[0:1], 0x10
	s_load_b128 s[0:3], s[0:1], 0x0
	s_waitcnt lgkmcnt(0)
	s_and_b32 s6, s6, 0xffff
	s_cmp_eq_u64 s[4:5], 0
	v_mad_u64_u32 v[1:2], null, s15, s6, v[0:1]
	s_cbranch_scc1 .LBB44_6
; %bb.1:
	s_cmp_lt_u32 s3, s2
	s_mov_b32 s7, 0
	s_cselect_b32 s6, s3, 0
	s_mov_b32 s8, exec_lo
	s_delay_alu instid0(VALU_DEP_1)
	v_cmpx_eq_u32_e64 s6, v1
	s_cbranch_execz .LBB44_5
; %bb.2:
	s_add_i32 s6, s3, 32
	v_mov_b32_e32 v4, 0
	s_lshl_b64 s[6:7], s[6:7], 3
	s_delay_alu instid0(SALU_CYCLE_1) | instskip(SKIP_4) | instid1(VALU_DEP_1)
	s_add_u32 s6, s0, s6
	s_addc_u32 s7, s1, s7
	global_load_b64 v[2:3], v4, s[6:7] glc
	s_waitcnt vmcnt(0)
	v_and_b32_e32 v5, 0xff, v3
	v_cmp_ne_u64_e32 vcc_lo, 0, v[4:5]
	s_cbranch_vccnz .LBB44_4
.LBB44_3:                               ; =>This Inner Loop Header: Depth=1
	global_load_b64 v[2:3], v4, s[6:7] glc
	s_waitcnt vmcnt(0)
	v_and_b32_e32 v5, 0xff, v3
	s_delay_alu instid0(VALU_DEP_1)
	v_cmp_eq_u64_e32 vcc_lo, 0, v[4:5]
	s_cbranch_vccnz .LBB44_3
.LBB44_4:
	v_mov_b32_e32 v0, 0
	s_clause 0x1
	global_store_b16 v0, v2, s[4:5]
	global_store_d16_hi_b8 v0, v2, s[4:5] offset:2
.LBB44_5:
	s_or_b32 exec_lo, exec_lo, s8
.LBB44_6:
	s_delay_alu instid0(VALU_DEP_1)
	v_cmp_gt_u32_e32 vcc_lo, s2, v1
	s_and_saveexec_b32 s2, vcc_lo
	s_cbranch_execz .LBB44_8
; %bb.7:
	v_dual_mov_b32 v3, 0 :: v_dual_add_nc_u32 v2, 32, v1
	s_delay_alu instid0(VALU_DEP_1) | instskip(SKIP_1) | instid1(VALU_DEP_2)
	v_lshlrev_b64 v[4:5], 3, v[2:3]
	v_mov_b32_e32 v2, v3
	v_add_co_u32 v4, vcc_lo, s0, v4
	s_delay_alu instid0(VALU_DEP_3)
	v_add_co_ci_u32_e32 v5, vcc_lo, s1, v5, vcc_lo
	global_store_b64 v[4:5], v[2:3], off
.LBB44_8:
	s_or_b32 exec_lo, exec_lo, s2
	s_delay_alu instid0(SALU_CYCLE_1)
	s_mov_b32 s2, exec_lo
	v_cmpx_gt_u32_e32 32, v1
	s_cbranch_execz .LBB44_10
; %bb.9:
	v_dual_mov_b32 v2, 0 :: v_dual_mov_b32 v3, 0xff
	s_delay_alu instid0(VALU_DEP_1) | instskip(NEXT) | instid1(VALU_DEP_1)
	v_lshlrev_b64 v[0:1], 3, v[1:2]
	v_add_co_u32 v0, vcc_lo, s0, v0
	s_delay_alu instid0(VALU_DEP_2)
	v_add_co_ci_u32_e32 v1, vcc_lo, s1, v1, vcc_lo
	global_store_b64 v[0:1], v[2:3], off
.LBB44_10:
	s_nop 0
	s_sendmsg sendmsg(MSG_DEALLOC_VGPRS)
	s_endpgm
	.section	.rodata,"a",@progbits
	.p2align	6, 0x0
	.amdhsa_kernel _ZN7rocprim6detail31init_lookback_scan_state_kernelINS0_19lookback_scan_stateINS_5tupleIJ6__halfbEEELb0ELb1EEEEEvT_jjPNS7_10value_typeE
		.amdhsa_group_segment_fixed_size 0
		.amdhsa_private_segment_fixed_size 0
		.amdhsa_kernarg_size 280
		.amdhsa_user_sgpr_count 15
		.amdhsa_user_sgpr_dispatch_ptr 0
		.amdhsa_user_sgpr_queue_ptr 0
		.amdhsa_user_sgpr_kernarg_segment_ptr 1
		.amdhsa_user_sgpr_dispatch_id 0
		.amdhsa_user_sgpr_private_segment_size 0
		.amdhsa_wavefront_size32 1
		.amdhsa_uses_dynamic_stack 0
		.amdhsa_enable_private_segment 0
		.amdhsa_system_sgpr_workgroup_id_x 1
		.amdhsa_system_sgpr_workgroup_id_y 0
		.amdhsa_system_sgpr_workgroup_id_z 0
		.amdhsa_system_sgpr_workgroup_info 0
		.amdhsa_system_vgpr_workitem_id 0
		.amdhsa_next_free_vgpr 6
		.amdhsa_next_free_sgpr 16
		.amdhsa_reserve_vcc 1
		.amdhsa_float_round_mode_32 0
		.amdhsa_float_round_mode_16_64 0
		.amdhsa_float_denorm_mode_32 3
		.amdhsa_float_denorm_mode_16_64 3
		.amdhsa_dx10_clamp 1
		.amdhsa_ieee_mode 1
		.amdhsa_fp16_overflow 0
		.amdhsa_workgroup_processor_mode 1
		.amdhsa_memory_ordered 1
		.amdhsa_forward_progress 0
		.amdhsa_shared_vgpr_count 0
		.amdhsa_exception_fp_ieee_invalid_op 0
		.amdhsa_exception_fp_denorm_src 0
		.amdhsa_exception_fp_ieee_div_zero 0
		.amdhsa_exception_fp_ieee_overflow 0
		.amdhsa_exception_fp_ieee_underflow 0
		.amdhsa_exception_fp_ieee_inexact 0
		.amdhsa_exception_int_div_zero 0
	.end_amdhsa_kernel
	.section	.text._ZN7rocprim6detail31init_lookback_scan_state_kernelINS0_19lookback_scan_stateINS_5tupleIJ6__halfbEEELb0ELb1EEEEEvT_jjPNS7_10value_typeE,"axG",@progbits,_ZN7rocprim6detail31init_lookback_scan_state_kernelINS0_19lookback_scan_stateINS_5tupleIJ6__halfbEEELb0ELb1EEEEEvT_jjPNS7_10value_typeE,comdat
.Lfunc_end44:
	.size	_ZN7rocprim6detail31init_lookback_scan_state_kernelINS0_19lookback_scan_stateINS_5tupleIJ6__halfbEEELb0ELb1EEEEEvT_jjPNS7_10value_typeE, .Lfunc_end44-_ZN7rocprim6detail31init_lookback_scan_state_kernelINS0_19lookback_scan_stateINS_5tupleIJ6__halfbEEELb0ELb1EEEEEvT_jjPNS7_10value_typeE
                                        ; -- End function
	.section	.AMDGPU.csdata,"",@progbits
; Kernel info:
; codeLenInByte = 344
; NumSgprs: 18
; NumVgprs: 6
; ScratchSize: 0
; MemoryBound: 0
; FloatMode: 240
; IeeeMode: 1
; LDSByteSize: 0 bytes/workgroup (compile time only)
; SGPRBlocks: 2
; VGPRBlocks: 0
; NumSGPRsForWavesPerEU: 18
; NumVGPRsForWavesPerEU: 6
; Occupancy: 16
; WaveLimiterHint : 0
; COMPUTE_PGM_RSRC2:SCRATCH_EN: 0
; COMPUTE_PGM_RSRC2:USER_SGPR: 15
; COMPUTE_PGM_RSRC2:TRAP_HANDLER: 0
; COMPUTE_PGM_RSRC2:TGID_X_EN: 1
; COMPUTE_PGM_RSRC2:TGID_Y_EN: 0
; COMPUTE_PGM_RSRC2:TGID_Z_EN: 0
; COMPUTE_PGM_RSRC2:TIDIG_COMP_CNT: 0
	.section	.text._ZN7rocprim6detail25device_scan_by_key_kernelILNS0_25lookback_scan_determinismE0ELb0ENS0_26wrapped_scan_by_key_configINS_14default_configEi6__halfEEPiN6hipcub22TransformInputIteratorIS5_NS8_6CastOpIS5_EEPS5_lEESC_S5_NS8_8EqualityENS8_3SumENS0_19lookback_scan_stateINS_5tupleIJS5_bEEELb1ELb1EEES5_EEvT2_T3_T4_T5_T6_T7_T8_mmmPKNSH_IJT9_bEEE,"axG",@progbits,_ZN7rocprim6detail25device_scan_by_key_kernelILNS0_25lookback_scan_determinismE0ELb0ENS0_26wrapped_scan_by_key_configINS_14default_configEi6__halfEEPiN6hipcub22TransformInputIteratorIS5_NS8_6CastOpIS5_EEPS5_lEESC_S5_NS8_8EqualityENS8_3SumENS0_19lookback_scan_stateINS_5tupleIJS5_bEEELb1ELb1EEES5_EEvT2_T3_T4_T5_T6_T7_T8_mmmPKNSH_IJT9_bEEE,comdat
	.protected	_ZN7rocprim6detail25device_scan_by_key_kernelILNS0_25lookback_scan_determinismE0ELb0ENS0_26wrapped_scan_by_key_configINS_14default_configEi6__halfEEPiN6hipcub22TransformInputIteratorIS5_NS8_6CastOpIS5_EEPS5_lEESC_S5_NS8_8EqualityENS8_3SumENS0_19lookback_scan_stateINS_5tupleIJS5_bEEELb1ELb1EEES5_EEvT2_T3_T4_T5_T6_T7_T8_mmmPKNSH_IJT9_bEEE ; -- Begin function _ZN7rocprim6detail25device_scan_by_key_kernelILNS0_25lookback_scan_determinismE0ELb0ENS0_26wrapped_scan_by_key_configINS_14default_configEi6__halfEEPiN6hipcub22TransformInputIteratorIS5_NS8_6CastOpIS5_EEPS5_lEESC_S5_NS8_8EqualityENS8_3SumENS0_19lookback_scan_stateINS_5tupleIJS5_bEEELb1ELb1EEES5_EEvT2_T3_T4_T5_T6_T7_T8_mmmPKNSH_IJT9_bEEE
	.globl	_ZN7rocprim6detail25device_scan_by_key_kernelILNS0_25lookback_scan_determinismE0ELb0ENS0_26wrapped_scan_by_key_configINS_14default_configEi6__halfEEPiN6hipcub22TransformInputIteratorIS5_NS8_6CastOpIS5_EEPS5_lEESC_S5_NS8_8EqualityENS8_3SumENS0_19lookback_scan_stateINS_5tupleIJS5_bEEELb1ELb1EEES5_EEvT2_T3_T4_T5_T6_T7_T8_mmmPKNSH_IJT9_bEEE
	.p2align	8
	.type	_ZN7rocprim6detail25device_scan_by_key_kernelILNS0_25lookback_scan_determinismE0ELb0ENS0_26wrapped_scan_by_key_configINS_14default_configEi6__halfEEPiN6hipcub22TransformInputIteratorIS5_NS8_6CastOpIS5_EEPS5_lEESC_S5_NS8_8EqualityENS8_3SumENS0_19lookback_scan_stateINS_5tupleIJS5_bEEELb1ELb1EEES5_EEvT2_T3_T4_T5_T6_T7_T8_mmmPKNSH_IJT9_bEEE,@function
_ZN7rocprim6detail25device_scan_by_key_kernelILNS0_25lookback_scan_determinismE0ELb0ENS0_26wrapped_scan_by_key_configINS_14default_configEi6__halfEEPiN6hipcub22TransformInputIteratorIS5_NS8_6CastOpIS5_EEPS5_lEESC_S5_NS8_8EqualityENS8_3SumENS0_19lookback_scan_stateINS_5tupleIJS5_bEEELb1ELb1EEES5_EEvT2_T3_T4_T5_T6_T7_T8_mmmPKNSH_IJT9_bEEE: ; @_ZN7rocprim6detail25device_scan_by_key_kernelILNS0_25lookback_scan_determinismE0ELb0ENS0_26wrapped_scan_by_key_configINS_14default_configEi6__halfEEPiN6hipcub22TransformInputIteratorIS5_NS8_6CastOpIS5_EEPS5_lEESC_S5_NS8_8EqualityENS8_3SumENS0_19lookback_scan_stateINS_5tupleIJS5_bEEELb1ELb1EEES5_EEvT2_T3_T4_T5_T6_T7_T8_mmmPKNSH_IJT9_bEEE
; %bb.0:
	s_endpgm
	.section	.rodata,"a",@progbits
	.p2align	6, 0x0
	.amdhsa_kernel _ZN7rocprim6detail25device_scan_by_key_kernelILNS0_25lookback_scan_determinismE0ELb0ENS0_26wrapped_scan_by_key_configINS_14default_configEi6__halfEEPiN6hipcub22TransformInputIteratorIS5_NS8_6CastOpIS5_EEPS5_lEESC_S5_NS8_8EqualityENS8_3SumENS0_19lookback_scan_stateINS_5tupleIJS5_bEEELb1ELb1EEES5_EEvT2_T3_T4_T5_T6_T7_T8_mmmPKNSH_IJT9_bEEE
		.amdhsa_group_segment_fixed_size 0
		.amdhsa_private_segment_fixed_size 0
		.amdhsa_kernarg_size 80
		.amdhsa_user_sgpr_count 15
		.amdhsa_user_sgpr_dispatch_ptr 0
		.amdhsa_user_sgpr_queue_ptr 0
		.amdhsa_user_sgpr_kernarg_segment_ptr 1
		.amdhsa_user_sgpr_dispatch_id 0
		.amdhsa_user_sgpr_private_segment_size 0
		.amdhsa_wavefront_size32 1
		.amdhsa_uses_dynamic_stack 0
		.amdhsa_enable_private_segment 0
		.amdhsa_system_sgpr_workgroup_id_x 1
		.amdhsa_system_sgpr_workgroup_id_y 0
		.amdhsa_system_sgpr_workgroup_id_z 0
		.amdhsa_system_sgpr_workgroup_info 0
		.amdhsa_system_vgpr_workitem_id 0
		.amdhsa_next_free_vgpr 1
		.amdhsa_next_free_sgpr 1
		.amdhsa_reserve_vcc 0
		.amdhsa_float_round_mode_32 0
		.amdhsa_float_round_mode_16_64 0
		.amdhsa_float_denorm_mode_32 3
		.amdhsa_float_denorm_mode_16_64 3
		.amdhsa_dx10_clamp 1
		.amdhsa_ieee_mode 1
		.amdhsa_fp16_overflow 0
		.amdhsa_workgroup_processor_mode 1
		.amdhsa_memory_ordered 1
		.amdhsa_forward_progress 0
		.amdhsa_shared_vgpr_count 0
		.amdhsa_exception_fp_ieee_invalid_op 0
		.amdhsa_exception_fp_denorm_src 0
		.amdhsa_exception_fp_ieee_div_zero 0
		.amdhsa_exception_fp_ieee_overflow 0
		.amdhsa_exception_fp_ieee_underflow 0
		.amdhsa_exception_fp_ieee_inexact 0
		.amdhsa_exception_int_div_zero 0
	.end_amdhsa_kernel
	.section	.text._ZN7rocprim6detail25device_scan_by_key_kernelILNS0_25lookback_scan_determinismE0ELb0ENS0_26wrapped_scan_by_key_configINS_14default_configEi6__halfEEPiN6hipcub22TransformInputIteratorIS5_NS8_6CastOpIS5_EEPS5_lEESC_S5_NS8_8EqualityENS8_3SumENS0_19lookback_scan_stateINS_5tupleIJS5_bEEELb1ELb1EEES5_EEvT2_T3_T4_T5_T6_T7_T8_mmmPKNSH_IJT9_bEEE,"axG",@progbits,_ZN7rocprim6detail25device_scan_by_key_kernelILNS0_25lookback_scan_determinismE0ELb0ENS0_26wrapped_scan_by_key_configINS_14default_configEi6__halfEEPiN6hipcub22TransformInputIteratorIS5_NS8_6CastOpIS5_EEPS5_lEESC_S5_NS8_8EqualityENS8_3SumENS0_19lookback_scan_stateINS_5tupleIJS5_bEEELb1ELb1EEES5_EEvT2_T3_T4_T5_T6_T7_T8_mmmPKNSH_IJT9_bEEE,comdat
.Lfunc_end45:
	.size	_ZN7rocprim6detail25device_scan_by_key_kernelILNS0_25lookback_scan_determinismE0ELb0ENS0_26wrapped_scan_by_key_configINS_14default_configEi6__halfEEPiN6hipcub22TransformInputIteratorIS5_NS8_6CastOpIS5_EEPS5_lEESC_S5_NS8_8EqualityENS8_3SumENS0_19lookback_scan_stateINS_5tupleIJS5_bEEELb1ELb1EEES5_EEvT2_T3_T4_T5_T6_T7_T8_mmmPKNSH_IJT9_bEEE, .Lfunc_end45-_ZN7rocprim6detail25device_scan_by_key_kernelILNS0_25lookback_scan_determinismE0ELb0ENS0_26wrapped_scan_by_key_configINS_14default_configEi6__halfEEPiN6hipcub22TransformInputIteratorIS5_NS8_6CastOpIS5_EEPS5_lEESC_S5_NS8_8EqualityENS8_3SumENS0_19lookback_scan_stateINS_5tupleIJS5_bEEELb1ELb1EEES5_EEvT2_T3_T4_T5_T6_T7_T8_mmmPKNSH_IJT9_bEEE
                                        ; -- End function
	.section	.AMDGPU.csdata,"",@progbits
; Kernel info:
; codeLenInByte = 4
; NumSgprs: 0
; NumVgprs: 0
; ScratchSize: 0
; MemoryBound: 0
; FloatMode: 240
; IeeeMode: 1
; LDSByteSize: 0 bytes/workgroup (compile time only)
; SGPRBlocks: 0
; VGPRBlocks: 0
; NumSGPRsForWavesPerEU: 1
; NumVGPRsForWavesPerEU: 1
; Occupancy: 16
; WaveLimiterHint : 0
; COMPUTE_PGM_RSRC2:SCRATCH_EN: 0
; COMPUTE_PGM_RSRC2:USER_SGPR: 15
; COMPUTE_PGM_RSRC2:TRAP_HANDLER: 0
; COMPUTE_PGM_RSRC2:TGID_X_EN: 1
; COMPUTE_PGM_RSRC2:TGID_Y_EN: 0
; COMPUTE_PGM_RSRC2:TGID_Z_EN: 0
; COMPUTE_PGM_RSRC2:TIDIG_COMP_CNT: 0
	.section	.text._ZN7rocprim6detail25device_scan_by_key_kernelILNS0_25lookback_scan_determinismE0ELb0ENS0_26wrapped_scan_by_key_configINS_14default_configEi6__halfEEPiN6hipcub22TransformInputIteratorIS5_NS8_6CastOpIS5_EEPS5_lEESC_S5_NS8_8EqualityENS8_3SumENS0_19lookback_scan_stateINS_5tupleIJS5_bEEELb0ELb1EEES5_EEvT2_T3_T4_T5_T6_T7_T8_mmmPKNSH_IJT9_bEEE,"axG",@progbits,_ZN7rocprim6detail25device_scan_by_key_kernelILNS0_25lookback_scan_determinismE0ELb0ENS0_26wrapped_scan_by_key_configINS_14default_configEi6__halfEEPiN6hipcub22TransformInputIteratorIS5_NS8_6CastOpIS5_EEPS5_lEESC_S5_NS8_8EqualityENS8_3SumENS0_19lookback_scan_stateINS_5tupleIJS5_bEEELb0ELb1EEES5_EEvT2_T3_T4_T5_T6_T7_T8_mmmPKNSH_IJT9_bEEE,comdat
	.protected	_ZN7rocprim6detail25device_scan_by_key_kernelILNS0_25lookback_scan_determinismE0ELb0ENS0_26wrapped_scan_by_key_configINS_14default_configEi6__halfEEPiN6hipcub22TransformInputIteratorIS5_NS8_6CastOpIS5_EEPS5_lEESC_S5_NS8_8EqualityENS8_3SumENS0_19lookback_scan_stateINS_5tupleIJS5_bEEELb0ELb1EEES5_EEvT2_T3_T4_T5_T6_T7_T8_mmmPKNSH_IJT9_bEEE ; -- Begin function _ZN7rocprim6detail25device_scan_by_key_kernelILNS0_25lookback_scan_determinismE0ELb0ENS0_26wrapped_scan_by_key_configINS_14default_configEi6__halfEEPiN6hipcub22TransformInputIteratorIS5_NS8_6CastOpIS5_EEPS5_lEESC_S5_NS8_8EqualityENS8_3SumENS0_19lookback_scan_stateINS_5tupleIJS5_bEEELb0ELb1EEES5_EEvT2_T3_T4_T5_T6_T7_T8_mmmPKNSH_IJT9_bEEE
	.globl	_ZN7rocprim6detail25device_scan_by_key_kernelILNS0_25lookback_scan_determinismE0ELb0ENS0_26wrapped_scan_by_key_configINS_14default_configEi6__halfEEPiN6hipcub22TransformInputIteratorIS5_NS8_6CastOpIS5_EEPS5_lEESC_S5_NS8_8EqualityENS8_3SumENS0_19lookback_scan_stateINS_5tupleIJS5_bEEELb0ELb1EEES5_EEvT2_T3_T4_T5_T6_T7_T8_mmmPKNSH_IJT9_bEEE
	.p2align	8
	.type	_ZN7rocprim6detail25device_scan_by_key_kernelILNS0_25lookback_scan_determinismE0ELb0ENS0_26wrapped_scan_by_key_configINS_14default_configEi6__halfEEPiN6hipcub22TransformInputIteratorIS5_NS8_6CastOpIS5_EEPS5_lEESC_S5_NS8_8EqualityENS8_3SumENS0_19lookback_scan_stateINS_5tupleIJS5_bEEELb0ELb1EEES5_EEvT2_T3_T4_T5_T6_T7_T8_mmmPKNSH_IJT9_bEEE,@function
_ZN7rocprim6detail25device_scan_by_key_kernelILNS0_25lookback_scan_determinismE0ELb0ENS0_26wrapped_scan_by_key_configINS_14default_configEi6__halfEEPiN6hipcub22TransformInputIteratorIS5_NS8_6CastOpIS5_EEPS5_lEESC_S5_NS8_8EqualityENS8_3SumENS0_19lookback_scan_stateINS_5tupleIJS5_bEEELb0ELb1EEES5_EEvT2_T3_T4_T5_T6_T7_T8_mmmPKNSH_IJT9_bEEE: ; @_ZN7rocprim6detail25device_scan_by_key_kernelILNS0_25lookback_scan_determinismE0ELb0ENS0_26wrapped_scan_by_key_configINS_14default_configEi6__halfEEPiN6hipcub22TransformInputIteratorIS5_NS8_6CastOpIS5_EEPS5_lEESC_S5_NS8_8EqualityENS8_3SumENS0_19lookback_scan_stateINS_5tupleIJS5_bEEELb0ELb1EEES5_EEvT2_T3_T4_T5_T6_T7_T8_mmmPKNSH_IJT9_bEEE
; %bb.0:
	s_clause 0x1
	s_load_b128 s[4:7], s[0:1], 0x0
	s_load_b256 s[44:51], s[0:1], 0x28
	s_mov_b32 s3, 0
	s_mul_i32 s2, s15, 0x580
	s_load_b64 s[52:53], s[0:1], 0x48
	s_lshl_b64 s[8:9], s[2:3], 2
	v_lshlrev_b32_e32 v47, 2, v0
	s_waitcnt lgkmcnt(0)
	s_add_u32 s28, s4, s8
	s_addc_u32 s29, s5, s9
	s_lshl_b64 s[42:43], s[2:3], 1
	s_delay_alu instid0(SALU_CYCLE_1)
	s_add_u32 s26, s6, s42
	s_addc_u32 s27, s7, s43
	s_add_u32 s4, s15, s48
	s_addc_u32 s5, 0, s49
	s_add_u32 s6, s50, -1
	s_addc_u32 s7, s51, -1
	s_mul_i32 s47, s6, 0xfffffa80
	v_cmp_ge_u64_e64 s50, s[4:5], s[6:7]
	s_delay_alu instid0(VALU_DEP_1)
	s_and_b32 vcc_lo, exec_lo, s50
	s_cbranch_vccz .LBB46_114
; %bb.1:
	s_load_b32 s24, s[28:29], 0x0
	s_add_i32 s25, s47, s46
	v_add_co_u32 v1, s2, s28, v47
	s_delay_alu instid0(VALU_DEP_1)
	v_add_co_ci_u32_e64 v2, null, s29, 0, s2
	v_cmp_gt_u32_e32 vcc_lo, s25, v0
	s_waitcnt lgkmcnt(0)
	v_mov_b32_e32 v3, s24
	s_and_saveexec_b32 s2, vcc_lo
	s_cbranch_execz .LBB46_3
; %bb.2:
	global_load_b32 v3, v[1:2], off
.LBB46_3:
	s_or_b32 exec_lo, exec_lo, s2
	v_or_b32_e32 v4, 64, v0
	s_delay_alu instid0(VALU_DEP_1) | instskip(SKIP_1) | instid1(VALU_DEP_2)
	v_cmp_gt_u32_e64 s2, s25, v4
	v_mov_b32_e32 v4, s24
	s_and_saveexec_b32 s3, s2
	s_cbranch_execz .LBB46_5
; %bb.4:
	global_load_b32 v4, v[1:2], off offset:256
.LBB46_5:
	s_or_b32 exec_lo, exec_lo, s3
	v_or_b32_e32 v5, 0x80, v0
	s_delay_alu instid0(VALU_DEP_1) | instskip(SKIP_1) | instid1(VALU_DEP_2)
	v_cmp_gt_u32_e64 s3, s25, v5
	v_mov_b32_e32 v5, s24
	s_and_saveexec_b32 s4, s3
	s_cbranch_execz .LBB46_7
; %bb.6:
	global_load_b32 v5, v[1:2], off offset:512
.LBB46_7:
	s_or_b32 exec_lo, exec_lo, s4
	v_or_b32_e32 v6, 0xc0, v0
	s_delay_alu instid0(VALU_DEP_1) | instskip(SKIP_1) | instid1(VALU_DEP_2)
	v_cmp_gt_u32_e64 s4, s25, v6
	v_mov_b32_e32 v6, s24
	s_and_saveexec_b32 s5, s4
	s_cbranch_execz .LBB46_9
; %bb.8:
	global_load_b32 v6, v[1:2], off offset:768
.LBB46_9:
	s_or_b32 exec_lo, exec_lo, s5
	v_or_b32_e32 v7, 0x100, v0
	s_delay_alu instid0(VALU_DEP_1) | instskip(SKIP_1) | instid1(VALU_DEP_2)
	v_cmp_gt_u32_e64 s5, s25, v7
	v_mov_b32_e32 v7, s24
	s_and_saveexec_b32 s6, s5
	s_cbranch_execz .LBB46_11
; %bb.10:
	global_load_b32 v7, v[1:2], off offset:1024
.LBB46_11:
	s_or_b32 exec_lo, exec_lo, s6
	v_or_b32_e32 v8, 0x140, v0
	s_delay_alu instid0(VALU_DEP_1) | instskip(SKIP_1) | instid1(VALU_DEP_2)
	v_cmp_gt_u32_e64 s6, s25, v8
	v_mov_b32_e32 v8, s24
	s_and_saveexec_b32 s7, s6
	s_cbranch_execz .LBB46_13
; %bb.12:
	global_load_b32 v8, v[1:2], off offset:1280
.LBB46_13:
	s_or_b32 exec_lo, exec_lo, s7
	v_or_b32_e32 v9, 0x180, v0
	s_delay_alu instid0(VALU_DEP_1) | instskip(SKIP_1) | instid1(VALU_DEP_2)
	v_cmp_gt_u32_e64 s7, s25, v9
	v_mov_b32_e32 v9, s24
	s_and_saveexec_b32 s8, s7
	s_cbranch_execz .LBB46_15
; %bb.14:
	global_load_b32 v9, v[1:2], off offset:1536
.LBB46_15:
	s_or_b32 exec_lo, exec_lo, s8
	v_or_b32_e32 v10, 0x1c0, v0
	s_delay_alu instid0(VALU_DEP_1) | instskip(SKIP_1) | instid1(VALU_DEP_2)
	v_cmp_gt_u32_e64 s8, s25, v10
	v_mov_b32_e32 v10, s24
	s_and_saveexec_b32 s9, s8
	s_cbranch_execz .LBB46_17
; %bb.16:
	global_load_b32 v10, v[1:2], off offset:1792
.LBB46_17:
	s_or_b32 exec_lo, exec_lo, s9
	v_or_b32_e32 v11, 0x200, v0
	s_delay_alu instid0(VALU_DEP_1) | instskip(SKIP_1) | instid1(VALU_DEP_2)
	v_cmp_gt_u32_e64 s9, s25, v11
	v_mov_b32_e32 v11, s24
	s_and_saveexec_b32 s10, s9
	s_cbranch_execz .LBB46_19
; %bb.18:
	global_load_b32 v11, v[1:2], off offset:2048
.LBB46_19:
	s_or_b32 exec_lo, exec_lo, s10
	v_or_b32_e32 v12, 0x240, v0
	s_delay_alu instid0(VALU_DEP_1) | instskip(SKIP_1) | instid1(VALU_DEP_2)
	v_cmp_gt_u32_e64 s10, s25, v12
	v_mov_b32_e32 v12, s24
	s_and_saveexec_b32 s11, s10
	s_cbranch_execz .LBB46_21
; %bb.20:
	global_load_b32 v12, v[1:2], off offset:2304
.LBB46_21:
	s_or_b32 exec_lo, exec_lo, s11
	v_or_b32_e32 v13, 0x280, v0
	s_delay_alu instid0(VALU_DEP_1) | instskip(SKIP_1) | instid1(VALU_DEP_2)
	v_cmp_gt_u32_e64 s11, s25, v13
	v_mov_b32_e32 v13, s24
	s_and_saveexec_b32 s12, s11
	s_cbranch_execz .LBB46_23
; %bb.22:
	global_load_b32 v13, v[1:2], off offset:2560
.LBB46_23:
	s_or_b32 exec_lo, exec_lo, s12
	v_or_b32_e32 v14, 0x2c0, v0
	s_delay_alu instid0(VALU_DEP_1) | instskip(SKIP_1) | instid1(VALU_DEP_2)
	v_cmp_gt_u32_e64 s12, s25, v14
	v_mov_b32_e32 v14, s24
	s_and_saveexec_b32 s13, s12
	s_cbranch_execz .LBB46_25
; %bb.24:
	global_load_b32 v14, v[1:2], off offset:2816
.LBB46_25:
	s_or_b32 exec_lo, exec_lo, s13
	v_or_b32_e32 v15, 0x300, v0
	s_delay_alu instid0(VALU_DEP_1) | instskip(SKIP_1) | instid1(VALU_DEP_2)
	v_cmp_gt_u32_e64 s13, s25, v15
	v_mov_b32_e32 v15, s24
	s_and_saveexec_b32 s14, s13
	s_cbranch_execz .LBB46_27
; %bb.26:
	global_load_b32 v15, v[1:2], off offset:3072
.LBB46_27:
	s_or_b32 exec_lo, exec_lo, s14
	v_or_b32_e32 v16, 0x340, v0
	s_delay_alu instid0(VALU_DEP_1) | instskip(SKIP_1) | instid1(VALU_DEP_2)
	v_cmp_gt_u32_e64 s14, s25, v16
	v_mov_b32_e32 v16, s24
	s_and_saveexec_b32 s16, s14
	s_cbranch_execz .LBB46_29
; %bb.28:
	global_load_b32 v16, v[1:2], off offset:3328
.LBB46_29:
	s_or_b32 exec_lo, exec_lo, s16
	v_or_b32_e32 v17, 0x380, v0
	s_delay_alu instid0(VALU_DEP_1) | instskip(SKIP_1) | instid1(VALU_DEP_2)
	v_cmp_gt_u32_e64 s16, s25, v17
	v_mov_b32_e32 v17, s24
	s_and_saveexec_b32 s17, s16
	s_cbranch_execz .LBB46_31
; %bb.30:
	global_load_b32 v17, v[1:2], off offset:3584
.LBB46_31:
	s_or_b32 exec_lo, exec_lo, s17
	v_or_b32_e32 v18, 0x3c0, v0
	s_delay_alu instid0(VALU_DEP_1) | instskip(SKIP_1) | instid1(VALU_DEP_2)
	v_cmp_gt_u32_e64 s17, s25, v18
	v_mov_b32_e32 v18, s24
	s_and_saveexec_b32 s18, s17
	s_cbranch_execz .LBB46_33
; %bb.32:
	global_load_b32 v18, v[1:2], off offset:3840
.LBB46_33:
	s_or_b32 exec_lo, exec_lo, s18
	v_or_b32_e32 v19, 0x400, v0
	s_delay_alu instid0(VALU_DEP_1) | instskip(SKIP_1) | instid1(VALU_DEP_2)
	v_cmp_gt_u32_e64 s18, s25, v19
	v_mov_b32_e32 v19, s24
	s_and_saveexec_b32 s20, s18
	s_cbranch_execz .LBB46_35
; %bb.34:
	v_add_co_u32 v19, s19, 0x1000, v1
	s_delay_alu instid0(VALU_DEP_1)
	v_add_co_ci_u32_e64 v20, s19, 0, v2, s19
	global_load_b32 v19, v[19:20], off
.LBB46_35:
	s_or_b32 exec_lo, exec_lo, s20
	v_or_b32_e32 v20, 0x440, v0
	s_delay_alu instid0(VALU_DEP_1) | instskip(SKIP_1) | instid1(VALU_DEP_2)
	v_cmp_gt_u32_e64 s19, s25, v20
	v_mov_b32_e32 v20, s24
	s_and_saveexec_b32 s21, s19
	s_cbranch_execz .LBB46_37
; %bb.36:
	v_add_co_u32 v20, s20, 0x1000, v1
	s_delay_alu instid0(VALU_DEP_1)
	v_add_co_ci_u32_e64 v21, s20, 0, v2, s20
	global_load_b32 v20, v[20:21], off offset:256
.LBB46_37:
	s_or_b32 exec_lo, exec_lo, s21
	v_or_b32_e32 v21, 0x480, v0
	s_delay_alu instid0(VALU_DEP_1) | instskip(SKIP_1) | instid1(VALU_DEP_2)
	v_cmp_gt_u32_e64 s20, s25, v21
	v_mov_b32_e32 v21, s24
	s_and_saveexec_b32 s22, s20
	s_cbranch_execz .LBB46_39
; %bb.38:
	v_add_co_u32 v21, s21, 0x1000, v1
	s_delay_alu instid0(VALU_DEP_1)
	v_add_co_ci_u32_e64 v22, s21, 0, v2, s21
	global_load_b32 v21, v[21:22], off offset:512
.LBB46_39:
	;; [unrolled: 13-line block ×5, first 2 shown]
	s_or_b32 exec_lo, exec_lo, s30
	s_sub_u32 s30, 0, s15
	s_subb_u32 s31, 0, 0
	s_waitcnt vmcnt(0)
	ds_store_2addr_stride64_b32 v47, v3, v4 offset1:1
	ds_store_2addr_stride64_b32 v47, v5, v6 offset0:2 offset1:3
	ds_store_2addr_stride64_b32 v47, v7, v8 offset0:4 offset1:5
	;; [unrolled: 1-line block ×10, first 2 shown]
	s_cmp_eq_u64 s[30:31], s[48:49]
	s_waitcnt lgkmcnt(0)
	s_cselect_b32 s24, 0, -4
	s_cselect_b32 s31, 0, -1
	s_add_u32 s30, s28, s24
	s_addc_u32 s31, s29, s31
	s_barrier
	buffer_gl0_inv
	s_load_b32 s30, s[30:31], 0x0
	v_mad_u32_u24 v1, 0x54, v0, v47
	ds_load_2addr_b64 v[9:12], v1 offset0:8 offset1:9
	ds_load_b64 v[35:36], v1 offset:80
	ds_load_2addr_b64 v[25:28], v1 offset1:1
	ds_load_2addr_b64 v[21:24], v1 offset0:2 offset1:3
	ds_load_2addr_b64 v[17:20], v1 offset0:4 offset1:5
	;; [unrolled: 1-line block ×3, first 2 shown]
	v_mad_i32_i24 v4, 0xffffffac, v0, v1
	s_waitcnt lgkmcnt(0)
	v_mov_b32_e32 v3, s30
	s_mov_b32 s30, exec_lo
	ds_store_b32 v4, v36 offset:5632
	s_waitcnt lgkmcnt(0)
	s_barrier
	buffer_gl0_inv
	v_cmpx_ne_u32_e32 0, v0
	s_cbranch_execz .LBB46_47
; %bb.46:
	ds_load_b32 v3, v4 offset:5628
.LBB46_47:
	s_or_b32 exec_lo, exec_lo, s30
	v_lshlrev_b32_e32 v5, 1, v0
	s_waitcnt lgkmcnt(0)
	s_barrier
	buffer_gl0_inv
                                        ; implicit-def: $vgpr6
	v_add_co_u32 v1, s24, s26, v5
	s_delay_alu instid0(VALU_DEP_1)
	v_add_co_ci_u32_e64 v2, null, s27, 0, s24
	s_and_saveexec_b32 s24, vcc_lo
	s_cbranch_execz .LBB46_181
; %bb.48:
	global_load_u16 v6, v[1:2], off
	s_or_b32 exec_lo, exec_lo, s24
                                        ; implicit-def: $vgpr7
	s_and_saveexec_b32 s24, s2
	s_cbranch_execnz .LBB46_182
.LBB46_49:
	s_or_b32 exec_lo, exec_lo, s24
                                        ; implicit-def: $vgpr8
	s_and_saveexec_b32 s2, s3
	s_cbranch_execz .LBB46_183
.LBB46_50:
	global_load_u16 v8, v[1:2], off offset:256
	s_or_b32 exec_lo, exec_lo, s2
                                        ; implicit-def: $vgpr29
	s_and_saveexec_b32 s2, s4
	s_cbranch_execnz .LBB46_184
.LBB46_51:
	s_or_b32 exec_lo, exec_lo, s2
                                        ; implicit-def: $vgpr30
	s_and_saveexec_b32 s2, s5
	s_cbranch_execz .LBB46_185
.LBB46_52:
	global_load_u16 v30, v[1:2], off offset:512
	s_or_b32 exec_lo, exec_lo, s2
                                        ; implicit-def: $vgpr31
	s_and_saveexec_b32 s2, s6
	s_cbranch_execnz .LBB46_186
.LBB46_53:
	s_or_b32 exec_lo, exec_lo, s2
                                        ; implicit-def: $vgpr32
	s_and_saveexec_b32 s2, s7
	s_cbranch_execz .LBB46_187
.LBB46_54:
	global_load_u16 v32, v[1:2], off offset:768
	s_or_b32 exec_lo, exec_lo, s2
                                        ; implicit-def: $vgpr33
	s_and_saveexec_b32 s2, s8
	s_cbranch_execnz .LBB46_188
.LBB46_55:
	s_or_b32 exec_lo, exec_lo, s2
                                        ; implicit-def: $vgpr34
	s_and_saveexec_b32 s2, s9
	s_cbranch_execz .LBB46_189
.LBB46_56:
	global_load_u16 v34, v[1:2], off offset:1024
	s_or_b32 exec_lo, exec_lo, s2
                                        ; implicit-def: $vgpr37
	s_and_saveexec_b32 s2, s10
	s_cbranch_execnz .LBB46_190
.LBB46_57:
	s_or_b32 exec_lo, exec_lo, s2
                                        ; implicit-def: $vgpr38
	s_and_saveexec_b32 s2, s11
	s_cbranch_execz .LBB46_191
.LBB46_58:
	global_load_u16 v38, v[1:2], off offset:1280
	s_or_b32 exec_lo, exec_lo, s2
                                        ; implicit-def: $vgpr39
	s_and_saveexec_b32 s2, s12
	s_cbranch_execnz .LBB46_192
.LBB46_59:
	s_or_b32 exec_lo, exec_lo, s2
                                        ; implicit-def: $vgpr40
	s_and_saveexec_b32 s2, s13
	s_cbranch_execz .LBB46_193
.LBB46_60:
	global_load_u16 v40, v[1:2], off offset:1536
	s_or_b32 exec_lo, exec_lo, s2
                                        ; implicit-def: $vgpr41
	s_and_saveexec_b32 s2, s14
	s_cbranch_execnz .LBB46_194
.LBB46_61:
	s_or_b32 exec_lo, exec_lo, s2
                                        ; implicit-def: $vgpr42
	s_and_saveexec_b32 s2, s16
	s_cbranch_execz .LBB46_195
.LBB46_62:
	global_load_u16 v42, v[1:2], off offset:1792
	s_or_b32 exec_lo, exec_lo, s2
                                        ; implicit-def: $vgpr43
	s_and_saveexec_b32 s2, s17
	s_cbranch_execnz .LBB46_196
.LBB46_63:
	s_or_b32 exec_lo, exec_lo, s2
                                        ; implicit-def: $vgpr44
	s_and_saveexec_b32 s2, s18
	s_cbranch_execz .LBB46_197
.LBB46_64:
	global_load_u16 v44, v[1:2], off offset:2048
	s_or_b32 exec_lo, exec_lo, s2
                                        ; implicit-def: $vgpr45
	s_and_saveexec_b32 s2, s19
	s_cbranch_execnz .LBB46_198
.LBB46_65:
	s_or_b32 exec_lo, exec_lo, s2
                                        ; implicit-def: $vgpr46
	s_and_saveexec_b32 s2, s20
	s_cbranch_execz .LBB46_199
.LBB46_66:
	global_load_u16 v46, v[1:2], off offset:2304
	s_or_b32 exec_lo, exec_lo, s2
                                        ; implicit-def: $vgpr48
	s_and_saveexec_b32 s2, s21
	s_cbranch_execnz .LBB46_200
.LBB46_67:
	s_or_b32 exec_lo, exec_lo, s2
                                        ; implicit-def: $vgpr49
	s_and_saveexec_b32 s2, s22
	s_cbranch_execz .LBB46_69
.LBB46_68:
	global_load_u16 v49, v[1:2], off offset:2560
.LBB46_69:
	s_or_b32 exec_lo, exec_lo, s2
	v_mul_u32_u24_e32 v74, 22, v0
                                        ; implicit-def: $vgpr50
	s_and_saveexec_b32 s2, s23
	s_cbranch_execz .LBB46_71
; %bb.70:
	global_load_u16 v50, v[1:2], off offset:2688
.LBB46_71:
	s_or_b32 exec_lo, exec_lo, s2
	v_sub_nc_u32_e32 v2, v4, v5
	v_cmp_gt_u32_e32 vcc_lo, s25, v74
	v_dual_mov_b32 v70, 0 :: v_dual_mov_b32 v69, 0
	v_mov_b32_e32 v1, 0
	s_waitcnt vmcnt(0)
	ds_store_b16 v2, v6
	ds_store_b16 v2, v7 offset:128
	ds_store_b16 v2, v8 offset:256
	;; [unrolled: 1-line block ×21, first 2 shown]
	v_mov_b32_e32 v50, 0
	v_dual_mov_b32 v38, 0 :: v_dual_mov_b32 v29, 0
	v_dual_mov_b32 v48, 0 :: v_dual_mov_b32 v37, 0
	;; [unrolled: 1-line block ×18, first 2 shown]
	v_mov_b32_e32 v39, 0
	v_mov_b32_e32 v57, 0
	s_mov_b32 s3, 0
	s_mov_b32 s4, 0
	s_waitcnt lgkmcnt(0)
	s_barrier
	buffer_gl0_inv
                                        ; implicit-def: $sgpr6
                                        ; implicit-def: $vgpr71
	s_and_saveexec_b32 s5, vcc_lo
	s_cbranch_execz .LBB46_113
; %bb.72:
	v_mad_u32_u24 v1, v0, 42, v2
	v_or_b32_e32 v4, 1, v74
	v_cmp_ne_u32_e32 vcc_lo, v3, v25
	v_dual_mov_b32 v38, 0 :: v_dual_mov_b32 v45, 0
	ds_load_u16 v29, v1
	v_dual_mov_b32 v48, 0 :: v_dual_mov_b32 v69, 0
	v_cndmask_b32_e64 v37, 0, 1, vcc_lo
	v_cmp_gt_u32_e32 vcc_lo, s25, v4
	v_dual_mov_b32 v46, 0 :: v_dual_mov_b32 v49, 0
	v_dual_mov_b32 v70, 0 :: v_dual_mov_b32 v33, 0
	;; [unrolled: 1-line block ×18, first 2 shown]
	s_mov_b32 s2, 0
                                        ; implicit-def: $sgpr7
                                        ; implicit-def: $vgpr71
	s_and_saveexec_b32 s6, vcc_lo
	s_cbranch_execz .LBB46_112
; %bb.73:
	v_mul_u32_u24_e32 v1, 42, v0
	v_dual_mov_b32 v38, 0 :: v_dual_add_nc_u32 v3, 2, v74
	v_cmp_ne_u32_e32 vcc_lo, v25, v26
	v_dual_mov_b32 v46, 0 :: v_dual_mov_b32 v45, 0
	s_delay_alu instid0(VALU_DEP_4)
	v_dual_mov_b32 v48, 0 :: v_dual_add_nc_u32 v25, v2, v1
	v_cndmask_b32_e64 v49, 0, 1, vcc_lo
	v_cmp_gt_u32_e32 vcc_lo, s25, v3
	v_dual_mov_b32 v70, 0 :: v_dual_mov_b32 v69, 0
	ds_load_b128 v[1:4], v25 offset:2
	v_dual_mov_b32 v33, 0 :: v_dual_mov_b32 v68, 0
	v_dual_mov_b32 v44, 0 :: v_dual_mov_b32 v67, 0
	;; [unrolled: 1-line block ×16, first 2 shown]
                                        ; implicit-def: $sgpr8
                                        ; implicit-def: $vgpr71
	s_and_saveexec_b32 s7, vcc_lo
	s_cbranch_execz .LBB46_111
; %bb.74:
	v_dual_mov_b32 v38, 0 :: v_dual_add_nc_u32 v5, 3, v74
	v_cmp_ne_u32_e32 vcc_lo, v26, v27
	s_waitcnt lgkmcnt(0)
	v_lshrrev_b32_e32 v30, 16, v1
	v_dual_mov_b32 v48, 0 :: v_dual_mov_b32 v45, 0
	v_dual_mov_b32 v46, 0 :: v_dual_mov_b32 v69, 0
	v_cndmask_b32_e64 v51, 0, 1, vcc_lo
	v_cmp_gt_u32_e32 vcc_lo, s25, v5
	v_dual_mov_b32 v70, 0 :: v_dual_mov_b32 v33, 0
	v_dual_mov_b32 v68, 0 :: v_dual_mov_b32 v67, 0
	;; [unrolled: 1-line block ×15, first 2 shown]
	v_mov_b32_e32 v32, 0
                                        ; implicit-def: $sgpr9
                                        ; implicit-def: $vgpr71
	s_and_saveexec_b32 s8, vcc_lo
	s_cbranch_execz .LBB46_110
; %bb.75:
	v_dual_mov_b32 v38, 0 :: v_dual_add_nc_u32 v5, 4, v74
	v_cmp_ne_u32_e32 vcc_lo, v27, v28
	v_dual_mov_b32 v48, 0 :: v_dual_mov_b32 v45, 0
	v_dual_mov_b32 v46, 0 :: v_dual_mov_b32 v69, 0
	v_cndmask_b32_e64 v52, 0, 1, vcc_lo
	v_cmp_gt_u32_e32 vcc_lo, s25, v5
	v_dual_mov_b32 v70, 0 :: v_dual_mov_b32 v33, 0
	v_dual_mov_b32 v68, 0 :: v_dual_mov_b32 v67, 0
	;; [unrolled: 1-line block ×14, first 2 shown]
	v_mov_b32_e32 v32, 0
	s_mov_b32 s11, 0
                                        ; implicit-def: $sgpr3
                                        ; implicit-def: $vgpr71
	s_and_saveexec_b32 s9, vcc_lo
	s_cbranch_execz .LBB46_109
; %bb.76:
	v_dual_mov_b32 v38, 0 :: v_dual_add_nc_u32 v5, 5, v74
	v_cmp_ne_u32_e32 vcc_lo, v28, v21
	v_lshrrev_b32_e32 v31, 16, v2
	v_dual_mov_b32 v48, 0 :: v_dual_mov_b32 v45, 0
	v_dual_mov_b32 v46, 0 :: v_dual_mov_b32 v69, 0
	v_cndmask_b32_e64 v53, 0, 1, vcc_lo
	v_cmp_gt_u32_e32 vcc_lo, s25, v5
	v_dual_mov_b32 v70, 0 :: v_dual_mov_b32 v33, 0
	v_dual_mov_b32 v68, 0 :: v_dual_mov_b32 v67, 0
	;; [unrolled: 1-line block ×12, first 2 shown]
	v_mov_b32_e32 v58, 0
	v_mov_b32_e32 v56, 0
	v_mov_b32_e32 v32, 0
                                        ; implicit-def: $sgpr3
                                        ; implicit-def: $vgpr71
	s_and_saveexec_b32 s10, vcc_lo
	s_cbranch_execz .LBB46_108
; %bb.77:
	v_dual_mov_b32 v38, 0 :: v_dual_add_nc_u32 v5, 6, v74
	v_cmp_ne_u32_e32 vcc_lo, v21, v22
	v_dual_mov_b32 v48, 0 :: v_dual_mov_b32 v45, 0
	v_dual_mov_b32 v46, 0 :: v_dual_mov_b32 v69, 0
	v_cndmask_b32_e64 v54, 0, 1, vcc_lo
	v_cmp_gt_u32_e32 vcc_lo, s25, v5
	v_dual_mov_b32 v70, 0 :: v_dual_mov_b32 v33, 0
	v_dual_mov_b32 v68, 0 :: v_dual_mov_b32 v67, 0
	;; [unrolled: 1-line block ×12, first 2 shown]
	v_mov_b32_e32 v32, 0
	s_mov_b32 s3, 0
                                        ; implicit-def: $sgpr12
                                        ; implicit-def: $vgpr71
	s_and_saveexec_b32 s11, vcc_lo
	s_cbranch_execz .LBB46_107
; %bb.78:
	v_dual_mov_b32 v38, 0 :: v_dual_add_nc_u32 v5, 7, v74
	v_cmp_ne_u32_e32 vcc_lo, v22, v23
	v_lshrrev_b32_e32 v32, 16, v3
	v_dual_mov_b32 v48, 0 :: v_dual_mov_b32 v45, 0
	v_dual_mov_b32 v46, 0 :: v_dual_mov_b32 v69, 0
	v_cndmask_b32_e64 v56, 0, 1, vcc_lo
	v_cmp_gt_u32_e32 vcc_lo, s25, v5
	v_dual_mov_b32 v70, 0 :: v_dual_mov_b32 v33, 0
	v_dual_mov_b32 v68, 0 :: v_dual_mov_b32 v67, 0
	;; [unrolled: 1-line block ×11, first 2 shown]
	v_mov_b32_e32 v57, 0
                                        ; implicit-def: $sgpr13
                                        ; implicit-def: $vgpr71
	s_and_saveexec_b32 s12, vcc_lo
	s_cbranch_execz .LBB46_106
; %bb.79:
	v_dual_mov_b32 v38, 0 :: v_dual_add_nc_u32 v5, 8, v74
	v_alignbit_b32 v6, v4, v3, 16
	v_cmp_ne_u32_e32 vcc_lo, v23, v24
	v_dual_mov_b32 v48, 0 :: v_dual_mov_b32 v45, 0
	v_dual_mov_b32 v46, 0 :: v_dual_mov_b32 v69, 0
	v_cndmask_b32_e64 v57, 0, 1, vcc_lo
	v_cmp_gt_u32_e32 vcc_lo, s25, v5
	v_lshrrev_b32_e32 v39, 16, v6
	v_dual_mov_b32 v70, 0 :: v_dual_mov_b32 v33, 0
	v_dual_mov_b32 v68, 0 :: v_dual_mov_b32 v67, 0
	;; [unrolled: 1-line block ×10, first 2 shown]
	v_mov_b32_e32 v58, 0
                                        ; implicit-def: $sgpr14
                                        ; implicit-def: $vgpr71
	s_and_saveexec_b32 s13, vcc_lo
	s_cbranch_execz .LBB46_105
; %bb.80:
	v_dual_mov_b32 v38, 0 :: v_dual_add_nc_u32 v5, 9, v74
	v_cmp_ne_u32_e32 vcc_lo, v24, v17
	v_lshrrev_b32_e32 v40, 16, v4
	v_dual_mov_b32 v48, 0 :: v_dual_mov_b32 v45, 0
	v_dual_mov_b32 v46, 0 :: v_dual_mov_b32 v69, 0
	v_cndmask_b32_e64 v58, 0, 1, vcc_lo
	v_cmp_gt_u32_e32 vcc_lo, s25, v5
	v_dual_mov_b32 v70, 0 :: v_dual_mov_b32 v33, 0
	v_dual_mov_b32 v68, 0 :: v_dual_mov_b32 v67, 0
	;; [unrolled: 1-line block ×9, first 2 shown]
	v_mov_b32_e32 v59, 0
                                        ; implicit-def: $sgpr16
                                        ; implicit-def: $vgpr71
	s_and_saveexec_b32 s14, vcc_lo
	s_cbranch_execz .LBB46_104
; %bb.81:
	ds_load_b128 v[5:8], v25 offset:18
	v_dual_mov_b32 v45, 0 :: v_dual_add_nc_u32 v4, 10, v74
	v_cmp_ne_u32_e32 vcc_lo, v17, v18
	v_dual_mov_b32 v38, 0 :: v_dual_mov_b32 v69, 0
	v_dual_mov_b32 v48, 0 :: v_dual_mov_b32 v33, 0
	v_cndmask_b32_e64 v59, 0, 1, vcc_lo
	v_cmp_gt_u32_e32 vcc_lo, s25, v4
	v_dual_mov_b32 v46, 0 :: v_dual_mov_b32 v67, 0
	v_dual_mov_b32 v70, 0 :: v_dual_mov_b32 v43, 0
	;; [unrolled: 1-line block ×7, first 2 shown]
	v_mov_b32_e32 v42, 0
	v_mov_b32_e32 v62, 0
	;; [unrolled: 1-line block ×3, first 2 shown]
                                        ; implicit-def: $sgpr17
                                        ; implicit-def: $vgpr71
	s_and_saveexec_b32 s16, vcc_lo
	s_cbranch_execz .LBB46_103
; %bb.82:
	v_dual_mov_b32 v45, 0 :: v_dual_add_nc_u32 v4, 11, v74
	v_cmp_ne_u32_e32 vcc_lo, v18, v19
	s_waitcnt lgkmcnt(0)
	v_lshrrev_b32_e32 v41, 16, v5
	v_dual_mov_b32 v38, 0 :: v_dual_mov_b32 v69, 0
	v_dual_mov_b32 v48, 0 :: v_dual_mov_b32 v33, 0
	v_cndmask_b32_e64 v60, 0, 1, vcc_lo
	v_cmp_gt_u32_e32 vcc_lo, s25, v4
	v_dual_mov_b32 v46, 0 :: v_dual_mov_b32 v67, 0
	v_dual_mov_b32 v70, 0 :: v_dual_mov_b32 v43, 0
	;; [unrolled: 1-line block ×6, first 2 shown]
	v_mov_b32_e32 v64, 0
	v_mov_b32_e32 v42, 0
	;; [unrolled: 1-line block ×3, first 2 shown]
                                        ; implicit-def: $sgpr18
                                        ; implicit-def: $vgpr71
	s_and_saveexec_b32 s17, vcc_lo
	s_cbranch_execz .LBB46_102
; %bb.83:
	v_cmp_ne_u32_e32 vcc_lo, v19, v20
	v_dual_mov_b32 v45, 0 :: v_dual_add_nc_u32 v4, 12, v74
	v_dual_mov_b32 v38, 0 :: v_dual_mov_b32 v69, 0
	v_cndmask_b32_e64 v61, 0, 1, vcc_lo
	v_dual_mov_b32 v48, 0 :: v_dual_mov_b32 v33, 0
	v_dual_mov_b32 v46, 0 :: v_dual_mov_b32 v67, 0
	;; [unrolled: 1-line block ×5, first 2 shown]
	v_mov_b32_e32 v50, 0
	v_mov_b32_e32 v66, 0
	;; [unrolled: 1-line block ×5, first 2 shown]
	s_mov_b32 s20, 0
	s_mov_b32 s18, exec_lo
                                        ; implicit-def: $sgpr3
                                        ; implicit-def: $vgpr71
	v_cmpx_gt_u32_e64 s25, v4
	s_cbranch_execz .LBB46_101
; %bb.84:
	v_cmp_ne_u32_e32 vcc_lo, v20, v13
	v_dual_mov_b32 v45, 0 :: v_dual_add_nc_u32 v4, 13, v74
	v_lshrrev_b32_e32 v42, 16, v6
	v_dual_mov_b32 v38, 0 :: v_dual_mov_b32 v69, 0
	v_cndmask_b32_e64 v62, 0, 1, vcc_lo
	v_dual_mov_b32 v48, 0 :: v_dual_mov_b32 v33, 0
	v_dual_mov_b32 v46, 0 :: v_dual_mov_b32 v67, 0
	;; [unrolled: 1-line block ×5, first 2 shown]
	v_mov_b32_e32 v50, 0
	v_mov_b32_e32 v66, 0
	;; [unrolled: 1-line block ×3, first 2 shown]
	s_mov_b32 s19, exec_lo
                                        ; implicit-def: $sgpr3
                                        ; implicit-def: $vgpr71
	v_cmpx_gt_u32_e64 s25, v4
	s_cbranch_execz .LBB46_100
; %bb.85:
	v_cmp_ne_u32_e32 vcc_lo, v13, v14
	v_dual_mov_b32 v45, 0 :: v_dual_add_nc_u32 v4, 14, v74
	v_dual_mov_b32 v38, 0 :: v_dual_mov_b32 v69, 0
	v_cndmask_b32_e64 v64, 0, 1, vcc_lo
	v_dual_mov_b32 v48, 0 :: v_dual_mov_b32 v33, 0
	v_dual_mov_b32 v46, 0 :: v_dual_mov_b32 v67, 0
	;; [unrolled: 1-line block ×4, first 2 shown]
	v_mov_b32_e32 v44, 0
	v_mov_b32_e32 v50, 0
	;; [unrolled: 1-line block ×3, first 2 shown]
	s_mov_b32 s22, 0
	s_mov_b32 s20, exec_lo
                                        ; implicit-def: $sgpr3
                                        ; implicit-def: $vgpr71
	v_cmpx_gt_u32_e64 s25, v4
	s_cbranch_execz .LBB46_99
; %bb.86:
	v_cmp_ne_u32_e32 vcc_lo, v14, v15
	v_dual_mov_b32 v45, 0 :: v_dual_add_nc_u32 v4, 15, v74
	v_lshrrev_b32_e32 v43, 16, v7
	v_dual_mov_b32 v38, 0 :: v_dual_mov_b32 v69, 0
	v_cndmask_b32_e64 v65, 0, 1, vcc_lo
	v_dual_mov_b32 v48, 0 :: v_dual_mov_b32 v33, 0
	v_dual_mov_b32 v46, 0 :: v_dual_mov_b32 v67, 0
	v_mov_b32_e32 v70, 0
	v_mov_b32_e32 v68, 0
	;; [unrolled: 1-line block ×5, first 2 shown]
	s_mov_b32 s21, exec_lo
                                        ; implicit-def: $sgpr3
                                        ; implicit-def: $vgpr71
	v_cmpx_gt_u32_e64 s25, v4
	s_cbranch_execz .LBB46_98
; %bb.87:
	v_cmp_ne_u32_e32 vcc_lo, v15, v16
	v_dual_mov_b32 v45, 0 :: v_dual_add_nc_u32 v4, 16, v74
	v_dual_mov_b32 v38, 0 :: v_dual_mov_b32 v69, 0
	v_cndmask_b32_e64 v66, 0, 1, vcc_lo
	v_dual_mov_b32 v48, 0 :: v_dual_mov_b32 v33, 0
	v_dual_mov_b32 v46, 0 :: v_dual_mov_b32 v67, 0
	v_mov_b32_e32 v70, 0
	v_mov_b32_e32 v68, 0
	;; [unrolled: 1-line block ×3, first 2 shown]
	s_mov_b32 s3, 0
	s_mov_b32 s22, exec_lo
                                        ; implicit-def: $sgpr23
                                        ; implicit-def: $vgpr71
	v_cmpx_gt_u32_e64 s25, v4
	s_cbranch_execz .LBB46_97
; %bb.88:
	v_cmp_ne_u32_e32 vcc_lo, v16, v9
	v_dual_mov_b32 v45, 0 :: v_dual_add_nc_u32 v4, 17, v74
	v_lshrrev_b32_e32 v44, 16, v8
	v_dual_mov_b32 v38, 0 :: v_dual_mov_b32 v69, 0
	v_cndmask_b32_e64 v67, 0, 1, vcc_lo
	v_dual_mov_b32 v48, 0 :: v_dual_mov_b32 v33, 0
	v_mov_b32_e32 v46, 0
	v_mov_b32_e32 v70, 0
	;; [unrolled: 1-line block ×3, first 2 shown]
	s_mov_b32 s30, 0
	s_mov_b32 s23, exec_lo
                                        ; implicit-def: $sgpr2
                                        ; implicit-def: $vgpr71
	v_cmpx_gt_u32_e64 s25, v4
	s_cbranch_execz .LBB46_96
; %bb.89:
	ds_load_b64 v[33:34], v25 offset:34
	v_cmp_ne_u32_e32 vcc_lo, v9, v10
	v_dual_mov_b32 v45, 0 :: v_dual_add_nc_u32 v4, 18, v74
	v_dual_mov_b32 v38, 0 :: v_dual_mov_b32 v69, 0
	v_cndmask_b32_e64 v68, 0, 1, vcc_lo
	v_mov_b32_e32 v48, 0
	v_mov_b32_e32 v46, 0
	;; [unrolled: 1-line block ×3, first 2 shown]
	s_mov_b32 s2, 0
	s_mov_b32 s24, exec_lo
                                        ; implicit-def: $sgpr3
                                        ; implicit-def: $vgpr71
	v_cmpx_gt_u32_e64 s25, v4
	s_cbranch_execz .LBB46_95
; %bb.90:
	v_cmp_ne_u32_e32 vcc_lo, v10, v11
	v_add_nc_u32_e32 v4, 19, v74
	s_waitcnt lgkmcnt(0)
	v_lshrrev_b32_e32 v45, 16, v33
	v_mov_b32_e32 v38, 0
	v_mov_b32_e32 v48, 0
	v_cndmask_b32_e64 v69, 0, 1, vcc_lo
	v_mov_b32_e32 v46, 0
	v_mov_b32_e32 v70, 0
	s_mov_b32 s3, 0
	s_mov_b32 s30, exec_lo
                                        ; implicit-def: $sgpr31
                                        ; implicit-def: $vgpr71
	v_cmpx_gt_u32_e64 s25, v4
	s_cbranch_execz .LBB46_94
; %bb.91:
	v_cmp_ne_u32_e32 vcc_lo, v11, v12
	v_add_nc_u32_e32 v4, 20, v74
	v_mov_b32_e32 v46, v34
	v_mov_b32_e32 v38, 0
	;; [unrolled: 1-line block ×3, first 2 shown]
	v_cndmask_b32_e64 v70, 0, 1, vcc_lo
                                        ; implicit-def: $sgpr31
                                        ; implicit-def: $vgpr71
	s_mov_b32 s2, exec_lo
	v_cmpx_gt_u32_e64 s25, v4
	s_xor_b32 s33, exec_lo, s2
	s_cbranch_execz .LBB46_93
; %bb.92:
	ds_load_u16 v71, v25 offset:42
	v_add_nc_u32_e32 v4, 21, v74
	v_cmp_ne_u32_e64 s3, v12, v35
	v_cmp_ne_u32_e32 vcc_lo, v35, v36
	v_lshrrev_b32_e32 v38, 16, v34
	s_delay_alu instid0(VALU_DEP_4) | instskip(NEXT) | instid1(VALU_DEP_4)
	v_cmp_gt_u32_e64 s2, s25, v4
	v_cndmask_b32_e64 v48, 0, 1, s3
	s_and_b32 s31, vcc_lo, exec_lo
	s_delay_alu instid0(VALU_DEP_2)
	s_and_b32 s3, s2, exec_lo
.LBB46_93:
	s_or_b32 exec_lo, exec_lo, s33
	s_delay_alu instid0(SALU_CYCLE_1)
	s_and_b32 s31, s31, exec_lo
	s_and_b32 s2, s3, exec_lo
.LBB46_94:
	s_or_b32 exec_lo, exec_lo, s30
	v_mov_b32_e32 v34, v46
	s_and_b32 s3, s31, exec_lo
	s_and_b32 s30, s2, exec_lo
.LBB46_95:
	s_or_b32 exec_lo, exec_lo, s24
	s_delay_alu instid0(SALU_CYCLE_1)
	s_and_b32 s2, s3, exec_lo
	s_and_b32 s3, s30, exec_lo
.LBB46_96:
	s_or_b32 exec_lo, exec_lo, s23
	s_delay_alu instid0(SALU_CYCLE_1)
	s_and_b32 s23, s2, exec_lo
	s_and_b32 s2, s3, exec_lo
.LBB46_97:
	s_or_b32 exec_lo, exec_lo, s22
	v_mov_b32_e32 v50, v8
	s_and_b32 s3, s23, exec_lo
	s_and_b32 s22, s2, exec_lo
.LBB46_98:
	s_or_b32 exec_lo, exec_lo, s21
	s_delay_alu instid0(SALU_CYCLE_1)
	s_and_b32 s3, s3, exec_lo
	s_and_b32 s2, s22, exec_lo
.LBB46_99:
	s_or_b32 exec_lo, exec_lo, s20
	v_mov_b32_e32 v55, v7
	s_and_b32 s3, s3, exec_lo
	s_and_b32 s20, s2, exec_lo
.LBB46_100:
	s_or_b32 exec_lo, exec_lo, s19
	s_delay_alu instid0(SALU_CYCLE_1)
	s_and_b32 s3, s3, exec_lo
	s_and_b32 s2, s20, exec_lo
.LBB46_101:
	s_or_b32 exec_lo, exec_lo, s18
	v_mov_b32_e32 v63, v6
	s_and_b32 s18, s3, exec_lo
	s_and_b32 s3, s2, exec_lo
.LBB46_102:
	s_or_b32 exec_lo, exec_lo, s17
	s_delay_alu instid0(SALU_CYCLE_1)
	s_and_b32 s17, s18, exec_lo
	s_and_b32 s2, s3, exec_lo
.LBB46_103:
	s_or_b32 exec_lo, exec_lo, s16
	s_delay_alu instid0(SALU_CYCLE_1)
	s_and_b32 s16, s17, exec_lo
	s_and_b32 s3, s2, exec_lo
.LBB46_104:
	s_or_b32 exec_lo, exec_lo, s14
	s_delay_alu instid0(SALU_CYCLE_1)
	s_and_b32 s14, s16, exec_lo
	s_and_b32 s2, s3, exec_lo
.LBB46_105:
	s_or_b32 exec_lo, exec_lo, s13
	s_delay_alu instid0(SALU_CYCLE_1)
	s_and_b32 s13, s14, exec_lo
	s_and_b32 s3, s2, exec_lo
.LBB46_106:
	s_or_b32 exec_lo, exec_lo, s12
	s_delay_alu instid0(SALU_CYCLE_1)
	s_and_b32 s12, s13, exec_lo
	s_and_b32 s2, s3, exec_lo
.LBB46_107:
	s_or_b32 exec_lo, exec_lo, s11
	v_mov_b32_e32 v72, v3
	s_and_b32 s3, s12, exec_lo
	s_and_b32 s11, s2, exec_lo
.LBB46_108:
	s_or_b32 exec_lo, exec_lo, s10
	s_delay_alu instid0(SALU_CYCLE_1)
	s_and_b32 s3, s3, exec_lo
	s_and_b32 s2, s11, exec_lo
.LBB46_109:
	s_or_b32 exec_lo, exec_lo, s9
	v_mov_b32_e32 v73, v2
	s_and_b32 s9, s3, exec_lo
	s_and_b32 s3, s2, exec_lo
.LBB46_110:
	s_or_b32 exec_lo, exec_lo, s8
	s_delay_alu instid0(SALU_CYCLE_1)
	s_and_b32 s8, s9, exec_lo
	s_and_b32 s2, s3, exec_lo
.LBB46_111:
	s_or_b32 exec_lo, exec_lo, s7
	s_delay_alu instid0(SALU_CYCLE_1)
	s_and_b32 s7, s8, exec_lo
	s_and_b32 s3, s2, exec_lo
.LBB46_112:
	s_or_b32 exec_lo, exec_lo, s6
	s_delay_alu instid0(SALU_CYCLE_1)
	s_and_b32 s6, s7, exec_lo
	s_and_b32 s3, s3, exec_lo
.LBB46_113:
	s_or_b32 exec_lo, exec_lo, s5
	s_mov_b32 s5, 0
	v_cmp_ne_u32_e64 s2, 0, v0
	s_and_b32 vcc_lo, exec_lo, s4
	s_cbranch_vccnz .LBB46_115
	s_branch .LBB46_118
.LBB46_114:
                                        ; implicit-def: $sgpr6
                                        ; implicit-def: $vgpr71
                                        ; implicit-def: $vgpr48
                                        ; implicit-def: $vgpr37
                                        ; implicit-def: $vgpr70
                                        ; implicit-def: $vgpr29
                                        ; implicit-def: $vgpr69
                                        ; implicit-def: $vgpr49
                                        ; implicit-def: $vgpr68
                                        ; implicit-def: $vgpr1
                                        ; implicit-def: $vgpr67
                                        ; implicit-def: $vgpr51
                                        ; implicit-def: $vgpr66
                                        ; implicit-def: $vgpr65
                                        ; implicit-def: $vgpr52
                                        ; implicit-def: $vgpr64
                                        ; implicit-def: $vgpr62
                                        ; implicit-def: $vgpr53
                                        ; implicit-def: $vgpr61
                                        ; implicit-def: $vgpr31
                                        ; implicit-def: $vgpr60
                                        ; implicit-def: $vgpr54
                                        ; implicit-def: $vgpr59
                                        ; implicit-def: $vgpr40
                                        ; implicit-def: $vgpr58
                                        ; implicit-def: $vgpr56
                                        ; implicit-def: $vgpr57
                                        ; implicit-def: $vgpr39
                                        ; implicit-def: $vgpr5
                                        ; implicit-def: $vgpr41
                                        ; implicit-def: $vgpr42
                                        ; implicit-def: $vgpr43
                                        ; implicit-def: $vgpr44
                                        ; implicit-def: $vgpr33
                                        ; implicit-def: $vgpr45
                                        ; implicit-def: $vgpr38
                                        ; implicit-def: $sgpr5
                                        ; implicit-def: $vgpr46
                                        ; implicit-def: $vgpr50
                                        ; implicit-def: $vgpr55
                                        ; implicit-def: $vgpr73
                                        ; implicit-def: $vgpr63
                                        ; implicit-def: $vgpr72
	v_cmp_ne_u32_e64 s2, 0, v0
	s_cbranch_execz .LBB46_118
.LBB46_115:
	s_waitcnt lgkmcnt(0)
	v_add_co_u32 v1, s3, s28, v47
	s_delay_alu instid0(VALU_DEP_1)
	v_add_co_ci_u32_e64 v2, null, s29, 0, s3
	s_clause 0x9
	global_load_b32 v3, v47, s[28:29]
	global_load_b32 v4, v47, s[28:29] offset:256
	global_load_b32 v5, v47, s[28:29] offset:512
	;; [unrolled: 1-line block ×9, first 2 shown]
	v_add_co_u32 v1, vcc_lo, 0x1000, v1
	v_add_co_ci_u32_e32 v2, vcc_lo, 0, v2, vcc_lo
	s_clause 0xb
	global_load_b32 v13, v47, s[28:29] offset:2560
	global_load_b32 v14, v47, s[28:29] offset:2816
	;; [unrolled: 1-line block ×6, first 2 shown]
	global_load_b32 v19, v[1:2], off
	global_load_b32 v20, v[1:2], off offset:256
	global_load_b32 v21, v[1:2], off offset:512
	;; [unrolled: 1-line block ×5, first 2 shown]
	s_sub_u32 s4, 0, s15
	s_subb_u32 s5, 0, 0
	v_mad_u32_u24 v24, 0x54, v0, v47
	s_cmp_eq_u64 s[4:5], s[48:49]
	s_waitcnt vmcnt(20)
	ds_store_2addr_stride64_b32 v47, v3, v4 offset1:1
	s_waitcnt vmcnt(18)
	ds_store_2addr_stride64_b32 v47, v5, v6 offset0:2 offset1:3
	s_waitcnt vmcnt(16)
	ds_store_2addr_stride64_b32 v47, v7, v8 offset0:4 offset1:5
	;; [unrolled: 2-line block ×10, first 2 shown]
	s_cselect_b32 s3, 0, -4
	s_cselect_b32 s5, 0, -1
	s_add_u32 s4, s28, s3
	s_addc_u32 s5, s29, s5
	s_waitcnt lgkmcnt(0)
	s_barrier
	buffer_gl0_inv
	s_load_b32 s4, s[4:5], 0x0
	ds_load_2addr_b64 v[17:20], v24 offset0:8 offset1:9
	ds_load_b64 v[21:22], v24 offset:80
	ds_load_2addr_b64 v[1:4], v24 offset1:1
	ds_load_2addr_b64 v[9:12], v24 offset0:2 offset1:3
	ds_load_2addr_b64 v[5:8], v24 offset0:4 offset1:5
	;; [unrolled: 1-line block ×3, first 2 shown]
	v_mad_i32_i24 v24, 0xffffffac, v0, v24
	s_mov_b32 s3, -1
	s_waitcnt lgkmcnt(0)
	ds_store_b32 v24, v22 offset:5632
	s_waitcnt lgkmcnt(0)
	s_barrier
	v_mov_b32_e32 v23, s4
	buffer_gl0_inv
	s_and_saveexec_b32 s4, s2
	s_cbranch_execz .LBB46_117
; %bb.116:
	ds_load_b32 v23, v24 offset:5628
.LBB46_117:
	s_or_b32 exec_lo, exec_lo, s4
	v_lshlrev_b32_e32 v25, 1, v0
	s_waitcnt lgkmcnt(0)
	s_barrier
	buffer_gl0_inv
	v_cmp_ne_u32_e32 vcc_lo, v20, v21
	s_clause 0x15
	global_load_u16 v26, v25, s[26:27]
	global_load_u16 v27, v25, s[26:27] offset:128
	global_load_u16 v28, v25, s[26:27] offset:256
	;; [unrolled: 1-line block ×21, first 2 shown]
	v_cmp_ne_u32_e64 s6, v21, v22
                                        ; implicit-def: $sgpr5
                                        ; implicit-def: $vgpr50
                                        ; implicit-def: $vgpr55
                                        ; implicit-def: $vgpr73
                                        ; implicit-def: $vgpr63
                                        ; implicit-def: $vgpr72
	v_cndmask_b32_e64 v48, 0, 1, vcc_lo
	v_cmp_ne_u32_e32 vcc_lo, v19, v20
	v_cndmask_b32_e64 v70, 0, 1, vcc_lo
	v_cmp_ne_u32_e32 vcc_lo, v18, v19
	;; [unrolled: 2-line block ×11, first 2 shown]
	v_sub_nc_u32_e32 v6, v24, v25
	s_waitcnt vmcnt(21)
	ds_store_b16 v6, v26
	s_waitcnt vmcnt(20)
	ds_store_b16 v6, v27 offset:128
	s_waitcnt vmcnt(19)
	ds_store_b16 v6, v28 offset:256
	s_waitcnt vmcnt(18)
	ds_store_b16 v6, v29 offset:384
	s_waitcnt vmcnt(17)
	ds_store_b16 v6, v30 offset:512
	s_waitcnt vmcnt(16)
	ds_store_b16 v6, v31 offset:640
	s_waitcnt vmcnt(15)
	ds_store_b16 v6, v32 offset:768
	s_waitcnt vmcnt(14)
	ds_store_b16 v6, v33 offset:896
	s_waitcnt vmcnt(13)
	ds_store_b16 v6, v34 offset:1024
	s_waitcnt vmcnt(12)
	ds_store_b16 v6, v35 offset:1152
	s_waitcnt vmcnt(11)
	ds_store_b16 v6, v36 offset:1280
	s_waitcnt vmcnt(10)
	ds_store_b16 v6, v37 offset:1408
	s_waitcnt vmcnt(9)
	ds_store_b16 v6, v38 offset:1536
	s_waitcnt vmcnt(8)
	ds_store_b16 v6, v39 offset:1664
	s_waitcnt vmcnt(7)
	ds_store_b16 v6, v40 offset:1792
	s_waitcnt vmcnt(6)
	ds_store_b16 v6, v41 offset:1920
	s_waitcnt vmcnt(5)
	ds_store_b16 v6, v42 offset:2048
	s_waitcnt vmcnt(4)
	ds_store_b16 v6, v43 offset:2176
	s_waitcnt vmcnt(3)
	ds_store_b16 v6, v44 offset:2304
	s_waitcnt vmcnt(2)
	ds_store_b16 v6, v45 offset:2432
	s_waitcnt vmcnt(1)
	ds_store_b16 v6, v46 offset:2560
	s_waitcnt vmcnt(0)
	ds_store_b16 v6, v47 offset:2688
	v_cndmask_b32_e64 v59, 0, 1, vcc_lo
	v_cmp_ne_u32_e32 vcc_lo, v12, v5
	s_waitcnt lgkmcnt(0)
	s_barrier
	buffer_gl0_inv
                                        ; implicit-def: $vgpr46
	v_cndmask_b32_e64 v58, 0, 1, vcc_lo
	v_cmp_ne_u32_e32 vcc_lo, v11, v12
	v_mad_u32_u24 v12, v0, 42, v6
	ds_load_2addr_b32 v[29:30], v12 offset1:1
	ds_load_2addr_b32 v[31:32], v12 offset0:2 offset1:3
	v_cndmask_b32_e64 v57, 0, 1, vcc_lo
	v_cmp_ne_u32_e32 vcc_lo, v10, v11
	ds_load_b128 v[5:8], v12 offset:18
	ds_load_b64 v[33:34], v12 offset:34
	ds_load_u16 v40, v12 offset:16
	ds_load_u16 v71, v12 offset:42
	v_cndmask_b32_e64 v56, 0, 1, vcc_lo
	v_cmp_ne_u32_e32 vcc_lo, v9, v10
	v_cndmask_b32_e64 v54, 0, 1, vcc_lo
	v_cmp_ne_u32_e32 vcc_lo, v4, v9
	;; [unrolled: 2-line block ×3, first 2 shown]
	s_waitcnt lgkmcnt(4)
	v_lshrrev_b32_e32 v39, 16, v32
	s_waitcnt lgkmcnt(3)
	v_lshrrev_b32_e32 v41, 16, v5
	v_lshrrev_b32_e32 v42, 16, v6
	v_cndmask_b32_e64 v52, 0, 1, vcc_lo
	v_cmp_ne_u32_e32 vcc_lo, v2, v3
	v_lshrrev_b32_e32 v3, 16, v31
	v_lshrrev_b32_e32 v43, 16, v7
	;; [unrolled: 1-line block ×3, first 2 shown]
	s_waitcnt lgkmcnt(2)
	v_lshrrev_b32_e32 v45, 16, v33
	v_cndmask_b32_e64 v51, 0, 1, vcc_lo
	v_cmp_ne_u32_e32 vcc_lo, v1, v2
	v_lshrrev_b32_e32 v2, 16, v30
	v_lshrrev_b32_e32 v38, 16, v34
	v_cndmask_b32_e64 v49, 0, 1, vcc_lo
	v_cmp_ne_u32_e32 vcc_lo, v23, v1
	v_lshrrev_b32_e32 v1, 16, v29
	v_cndmask_b32_e64 v37, 0, 1, vcc_lo
.LBB46_118:
	v_mov_b32_e32 v10, s5
	s_and_saveexec_b32 s2, s3
	s_cbranch_execz .LBB46_120
; %bb.119:
	s_waitcnt lgkmcnt(0)
	v_dual_mov_b32 v63, v6 :: v_dual_and_b32 v4, 0xffff, v71
	v_cndmask_b32_e64 v9, 0, 0x10000, s6
	v_dual_mov_b32 v72, v3 :: v_dual_mov_b32 v73, v2
	v_dual_mov_b32 v55, v7 :: v_dual_mov_b32 v50, v8
	s_delay_alu instid0(VALU_DEP_3)
	v_or_b32_e32 v10, v9, v4
	v_mov_b32_e32 v46, v34
.LBB46_120:
	s_or_b32 exec_lo, exec_lo, s2
	v_and_b32_e32 v36, 1, v49
	v_and_b32_e32 v11, 1, v51
	;; [unrolled: 1-line block ×7, first 2 shown]
	s_waitcnt lgkmcnt(0)
	v_and_b32_e32 v71, 1, v58
	v_and_b32_e32 v16, 1, v59
	v_and_b32_e32 v17, 1, v60
	v_and_b32_e32 v18, 1, v61
	v_and_b32_e32 v74, 1, v62
	v_and_b32_e32 v19, 1, v64
	v_and_b32_e32 v20, 1, v65
	v_and_b32_e32 v21, 1, v66
	v_and_b32_e32 v23, 1, v67
	v_and_b32_e32 v22, 1, v68
	v_and_b32_e32 v25, 1, v69
	v_and_b32_e32 v26, 1, v70
	v_and_b32_e32 v34, 1, v48
	v_and_b32_e32 v28, 0x10000, v10
	v_and_b32_e32 v83, 0xff, v49
	v_cmp_eq_u32_e64 s24, 1, v36
	v_and_b32_e32 v82, 0xff, v51
	v_cmp_eq_u32_e64 s25, 1, v11
	v_and_b32_e32 v81, 0xff, v52
	v_cmp_eq_u32_e64 s26, 1, v12
	v_and_b32_e32 v80, 0xff, v53
	v_cmp_eq_u32_e64 s27, 1, v47
	v_and_b32_e32 v79, 0xff, v54
	v_cmp_eq_u32_e64 s28, 1, v13
	v_and_b32_e32 v78, 0xff, v56
	v_cmp_eq_u32_e64 s23, 1, v14
	v_and_b32_e32 v77, 0xff, v57
	v_cmp_eq_u32_e64 s29, 1, v15
	v_and_b32_e32 v76, 0xff, v58
	v_cmp_eq_u32_e64 s30, 1, v71
	v_and_b32_e32 v75, 0xff, v59
	v_cmp_eq_u32_e64 s31, 1, v16
	v_and_b32_e32 v59, 0xff, v60
	v_cmp_eq_u32_e64 s22, 1, v17
	v_and_b32_e32 v58, 0xff, v61
	v_cmp_eq_u32_e64 s33, 1, v18
	v_and_b32_e32 v57, 0xff, v62
	v_cmp_eq_u32_e64 s34, 1, v74
	v_and_b32_e32 v56, 0xff, v64
	v_cmp_eq_u32_e64 s35, 1, v19
	v_and_b32_e32 v54, 0xff, v65
	v_cmp_eq_u32_e64 s21, 1, v20
	v_and_b32_e32 v53, 0xff, v66
	v_cmp_eq_u32_e64 s36, 1, v21
	v_and_b32_e32 v52, 0xff, v67
	v_cmp_eq_u32_e64 s37, 1, v23
	v_and_b32_e32 v51, 0xff, v68
	v_cmp_eq_u32_e64 s38, 1, v22
	v_and_b32_e32 v49, 0xff, v69
	v_cmp_eq_u32_e64 s20, 1, v25
	v_and_b32_e32 v35, 0xff, v70
	v_cmp_eq_u32_e64 s39, 1, v26
	v_and_b32_e32 v27, 0xff, v48
	v_cmp_eq_u32_e64 s40, 1, v34
	v_cmp_gt_u32_e64 s2, 0x10000, v10
	v_cmp_ne_u32_e64 s41, 0, v28
	v_lshrrev_b32_e32 v24, 5, v0
	v_cmp_gt_u32_e32 vcc_lo, 32, v0
	s_cmp_lg_u32 s15, 0
	s_barrier
	buffer_gl0_inv
	s_cbranch_scc0 .LBB46_201
; %bb.121:
	v_add_f16_e32 v2, v1, v29
	v_cmp_eq_u16_e64 s3, 0, v83
	v_cmp_eq_u16_e64 s4, 0, v82
	;; [unrolled: 1-line block ×5, first 2 shown]
	v_cndmask_b32_e64 v2, v1, v2, s3
	v_cmp_eq_u16_e64 s8, 0, v78
	v_cmp_eq_u16_e64 s9, 0, v77
	;; [unrolled: 1-line block ×4, first 2 shown]
	v_add_f16_e32 v2, v2, v30
	v_cmp_eq_u16_e64 s12, 0, v59
	v_cmp_eq_u16_e64 s13, 0, v58
	;; [unrolled: 1-line block ×4, first 2 shown]
	v_cndmask_b32_e64 v2, v30, v2, s4
	v_cmp_eq_u16_e64 s17, 0, v54
	v_cmp_eq_u16_e64 s18, 0, v53
	;; [unrolled: 1-line block ×3, first 2 shown]
	s_or_b32 s40, s41, s40
	v_add_f16_e32 v2, v2, v73
	s_or_b32 s39, s40, s39
	v_add_lshl_u32 v3, v24, v0, 2
	s_or_b32 s39, s39, s20
	v_cmp_eq_u16_e64 s20, 0, v51
	v_cndmask_b32_e64 v2, v73, v2, s5
	s_or_b32 s38, s39, s38
	s_delay_alu instid0(SALU_CYCLE_1) | instskip(NEXT) | instid1(VALU_DEP_1)
	s_or_b32 s37, s38, s37
	v_add_f16_e32 v2, v2, v31
	s_or_b32 s36, s37, s36
	s_delay_alu instid0(SALU_CYCLE_1) | instskip(SKIP_1) | instid1(VALU_DEP_2)
	s_or_b32 s36, s36, s21
	v_cmp_eq_u16_e64 s21, 0, v49
	v_cndmask_b32_e64 v2, v31, v2, s6
	s_or_b32 s35, s36, s35
	s_delay_alu instid0(SALU_CYCLE_1) | instskip(NEXT) | instid1(VALU_DEP_1)
	s_or_b32 s34, s35, s34
	v_add_f16_e32 v2, v2, v72
	s_or_b32 s33, s34, s33
	s_delay_alu instid0(SALU_CYCLE_1) | instskip(SKIP_1) | instid1(VALU_DEP_2)
	;; [unrolled: 9-line block ×3, first 2 shown]
	s_or_b32 s29, s29, s23
	v_cmp_eq_u16_e64 s23, 0, v27
	v_cndmask_b32_e64 v2, v32, v2, s8
	s_or_b32 s28, s29, s28
	s_delay_alu instid0(SALU_CYCLE_1) | instskip(NEXT) | instid1(VALU_DEP_1)
	s_or_b32 s27, s28, s27
	v_add_f16_e32 v2, v2, v39
	s_or_b32 s26, s27, s26
	s_delay_alu instid0(SALU_CYCLE_1) | instskip(NEXT) | instid1(VALU_DEP_1)
	s_or_b32 s25, s26, s25
	v_cndmask_b32_e64 v2, v39, v2, s9
	s_or_b32 s24, s25, s24
	s_delay_alu instid0(SALU_CYCLE_1) | instskip(NEXT) | instid1(VALU_DEP_2)
	v_cndmask_b32_e64 v48, v37, 1, s24
	v_add_f16_e32 v2, v2, v40
	s_delay_alu instid0(VALU_DEP_1) | instskip(NEXT) | instid1(VALU_DEP_1)
	v_cndmask_b32_e64 v2, v40, v2, s10
	v_add_f16_e32 v2, v2, v5
	s_delay_alu instid0(VALU_DEP_1) | instskip(NEXT) | instid1(VALU_DEP_1)
	;; [unrolled: 3-line block ×13, first 2 shown]
	v_cndmask_b32_e64 v2, v38, v2, s23
	v_add_f16_e32 v2, v2, v10
	s_delay_alu instid0(VALU_DEP_1)
	v_cndmask_b32_e64 v60, v10, v2, s2
	ds_store_b16 v3, v60
	ds_store_b8 v3, v48 offset:2
	s_waitcnt lgkmcnt(0)
	s_barrier
	buffer_gl0_inv
	s_and_saveexec_b32 s28, vcc_lo
	s_cbranch_execz .LBB46_137
; %bb.122:
	v_lshrrev_b32_e32 v2, 2, v0
                                        ; implicit-def: $vgpr3
                                        ; implicit-def: $vgpr9
	s_delay_alu instid0(VALU_DEP_1) | instskip(NEXT) | instid1(VALU_DEP_1)
	v_and_b32_e32 v2, 12, v2
	v_lshl_or_b32 v2, v0, 3, v2
	ds_load_u8 v7, v2 offset:6
	ds_load_b32 v4, v2
	s_waitcnt lgkmcnt(1)
	v_cmp_eq_u16_e64 s24, 0, v7
	v_cmp_ne_u16_e64 s25, 0, v7
	s_delay_alu instid0(VALU_DEP_1) | instskip(NEXT) | instid1(SALU_CYCLE_1)
	s_and_saveexec_b32 s26, s25
	s_xor_b32 s25, exec_lo, s26
	s_cbranch_execz .LBB46_124
; %bb.123:
	ds_load_u16 v3, v2 offset:4
	s_waitcnt lgkmcnt(0)
	v_mov_b32_e32 v9, v3
.LBB46_124:
	s_or_saveexec_b32 s25, s25
	s_delay_alu instid0(VALU_DEP_1)
	v_mov_b32_e32 v6, v9
	v_mov_b32_e32 v62, v3
	s_xor_b32 exec_lo, exec_lo, s25
	s_cbranch_execz .LBB46_126
; %bb.125:
	ds_load_u16 v6, v2 offset:4
	s_waitcnt lgkmcnt(0)
	v_add_f16_e32 v9, v6, v4
	s_delay_alu instid0(VALU_DEP_1)
	v_dual_mov_b32 v3, v6 :: v_dual_mov_b32 v62, v9
.LBB46_126:
	s_or_b32 exec_lo, exec_lo, s25
	v_and_b32_e32 v61, 1, v7
	s_waitcnt lgkmcnt(0)
	v_and_b32_e32 v7, 0x10000, v4
	v_and_b32_e32 v8, 0xff000000, v4
	;; [unrolled: 1-line block ×3, first 2 shown]
	s_mov_b32 s27, exec_lo
	v_cmp_eq_u32_e64 s25, 1, v61
	v_mbcnt_lo_u32_b32 v61, -1, 0
	s_delay_alu instid0(VALU_DEP_2) | instskip(NEXT) | instid1(VALU_DEP_1)
	v_cndmask_b32_e64 v64, v7, 0x10000, s25
	v_or_b32_e32 v66, v64, v8
	v_or3_b32 v67, v8, v65, v64
	s_delay_alu instid0(VALU_DEP_4) | instskip(NEXT) | instid1(VALU_DEP_3)
	v_and_b32_e32 v65, 15, v61
	v_lshrrev_b32_e32 v64, 16, v66
	s_delay_alu instid0(VALU_DEP_3) | instskip(NEXT) | instid1(VALU_DEP_3)
	v_mov_b32_dpp v68, v67 row_shr:1 row_mask:0xf bank_mask:0xf
	v_cmpx_ne_u32_e32 0, v65
	s_cbranch_execz .LBB46_128
; %bb.127:
	s_delay_alu instid0(VALU_DEP_3) | instskip(NEXT) | instid1(VALU_DEP_3)
	v_and_b32_e32 v64, 0xff, v64
	v_lshrrev_b32_e32 v67, 16, v68
	v_add_f16_e32 v9, v9, v68
	v_and_b32_e32 v66, 0x10000, v66
	s_delay_alu instid0(VALU_DEP_4) | instskip(NEXT) | instid1(VALU_DEP_4)
	v_cmp_eq_u16_e64 s26, 0, v64
	v_and_b32_e32 v67, 1, v67
	s_delay_alu instid0(VALU_DEP_2) | instskip(NEXT) | instid1(VALU_DEP_4)
	v_cndmask_b32_e64 v62, v62, v9, s26
	v_cmp_ne_u32_e64 s26, 0, v66
	s_delay_alu instid0(VALU_DEP_2) | instskip(NEXT) | instid1(VALU_DEP_2)
	v_and_b32_e32 v9, 0xffff, v62
	v_cndmask_b32_e64 v64, v67, 1, s26
	s_delay_alu instid0(VALU_DEP_1) | instskip(NEXT) | instid1(VALU_DEP_1)
	v_lshlrev_b32_e32 v66, 16, v64
	v_or3_b32 v67, v66, v9, v8
	v_mov_b32_e32 v9, v62
.LBB46_128:
	s_or_b32 exec_lo, exec_lo, s27
	s_delay_alu instid0(VALU_DEP_2)
	v_lshrrev_b32_e32 v66, 16, v67
	v_mov_b32_dpp v68, v67 row_shr:2 row_mask:0xf bank_mask:0xf
	s_mov_b32 s27, exec_lo
	v_cmpx_lt_u32_e32 1, v65
	s_cbranch_execz .LBB46_130
; %bb.129:
	s_delay_alu instid0(VALU_DEP_2) | instskip(SKIP_3) | instid1(VALU_DEP_4)
	v_lshrrev_b32_e32 v64, 16, v68
	v_lshrrev_b32_e32 v66, 16, v67
	v_and_b32_e32 v67, 0x10000, v67
	v_add_f16_e32 v9, v9, v68
	v_and_b32_e32 v64, 1, v64
	s_delay_alu instid0(VALU_DEP_4) | instskip(NEXT) | instid1(VALU_DEP_4)
	v_and_b32_e32 v66, 0xff, v66
	v_cmp_ne_u32_e64 s26, 0, v67
	s_delay_alu instid0(VALU_DEP_1) | instskip(NEXT) | instid1(VALU_DEP_3)
	v_cndmask_b32_e64 v64, v64, 1, s26
	v_cmp_eq_u16_e64 s26, 0, v66
	s_delay_alu instid0(VALU_DEP_2) | instskip(NEXT) | instid1(VALU_DEP_2)
	v_lshlrev_b32_e32 v66, 16, v64
	v_cndmask_b32_e64 v9, v62, v9, s26
	s_delay_alu instid0(VALU_DEP_1) | instskip(NEXT) | instid1(VALU_DEP_1)
	v_dual_mov_b32 v62, v9 :: v_dual_and_b32 v67, 0xffff, v9
	v_or3_b32 v67, v66, v67, v8
	v_mov_b32_e32 v66, v64
.LBB46_130:
	s_or_b32 exec_lo, exec_lo, s27
	s_delay_alu instid0(VALU_DEP_2)
	v_mov_b32_dpp v68, v67 row_shr:4 row_mask:0xf bank_mask:0xf
	s_mov_b32 s27, exec_lo
	v_cmpx_lt_u32_e32 3, v65
	s_cbranch_execz .LBB46_132
; %bb.131:
	v_and_b32_e32 v67, 0xff, v66
	v_lshrrev_b32_e32 v64, 16, v68
	v_add_f16_e32 v9, v9, v68
	v_and_b32_e32 v66, 1, v66
	s_delay_alu instid0(VALU_DEP_4) | instskip(NEXT) | instid1(VALU_DEP_4)
	v_cmp_eq_u16_e64 s26, 0, v67
	v_and_b32_e32 v64, 1, v64
	s_delay_alu instid0(VALU_DEP_2) | instskip(NEXT) | instid1(VALU_DEP_4)
	v_cndmask_b32_e64 v9, v62, v9, s26
	v_cmp_eq_u32_e64 s26, 1, v66
	s_delay_alu instid0(VALU_DEP_2) | instskip(NEXT) | instid1(VALU_DEP_2)
	v_mov_b32_e32 v62, v9
	v_cndmask_b32_e64 v64, v64, 1, s26
	v_and_b32_e32 v66, 0xffff, v9
	s_delay_alu instid0(VALU_DEP_2) | instskip(NEXT) | instid1(VALU_DEP_1)
	v_lshlrev_b32_e32 v67, 16, v64
	v_or3_b32 v67, v67, v66, v8
	v_mov_b32_e32 v66, v64
.LBB46_132:
	s_or_b32 exec_lo, exec_lo, s27
	s_delay_alu instid0(VALU_DEP_2)
	v_mov_b32_dpp v68, v67 row_shr:8 row_mask:0xf bank_mask:0xf
	s_mov_b32 s27, exec_lo
	v_cmpx_lt_u32_e32 7, v65
	s_cbranch_execz .LBB46_134
; %bb.133:
	v_and_b32_e32 v65, 0xff, v66
	v_lshrrev_b32_e32 v64, 16, v68
	v_add_f16_e32 v9, v9, v68
	v_and_b32_e32 v66, 1, v66
	s_delay_alu instid0(VALU_DEP_4) | instskip(NEXT) | instid1(VALU_DEP_4)
	v_cmp_eq_u16_e64 s26, 0, v65
	v_and_b32_e32 v64, 1, v64
	s_delay_alu instid0(VALU_DEP_2) | instskip(NEXT) | instid1(VALU_DEP_4)
	v_cndmask_b32_e64 v9, v62, v9, s26
	v_cmp_eq_u32_e64 s26, 1, v66
	s_delay_alu instid0(VALU_DEP_2) | instskip(NEXT) | instid1(VALU_DEP_2)
	v_mov_b32_e32 v62, v9
	v_cndmask_b32_e64 v64, v64, 1, s26
	v_and_b32_e32 v65, 0xffff, v9
	s_delay_alu instid0(VALU_DEP_2) | instskip(NEXT) | instid1(VALU_DEP_1)
	v_lshlrev_b32_e32 v66, 16, v64
	v_or3_b32 v67, v66, v65, v8
	v_mov_b32_e32 v66, v64
.LBB46_134:
	s_or_b32 exec_lo, exec_lo, s27
	ds_swizzle_b32 v65, v67 offset:swizzle(BROADCAST,32,15)
	v_and_b32_e32 v67, 16, v61
	s_mov_b32 s27, exec_lo
	s_delay_alu instid0(VALU_DEP_1)
	v_cmpx_ne_u32_e32 0, v67
	s_cbranch_execz .LBB46_136
; %bb.135:
	v_and_b32_e32 v67, 0xff, v66
	s_waitcnt lgkmcnt(0)
	v_lshrrev_b32_e32 v64, 16, v65
	v_add_f16_e32 v9, v9, v65
	v_and_b32_e32 v65, 1, v66
	v_cmp_eq_u16_e64 s26, 0, v67
	s_delay_alu instid0(VALU_DEP_4) | instskip(NEXT) | instid1(VALU_DEP_2)
	v_and_b32_e32 v64, 1, v64
	v_cndmask_b32_e64 v62, v62, v9, s26
	s_delay_alu instid0(VALU_DEP_4) | instskip(NEXT) | instid1(VALU_DEP_1)
	v_cmp_eq_u32_e64 s26, 1, v65
	v_cndmask_b32_e64 v64, v64, 1, s26
.LBB46_136:
	s_or_b32 exec_lo, exec_lo, s27
	s_delay_alu instid0(VALU_DEP_1) | instskip(SKIP_3) | instid1(VALU_DEP_4)
	v_and_b32_e32 v9, 0xff, v64
	v_add_nc_u32_e32 v64, -1, v61
	v_and_b32_e32 v62, 0xffff, v62
	v_cmp_eq_u32_e64 s27, 0, v7
	v_lshlrev_b32_e32 v9, 16, v9
	s_delay_alu instid0(VALU_DEP_4) | instskip(NEXT) | instid1(VALU_DEP_2)
	v_cmp_gt_i32_e64 s26, 0, v64
	v_or3_b32 v8, v9, v62, v8
	s_delay_alu instid0(VALU_DEP_2) | instskip(NEXT) | instid1(VALU_DEP_1)
	v_cndmask_b32_e64 v61, v64, v61, s26
	v_lshlrev_b32_e32 v9, 2, v61
	ds_bpermute_b32 v8, v9, v8
	v_and_b32_e32 v9, 0xff0000, v4
	s_delay_alu instid0(VALU_DEP_1) | instskip(SKIP_3) | instid1(VALU_DEP_2)
	v_cmp_eq_u32_e64 s26, 0, v9
	s_waitcnt lgkmcnt(0)
	v_add_f16_e32 v61, v4, v8
	v_lshrrev_b32_e32 v8, 16, v8
	v_cndmask_b32_e64 v4, v4, v61, s26
	v_cmp_eq_u32_e64 s26, 0, v0
	s_delay_alu instid0(VALU_DEP_3) | instskip(NEXT) | instid1(VALU_DEP_2)
	v_and_b32_e32 v8, 1, v8
	v_cndmask_b32_e64 v4, v4, v60, s26
	s_delay_alu instid0(VALU_DEP_2) | instskip(NEXT) | instid1(VALU_DEP_2)
	v_cndmask_b32_e64 v7, 1, v8, s27
	v_add_f16_e32 v6, v6, v4
	s_delay_alu instid0(VALU_DEP_2) | instskip(NEXT) | instid1(VALU_DEP_2)
	v_cndmask_b32_e64 v7, v7, v48, s26
	v_cndmask_b32_e64 v3, v3, v6, s24
	s_delay_alu instid0(VALU_DEP_2)
	v_cndmask_b32_e64 v6, v7, 1, s25
	ds_store_b16 v2, v4
	ds_store_b8 v2, v7 offset:2
	ds_store_b16 v2, v3 offset:4
	ds_store_b8 v2, v6 offset:6
.LBB46_137:
	s_or_b32 exec_lo, exec_lo, s28
	v_cmp_eq_u32_e64 s25, 0, v0
	v_cmp_ne_u32_e64 s24, 0, v0
	s_waitcnt lgkmcnt(0)
	s_barrier
	buffer_gl0_inv
	s_and_saveexec_b32 s26, s24
	s_cbranch_execz .LBB46_139
; %bb.138:
	v_add_nc_u32_e32 v2, -1, v0
	s_delay_alu instid0(VALU_DEP_1) | instskip(NEXT) | instid1(VALU_DEP_1)
	v_lshrrev_b32_e32 v3, 5, v2
	v_add_lshl_u32 v2, v3, v2, 2
	ds_load_u16 v60, v2
	ds_load_u8 v48, v2 offset:2
.LBB46_139:
	s_or_b32 exec_lo, exec_lo, s26
	s_and_saveexec_b32 s27, vcc_lo
	s_cbranch_execz .LBB46_178
; %bb.140:
	v_mov_b32_e32 v7, 0
	v_mbcnt_lo_u32_b32 v4, -1, 0
	s_mov_b32 s29, 0
	ds_load_b32 v2, v7 offset:256
	v_cmp_eq_u32_e64 s26, 0, v4
	s_delay_alu instid0(VALU_DEP_1)
	s_and_saveexec_b32 s30, s26
	s_cbranch_execz .LBB46_142
; %bb.141:
	s_add_i32 s28, s15, 32
	v_mov_b32_e32 v3, 1
	s_lshl_b64 s[28:29], s[28:29], 3
	s_delay_alu instid0(SALU_CYCLE_1)
	s_add_u32 s28, s44, s28
	s_addc_u32 s29, s45, s29
	s_waitcnt lgkmcnt(0)
	global_store_b64 v7, v[2:3], s[28:29]
.LBB46_142:
	s_or_b32 exec_lo, exec_lo, s30
	v_xad_u32 v3, v4, -1, s15
	s_mov_b32 s28, exec_lo
	s_delay_alu instid0(VALU_DEP_1) | instskip(NEXT) | instid1(VALU_DEP_1)
	v_add_nc_u32_e32 v6, 32, v3
	v_lshlrev_b64 v[6:7], 3, v[6:7]
	s_delay_alu instid0(VALU_DEP_1) | instskip(NEXT) | instid1(VALU_DEP_2)
	v_add_co_u32 v8, vcc_lo, s44, v6
	v_add_co_ci_u32_e32 v9, vcc_lo, s45, v7, vcc_lo
	global_load_b64 v[6:7], v[8:9], off glc
	s_waitcnt vmcnt(0)
	v_and_b32_e32 v61, 0xff, v7
	s_delay_alu instid0(VALU_DEP_1)
	v_cmpx_eq_u16_e32 0, v61
	s_cbranch_execz .LBB46_146
; %bb.143:
	s_mov_b32 s29, 0
.LBB46_144:                             ; =>This Inner Loop Header: Depth=1
	global_load_b64 v[6:7], v[8:9], off glc
	s_waitcnt vmcnt(0)
	v_and_b32_e32 v61, 0xff, v7
	s_delay_alu instid0(VALU_DEP_1) | instskip(SKIP_1) | instid1(SALU_CYCLE_1)
	v_cmp_ne_u16_e32 vcc_lo, 0, v61
	s_or_b32 s29, vcc_lo, s29
	s_and_not1_b32 exec_lo, exec_lo, s29
	s_cbranch_execnz .LBB46_144
; %bb.145:
	s_or_b32 exec_lo, exec_lo, s29
.LBB46_146:
	s_delay_alu instid0(SALU_CYCLE_1)
	s_or_b32 exec_lo, exec_lo, s28
	v_cmp_ne_u32_e32 vcc_lo, 31, v4
	v_and_b32_e32 v85, 0xffffff, v6
	v_and_b32_e32 v9, 0xff, v7
	v_lshlrev_b32_e64 v62, v4, -1
	v_add_nc_u32_e32 v64, 1, v4
	v_add_co_ci_u32_e32 v8, vcc_lo, 0, v4, vcc_lo
	s_delay_alu instid0(VALU_DEP_4) | instskip(SKIP_2) | instid1(VALU_DEP_4)
	v_cmp_eq_u16_e32 vcc_lo, 2, v9
	v_lshrrev_b32_e32 v9, 16, v6
	v_bfe_u32 v84, v6, 16, 8
	v_lshlrev_b32_e32 v61, 2, v8
	s_mov_b32 s28, exec_lo
	v_and_or_b32 v8, vcc_lo, v62, 0x80000000
	ds_bpermute_b32 v65, v61, v85
	v_ctz_i32_b32_e32 v8, v8
	s_delay_alu instid0(VALU_DEP_1)
	v_cmpx_le_u32_e64 v64, v8
	s_cbranch_execz .LBB46_148
; %bb.147:
	s_waitcnt lgkmcnt(0)
	v_lshrrev_b32_e32 v66, 16, v65
	v_add_f16_e32 v65, v6, v65
	v_and_b32_e32 v9, 0xff0000, v6
	s_delay_alu instid0(VALU_DEP_3) | instskip(NEXT) | instid1(VALU_DEP_2)
	v_and_b32_e32 v66, 1, v66
	v_cmp_eq_u32_e32 vcc_lo, 0, v9
	s_delay_alu instid0(VALU_DEP_4) | instskip(SKIP_1) | instid1(VALU_DEP_2)
	v_cndmask_b32_e32 v6, v6, v65, vcc_lo
	v_and_b32_e32 v67, 0x10000, v9
	v_and_b32_e32 v65, 0xffff, v6
	s_delay_alu instid0(VALU_DEP_2) | instskip(SKIP_1) | instid1(VALU_DEP_1)
	v_cmp_ne_u32_e32 vcc_lo, 0, v67
	v_cndmask_b32_e64 v9, v66, 1, vcc_lo
	v_mov_b32_e32 v84, v9
	v_lshlrev_b32_e32 v66, 16, v9
	s_delay_alu instid0(VALU_DEP_1)
	v_or_b32_e32 v85, v66, v65
.LBB46_148:
	s_or_b32 exec_lo, exec_lo, s28
	v_cmp_gt_u32_e32 vcc_lo, 30, v4
	v_add_nc_u32_e32 v66, 2, v4
	s_mov_b32 s28, exec_lo
	s_waitcnt lgkmcnt(0)
	v_cndmask_b32_e64 v65, 0, 1, vcc_lo
	s_delay_alu instid0(VALU_DEP_1) | instskip(NEXT) | instid1(VALU_DEP_1)
	v_lshlrev_b32_e32 v65, 1, v65
	v_add_lshl_u32 v65, v65, v4, 2
	ds_bpermute_b32 v67, v65, v85
	v_cmpx_le_u32_e64 v66, v8
	s_cbranch_execz .LBB46_150
; %bb.149:
	s_waitcnt lgkmcnt(0)
	v_lshrrev_b32_e32 v9, 16, v67
	v_add_f16_e32 v67, v6, v67
	v_and_b32_e32 v68, 1, v84
	v_cmp_eq_u16_e32 vcc_lo, 0, v84
	s_delay_alu instid0(VALU_DEP_3) | instskip(NEXT) | instid1(VALU_DEP_3)
	v_dual_cndmask_b32 v6, v6, v67 :: v_dual_and_b32 v9, 1, v9
	v_cmp_eq_u32_e32 vcc_lo, 1, v68
	s_delay_alu instid0(VALU_DEP_2) | instskip(NEXT) | instid1(VALU_DEP_1)
	v_cndmask_b32_e64 v9, v9, 1, vcc_lo
	v_dual_mov_b32 v84, v9 :: v_dual_and_b32 v67, 0xffff, v6
	v_lshlrev_b32_e32 v68, 16, v9
	s_delay_alu instid0(VALU_DEP_1)
	v_or_b32_e32 v85, v68, v67
.LBB46_150:
	s_or_b32 exec_lo, exec_lo, s28
	v_cmp_gt_u32_e32 vcc_lo, 28, v4
	v_add_nc_u32_e32 v68, 4, v4
	s_mov_b32 s28, exec_lo
	s_waitcnt lgkmcnt(0)
	v_cndmask_b32_e64 v67, 0, 1, vcc_lo
	s_delay_alu instid0(VALU_DEP_1) | instskip(NEXT) | instid1(VALU_DEP_1)
	v_lshlrev_b32_e32 v67, 2, v67
	v_add_lshl_u32 v67, v67, v4, 2
	ds_bpermute_b32 v69, v67, v85
	v_cmpx_le_u32_e64 v68, v8
	s_cbranch_execz .LBB46_152
; %bb.151:
	s_waitcnt lgkmcnt(0)
	v_lshrrev_b32_e32 v9, 16, v69
	v_add_f16_e32 v69, v6, v69
	v_and_b32_e32 v70, 1, v84
	v_cmp_eq_u16_e32 vcc_lo, 0, v84
	s_delay_alu instid0(VALU_DEP_4) | instskip(NEXT) | instid1(VALU_DEP_4)
	v_and_b32_e32 v9, 1, v9
	v_cndmask_b32_e32 v6, v6, v69, vcc_lo
	s_delay_alu instid0(VALU_DEP_4) | instskip(NEXT) | instid1(VALU_DEP_3)
	v_cmp_eq_u32_e32 vcc_lo, 1, v70
	v_cndmask_b32_e64 v9, v9, 1, vcc_lo
	s_delay_alu instid0(VALU_DEP_1) | instskip(SKIP_1) | instid1(VALU_DEP_1)
	v_dual_mov_b32 v84, v9 :: v_dual_and_b32 v69, 0xffff, v6
	v_lshlrev_b32_e32 v70, 16, v9
	v_or_b32_e32 v85, v70, v69
.LBB46_152:
	s_or_b32 exec_lo, exec_lo, s28
	v_cmp_gt_u32_e32 vcc_lo, 24, v4
	v_add_nc_u32_e32 v70, 8, v4
	s_mov_b32 s28, exec_lo
	s_waitcnt lgkmcnt(0)
	v_cndmask_b32_e64 v69, 0, 1, vcc_lo
	s_delay_alu instid0(VALU_DEP_1) | instskip(NEXT) | instid1(VALU_DEP_1)
	v_lshlrev_b32_e32 v69, 3, v69
	v_add_lshl_u32 v69, v69, v4, 2
	ds_bpermute_b32 v86, v69, v85
	v_cmpx_le_u32_e64 v70, v8
	s_cbranch_execz .LBB46_154
; %bb.153:
	s_waitcnt lgkmcnt(0)
	v_lshrrev_b32_e32 v9, 16, v86
	v_add_f16_e32 v85, v6, v86
	v_and_b32_e32 v86, 1, v84
	v_cmp_eq_u16_e32 vcc_lo, 0, v84
	s_delay_alu instid0(VALU_DEP_4) | instskip(NEXT) | instid1(VALU_DEP_4)
	v_and_b32_e32 v9, 1, v9
	v_cndmask_b32_e32 v6, v6, v85, vcc_lo
	s_delay_alu instid0(VALU_DEP_4) | instskip(NEXT) | instid1(VALU_DEP_2)
	v_cmp_eq_u32_e32 vcc_lo, 1, v86
	v_and_b32_e32 v84, 0xffff, v6
	s_delay_alu instid0(VALU_DEP_4) | instskip(NEXT) | instid1(VALU_DEP_1)
	v_cndmask_b32_e64 v9, v9, 1, vcc_lo
	v_lshlrev_b32_e32 v85, 16, v9
	s_delay_alu instid0(VALU_DEP_1)
	v_or_b32_e32 v85, v85, v84
	v_mov_b32_e32 v84, v9
.LBB46_154:
	s_or_b32 exec_lo, exec_lo, s28
	v_cmp_gt_u32_e32 vcc_lo, 16, v4
	v_add_nc_u32_e32 v87, 16, v4
	s_mov_b32 s28, exec_lo
	s_waitcnt lgkmcnt(0)
	v_cndmask_b32_e64 v86, 0, 1, vcc_lo
	s_delay_alu instid0(VALU_DEP_1) | instskip(NEXT) | instid1(VALU_DEP_1)
	v_lshlrev_b32_e32 v86, 4, v86
	v_add_lshl_u32 v86, v86, v4, 2
	ds_bpermute_b32 v85, v86, v85
	v_cmpx_le_u32_e64 v87, v8
	s_cbranch_execz .LBB46_156
; %bb.155:
	s_waitcnt lgkmcnt(0)
	v_lshrrev_b32_e32 v4, 16, v85
	v_add_f16_e32 v8, v6, v85
	v_and_b32_e32 v9, 1, v84
	v_cmp_eq_u16_e32 vcc_lo, 0, v84
	s_delay_alu instid0(VALU_DEP_4) | instskip(NEXT) | instid1(VALU_DEP_4)
	v_and_b32_e32 v4, 1, v4
	v_cndmask_b32_e32 v6, v6, v8, vcc_lo
	s_delay_alu instid0(VALU_DEP_4) | instskip(NEXT) | instid1(VALU_DEP_3)
	v_cmp_eq_u32_e32 vcc_lo, 1, v9
	v_cndmask_b32_e64 v9, v4, 1, vcc_lo
.LBB46_156:
	s_or_b32 exec_lo, exec_lo, s28
	v_mov_b32_e32 v4, 0
	s_branch .LBB46_158
.LBB46_157:                             ;   in Loop: Header=BB46_158 Depth=1
                                        ; implicit-def: $vgpr9
                                        ; implicit-def: $vgpr6
	s_cbranch_execnz .LBB46_174
.LBB46_158:                             ; =>This Loop Header: Depth=1
                                        ;     Child Loop BB46_161 Depth 2
	s_delay_alu instid0(VALU_DEP_1) | instskip(SKIP_2) | instid1(VALU_DEP_2)
	v_dual_mov_b32 v84, v9 :: v_dual_and_b32 v7, 0xff, v7
	s_waitcnt lgkmcnt(0)
	v_mov_b32_e32 v85, v6
	v_cmp_ne_u16_e32 vcc_lo, 2, v7
	v_cndmask_b32_e64 v7, 0, 1, vcc_lo
	;;#ASMSTART
	;;#ASMEND
	s_delay_alu instid0(VALU_DEP_1)
	v_cmp_ne_u32_e32 vcc_lo, 0, v7
	s_cmp_lg_u32 vcc_lo, exec_lo
	s_cbranch_scc1 .LBB46_157
; %bb.159:                              ;   in Loop: Header=BB46_158 Depth=1
	v_lshlrev_b64 v[6:7], 3, v[3:4]
	s_mov_b32 s28, exec_lo
	s_delay_alu instid0(VALU_DEP_1) | instskip(NEXT) | instid1(VALU_DEP_2)
	v_add_co_u32 v8, vcc_lo, s44, v6
	v_add_co_ci_u32_e32 v9, vcc_lo, s45, v7, vcc_lo
	global_load_b64 v[6:7], v[8:9], off glc
	s_waitcnt vmcnt(0)
	v_and_b32_e32 v88, 0xff, v7
	s_delay_alu instid0(VALU_DEP_1)
	v_cmpx_eq_u16_e32 0, v88
	s_cbranch_execz .LBB46_163
; %bb.160:                              ;   in Loop: Header=BB46_158 Depth=1
	s_mov_b32 s29, 0
.LBB46_161:                             ;   Parent Loop BB46_158 Depth=1
                                        ; =>  This Inner Loop Header: Depth=2
	global_load_b64 v[6:7], v[8:9], off glc
	s_waitcnt vmcnt(0)
	v_and_b32_e32 v88, 0xff, v7
	s_delay_alu instid0(VALU_DEP_1) | instskip(SKIP_1) | instid1(SALU_CYCLE_1)
	v_cmp_ne_u16_e32 vcc_lo, 0, v88
	s_or_b32 s29, vcc_lo, s29
	s_and_not1_b32 exec_lo, exec_lo, s29
	s_cbranch_execnz .LBB46_161
; %bb.162:                              ;   in Loop: Header=BB46_158 Depth=1
	s_or_b32 exec_lo, exec_lo, s29
.LBB46_163:                             ;   in Loop: Header=BB46_158 Depth=1
	s_delay_alu instid0(SALU_CYCLE_1)
	s_or_b32 exec_lo, exec_lo, s28
	v_and_b32_e32 v89, 0xffffff, v6
	v_and_b32_e32 v8, 0xff, v7
	v_lshrrev_b32_e32 v9, 16, v6
	v_bfe_u32 v88, v6, 16, 8
	s_mov_b32 s28, exec_lo
	ds_bpermute_b32 v90, v61, v89
	v_cmp_eq_u16_e32 vcc_lo, 2, v8
	v_and_or_b32 v8, vcc_lo, v62, 0x80000000
	s_delay_alu instid0(VALU_DEP_1) | instskip(NEXT) | instid1(VALU_DEP_1)
	v_ctz_i32_b32_e32 v8, v8
	v_cmpx_le_u32_e64 v64, v8
	s_cbranch_execz .LBB46_165
; %bb.164:                              ;   in Loop: Header=BB46_158 Depth=1
	s_waitcnt lgkmcnt(0)
	v_add_f16_e32 v89, v6, v90
	v_and_b32_e32 v9, 0xff0000, v6
	v_lshrrev_b32_e32 v88, 16, v90
	s_delay_alu instid0(VALU_DEP_2) | instskip(NEXT) | instid1(VALU_DEP_2)
	v_cmp_eq_u32_e32 vcc_lo, 0, v9
	v_and_b32_e32 v88, 1, v88
	v_cndmask_b32_e32 v6, v6, v89, vcc_lo
	v_and_b32_e32 v90, 0x10000, v9
	s_delay_alu instid0(VALU_DEP_1) | instskip(NEXT) | instid1(VALU_DEP_4)
	v_cmp_ne_u32_e32 vcc_lo, 0, v90
	v_cndmask_b32_e64 v9, v88, 1, vcc_lo
	s_delay_alu instid0(VALU_DEP_4) | instskip(NEXT) | instid1(VALU_DEP_2)
	v_and_b32_e32 v88, 0xffff, v6
	v_lshlrev_b32_e32 v89, 16, v9
	s_delay_alu instid0(VALU_DEP_1)
	v_or_b32_e32 v89, v89, v88
	v_mov_b32_e32 v88, v9
.LBB46_165:                             ;   in Loop: Header=BB46_158 Depth=1
	s_or_b32 exec_lo, exec_lo, s28
	s_waitcnt lgkmcnt(0)
	ds_bpermute_b32 v90, v65, v89
	s_mov_b32 s28, exec_lo
	v_cmpx_le_u32_e64 v66, v8
	s_cbranch_execz .LBB46_167
; %bb.166:                              ;   in Loop: Header=BB46_158 Depth=1
	s_waitcnt lgkmcnt(0)
	v_lshrrev_b32_e32 v9, 16, v90
	v_add_f16_e32 v89, v6, v90
	v_and_b32_e32 v90, 1, v88
	v_cmp_eq_u16_e32 vcc_lo, 0, v88
	s_delay_alu instid0(VALU_DEP_4) | instskip(NEXT) | instid1(VALU_DEP_4)
	v_and_b32_e32 v9, 1, v9
	v_cndmask_b32_e32 v6, v6, v89, vcc_lo
	s_delay_alu instid0(VALU_DEP_4) | instskip(NEXT) | instid1(VALU_DEP_2)
	v_cmp_eq_u32_e32 vcc_lo, 1, v90
	v_and_b32_e32 v88, 0xffff, v6
	s_delay_alu instid0(VALU_DEP_4) | instskip(NEXT) | instid1(VALU_DEP_1)
	v_cndmask_b32_e64 v9, v9, 1, vcc_lo
	v_lshlrev_b32_e32 v89, 16, v9
	s_delay_alu instid0(VALU_DEP_1)
	v_or_b32_e32 v89, v89, v88
	v_mov_b32_e32 v88, v9
.LBB46_167:                             ;   in Loop: Header=BB46_158 Depth=1
	s_or_b32 exec_lo, exec_lo, s28
	s_waitcnt lgkmcnt(0)
	ds_bpermute_b32 v90, v67, v89
	s_mov_b32 s28, exec_lo
	v_cmpx_le_u32_e64 v68, v8
	s_cbranch_execz .LBB46_169
; %bb.168:                              ;   in Loop: Header=BB46_158 Depth=1
	s_waitcnt lgkmcnt(0)
	v_lshrrev_b32_e32 v9, 16, v90
	v_add_f16_e32 v89, v6, v90
	v_and_b32_e32 v90, 1, v88
	v_cmp_eq_u16_e32 vcc_lo, 0, v88
	s_delay_alu instid0(VALU_DEP_4) | instskip(NEXT) | instid1(VALU_DEP_4)
	v_and_b32_e32 v9, 1, v9
	v_cndmask_b32_e32 v6, v6, v89, vcc_lo
	s_delay_alu instid0(VALU_DEP_4) | instskip(NEXT) | instid1(VALU_DEP_2)
	v_cmp_eq_u32_e32 vcc_lo, 1, v90
	v_and_b32_e32 v88, 0xffff, v6
	s_delay_alu instid0(VALU_DEP_4) | instskip(NEXT) | instid1(VALU_DEP_1)
	v_cndmask_b32_e64 v9, v9, 1, vcc_lo
	v_lshlrev_b32_e32 v89, 16, v9
	s_delay_alu instid0(VALU_DEP_1)
	v_or_b32_e32 v89, v89, v88
	v_mov_b32_e32 v88, v9
.LBB46_169:                             ;   in Loop: Header=BB46_158 Depth=1
	;; [unrolled: 25-line block ×3, first 2 shown]
	s_or_b32 exec_lo, exec_lo, s28
	ds_bpermute_b32 v89, v86, v89
	s_mov_b32 s28, exec_lo
	v_cmpx_le_u32_e64 v87, v8
	s_cbranch_execz .LBB46_173
; %bb.172:                              ;   in Loop: Header=BB46_158 Depth=1
	s_waitcnt lgkmcnt(0)
	v_add_f16_e32 v8, v6, v89
	v_and_b32_e32 v9, 1, v88
	v_cmp_eq_u16_e32 vcc_lo, 0, v88
	v_lshrrev_b32_e32 v89, 16, v89
	s_delay_alu instid0(VALU_DEP_4) | instskip(NEXT) | instid1(VALU_DEP_4)
	v_cndmask_b32_e32 v6, v6, v8, vcc_lo
	v_cmp_eq_u32_e32 vcc_lo, 1, v9
	s_delay_alu instid0(VALU_DEP_3)
	v_cndmask_b32_e64 v9, v89, 1, vcc_lo
.LBB46_173:                             ;   in Loop: Header=BB46_158 Depth=1
	s_or_b32 exec_lo, exec_lo, s28
	v_and_b32_e32 v8, 0xff, v84
	v_add_f16_e32 v6, v85, v6
	v_and_b32_e32 v88, 1, v84
	v_subrev_nc_u32_e32 v3, 32, v3
	s_delay_alu instid0(VALU_DEP_4) | instskip(NEXT) | instid1(VALU_DEP_4)
	v_cmp_eq_u16_e32 vcc_lo, 0, v8
	v_dual_cndmask_b32 v6, v85, v6 :: v_dual_and_b32 v9, 1, v9
	s_delay_alu instid0(VALU_DEP_4) | instskip(NEXT) | instid1(VALU_DEP_2)
	v_cmp_eq_u32_e32 vcc_lo, 1, v88
	v_cndmask_b32_e64 v9, v9, 1, vcc_lo
	s_branch .LBB46_158
.LBB46_174:
	s_and_saveexec_b32 s28, s26
	s_cbranch_execz .LBB46_176
; %bb.175:
	v_and_b32_e32 v4, 0xff0000, v2
	v_add_f16_e32 v6, v2, v85
	v_and_b32_e32 v7, 0x10000, v2
	s_mov_b32 s31, 0
	s_add_i32 s30, s15, 32
	v_cmp_eq_u32_e32 vcc_lo, 0, v4
	v_dual_mov_b32 v4, 0 :: v_dual_and_b32 v3, 1, v84
	s_lshl_b64 s[30:31], s[30:31], 3
	v_cndmask_b32_e32 v2, v2, v6, vcc_lo
	v_cmp_eq_u32_e32 vcc_lo, 0, v7
	s_delay_alu instid0(VALU_DEP_3) | instskip(SKIP_3) | instid1(VALU_DEP_2)
	v_lshlrev_b32_e32 v3, 16, v3
	s_add_u32 s30, s44, s30
	s_addc_u32 s31, s45, s31
	v_and_b32_e32 v2, 0xffff, v2
	v_cndmask_b32_e32 v3, 0x10000, v3, vcc_lo
	s_delay_alu instid0(VALU_DEP_1)
	v_or_b32_e32 v2, v3, v2
	v_mov_b32_e32 v3, 2
	global_store_b64 v4, v[2:3], s[30:31]
.LBB46_176:
	s_or_b32 exec_lo, exec_lo, s28
	s_delay_alu instid0(SALU_CYCLE_1)
	s_and_b32 exec_lo, exec_lo, s25
	s_cbranch_execz .LBB46_178
; %bb.177:
	v_mov_b32_e32 v2, 0
	ds_store_b16 v2, v85
	ds_store_b8 v2, v84 offset:2
.LBB46_178:
	s_or_b32 exec_lo, exec_lo, s27
	v_dual_mov_b32 v2, 0 :: v_dual_mov_b32 v3, v29
	s_waitcnt lgkmcnt(0)
	s_waitcnt_vscnt null, 0x0
	s_barrier
	buffer_gl0_inv
	ds_load_b32 v2, v2
	v_mov_b32_e32 v4, v29
	v_mov_b32_e32 v6, v37
	s_and_saveexec_b32 s15, s24
; %bb.179:
	v_and_b32_e32 v3, 0xff, v37
	v_add_f16_e32 v4, v29, v60
	s_delay_alu instid0(VALU_DEP_2) | instskip(NEXT) | instid1(VALU_DEP_2)
	v_cmp_eq_u16_e32 vcc_lo, 0, v3
	v_dual_cndmask_b32 v3, v29, v4 :: v_dual_and_b32 v6, 1, v37
	s_delay_alu instid0(VALU_DEP_1) | instskip(NEXT) | instid1(VALU_DEP_2)
	v_cmp_eq_u32_e32 vcc_lo, 1, v6
	v_mov_b32_e32 v4, v3
	v_cndmask_b32_e64 v6, v48, 1, vcc_lo
; %bb.180:
	s_or_b32 exec_lo, exec_lo, s15
	s_delay_alu instid0(VALU_DEP_1) | instskip(SKIP_2) | instid1(VALU_DEP_2)
	v_and_b32_e32 v6, 0xff, v6
	s_waitcnt lgkmcnt(0)
	v_add_f16_e32 v2, v3, v2
	v_cmp_eq_u16_e32 vcc_lo, 0, v6
	s_delay_alu instid0(VALU_DEP_2) | instskip(NEXT) | instid1(VALU_DEP_1)
	v_cndmask_b32_e32 v3, v4, v2, vcc_lo
	v_add_f16_e32 v2, v1, v3
	s_delay_alu instid0(VALU_DEP_1) | instskip(NEXT) | instid1(VALU_DEP_1)
	v_cndmask_b32_e64 v2, v1, v2, s3
	v_add_f16_e32 v4, v2, v30
	s_delay_alu instid0(VALU_DEP_1) | instskip(NEXT) | instid1(VALU_DEP_1)
	v_cndmask_b32_e64 v4, v30, v4, s4
	v_add_f16_e32 v6, v4, v73
	s_delay_alu instid0(VALU_DEP_1) | instskip(NEXT) | instid1(VALU_DEP_1)
	v_cndmask_b32_e64 v6, v73, v6, s5
	v_add_f16_e32 v7, v6, v31
	s_delay_alu instid0(VALU_DEP_1) | instskip(NEXT) | instid1(VALU_DEP_1)
	v_cndmask_b32_e64 v9, v31, v7, s6
	v_add_f16_e32 v7, v9, v72
	s_delay_alu instid0(VALU_DEP_1) | instskip(NEXT) | instid1(VALU_DEP_1)
	v_cndmask_b32_e64 v48, v72, v7, s7
	v_add_f16_e32 v7, v48, v32
	s_delay_alu instid0(VALU_DEP_1) | instskip(NEXT) | instid1(VALU_DEP_1)
	v_cndmask_b32_e64 v8, v32, v7, s8
	v_add_f16_e32 v7, v8, v39
	s_delay_alu instid0(VALU_DEP_1) | instskip(NEXT) | instid1(VALU_DEP_1)
	v_cndmask_b32_e64 v61, v39, v7, s9
	v_add_f16_e32 v7, v61, v40
	s_delay_alu instid0(VALU_DEP_1) | instskip(NEXT) | instid1(VALU_DEP_1)
	v_cndmask_b32_e64 v60, v40, v7, s10
	v_add_f16_e32 v7, v60, v5
	s_delay_alu instid0(VALU_DEP_1) | instskip(NEXT) | instid1(VALU_DEP_1)
	v_cndmask_b32_e64 v62, v5, v7, s11
	v_add_f16_e32 v7, v62, v41
	s_delay_alu instid0(VALU_DEP_1) | instskip(NEXT) | instid1(VALU_DEP_1)
	v_cndmask_b32_e64 v64, v41, v7, s12
	v_add_f16_e32 v7, v64, v63
	s_delay_alu instid0(VALU_DEP_1) | instskip(NEXT) | instid1(VALU_DEP_1)
	v_cndmask_b32_e64 v66, v63, v7, s13
	v_add_f16_e32 v7, v66, v42
	s_delay_alu instid0(VALU_DEP_1) | instskip(NEXT) | instid1(VALU_DEP_1)
	v_cndmask_b32_e64 v65, v42, v7, s14
	v_add_f16_e32 v7, v65, v55
	s_delay_alu instid0(VALU_DEP_1) | instskip(NEXT) | instid1(VALU_DEP_1)
	v_cndmask_b32_e64 v67, v55, v7, s16
	v_add_f16_e32 v7, v67, v43
	s_delay_alu instid0(VALU_DEP_1) | instskip(NEXT) | instid1(VALU_DEP_1)
	v_cndmask_b32_e64 v68, v43, v7, s17
	v_add_f16_e32 v7, v68, v50
	s_delay_alu instid0(VALU_DEP_1) | instskip(NEXT) | instid1(VALU_DEP_1)
	v_cndmask_b32_e64 v70, v50, v7, s18
	v_add_f16_e32 v7, v70, v44
	s_delay_alu instid0(VALU_DEP_1) | instskip(NEXT) | instid1(VALU_DEP_1)
	v_cndmask_b32_e64 v69, v44, v7, s19
	v_add_f16_e32 v7, v69, v33
	s_delay_alu instid0(VALU_DEP_1) | instskip(NEXT) | instid1(VALU_DEP_1)
	v_cndmask_b32_e64 v84, v33, v7, s20
	v_add_f16_e32 v7, v84, v45
	s_delay_alu instid0(VALU_DEP_1) | instskip(NEXT) | instid1(VALU_DEP_1)
	v_cndmask_b32_e64 v85, v45, v7, s21
	v_add_f16_e32 v7, v85, v46
	s_delay_alu instid0(VALU_DEP_1) | instskip(NEXT) | instid1(VALU_DEP_1)
	v_cndmask_b32_e64 v86, v46, v7, s22
	v_add_f16_e32 v7, v86, v38
	s_delay_alu instid0(VALU_DEP_1) | instskip(NEXT) | instid1(VALU_DEP_1)
	v_cndmask_b32_e64 v87, v38, v7, s23
	v_add_f16_e32 v7, v87, v10
	s_delay_alu instid0(VALU_DEP_1)
	v_cndmask_b32_e64 v88, v10, v7, s2
	s_branch .LBB46_227
.LBB46_181:
	s_or_b32 exec_lo, exec_lo, s24
                                        ; implicit-def: $vgpr7
	s_and_saveexec_b32 s24, s2
	s_cbranch_execz .LBB46_49
.LBB46_182:
	global_load_u16 v7, v[1:2], off offset:128
	s_or_b32 exec_lo, exec_lo, s24
                                        ; implicit-def: $vgpr8
	s_and_saveexec_b32 s2, s3
	s_cbranch_execnz .LBB46_50
.LBB46_183:
	s_or_b32 exec_lo, exec_lo, s2
                                        ; implicit-def: $vgpr29
	s_and_saveexec_b32 s2, s4
	s_cbranch_execz .LBB46_51
.LBB46_184:
	global_load_u16 v29, v[1:2], off offset:384
	s_or_b32 exec_lo, exec_lo, s2
                                        ; implicit-def: $vgpr30
	s_and_saveexec_b32 s2, s5
	s_cbranch_execnz .LBB46_52
.LBB46_185:
	s_or_b32 exec_lo, exec_lo, s2
                                        ; implicit-def: $vgpr31
	s_and_saveexec_b32 s2, s6
	s_cbranch_execz .LBB46_53
.LBB46_186:
	global_load_u16 v31, v[1:2], off offset:640
	s_or_b32 exec_lo, exec_lo, s2
                                        ; implicit-def: $vgpr32
	s_and_saveexec_b32 s2, s7
	s_cbranch_execnz .LBB46_54
.LBB46_187:
	s_or_b32 exec_lo, exec_lo, s2
                                        ; implicit-def: $vgpr33
	s_and_saveexec_b32 s2, s8
	s_cbranch_execz .LBB46_55
.LBB46_188:
	global_load_u16 v33, v[1:2], off offset:896
	s_or_b32 exec_lo, exec_lo, s2
                                        ; implicit-def: $vgpr34
	s_and_saveexec_b32 s2, s9
	s_cbranch_execnz .LBB46_56
.LBB46_189:
	s_or_b32 exec_lo, exec_lo, s2
                                        ; implicit-def: $vgpr37
	s_and_saveexec_b32 s2, s10
	s_cbranch_execz .LBB46_57
.LBB46_190:
	global_load_u16 v37, v[1:2], off offset:1152
	s_or_b32 exec_lo, exec_lo, s2
                                        ; implicit-def: $vgpr38
	s_and_saveexec_b32 s2, s11
	s_cbranch_execnz .LBB46_58
.LBB46_191:
	s_or_b32 exec_lo, exec_lo, s2
                                        ; implicit-def: $vgpr39
	s_and_saveexec_b32 s2, s12
	s_cbranch_execz .LBB46_59
.LBB46_192:
	global_load_u16 v39, v[1:2], off offset:1408
	s_or_b32 exec_lo, exec_lo, s2
                                        ; implicit-def: $vgpr40
	s_and_saveexec_b32 s2, s13
	s_cbranch_execnz .LBB46_60
.LBB46_193:
	s_or_b32 exec_lo, exec_lo, s2
                                        ; implicit-def: $vgpr41
	s_and_saveexec_b32 s2, s14
	s_cbranch_execz .LBB46_61
.LBB46_194:
	global_load_u16 v41, v[1:2], off offset:1664
	s_or_b32 exec_lo, exec_lo, s2
                                        ; implicit-def: $vgpr42
	s_and_saveexec_b32 s2, s16
	s_cbranch_execnz .LBB46_62
.LBB46_195:
	s_or_b32 exec_lo, exec_lo, s2
                                        ; implicit-def: $vgpr43
	s_and_saveexec_b32 s2, s17
	s_cbranch_execz .LBB46_63
.LBB46_196:
	global_load_u16 v43, v[1:2], off offset:1920
	s_or_b32 exec_lo, exec_lo, s2
                                        ; implicit-def: $vgpr44
	s_and_saveexec_b32 s2, s18
	s_cbranch_execnz .LBB46_64
.LBB46_197:
	s_or_b32 exec_lo, exec_lo, s2
                                        ; implicit-def: $vgpr45
	s_and_saveexec_b32 s2, s19
	s_cbranch_execz .LBB46_65
.LBB46_198:
	global_load_u16 v45, v[1:2], off offset:2176
	s_or_b32 exec_lo, exec_lo, s2
                                        ; implicit-def: $vgpr46
	s_and_saveexec_b32 s2, s20
	s_cbranch_execnz .LBB46_66
.LBB46_199:
	s_or_b32 exec_lo, exec_lo, s2
                                        ; implicit-def: $vgpr48
	s_and_saveexec_b32 s2, s21
	s_cbranch_execz .LBB46_67
.LBB46_200:
	global_load_u16 v48, v[1:2], off offset:2432
	s_or_b32 exec_lo, exec_lo, s2
                                        ; implicit-def: $vgpr49
	s_and_saveexec_b32 s2, s22
	s_cbranch_execz .LBB46_69
	s_branch .LBB46_68
.LBB46_201:
                                        ; implicit-def: $vgpr88
                                        ; implicit-def: $vgpr87
                                        ; implicit-def: $vgpr86
                                        ; implicit-def: $vgpr3
                                        ; implicit-def: $vgpr85
                                        ; implicit-def: $vgpr84
                                        ; implicit-def: $vgpr2
                                        ; implicit-def: $vgpr69
                                        ; implicit-def: $vgpr70
                                        ; implicit-def: $vgpr4
                                        ; implicit-def: $vgpr68
                                        ; implicit-def: $vgpr67
                                        ; implicit-def: $vgpr6
                                        ; implicit-def: $vgpr65
                                        ; implicit-def: $vgpr66
                                        ; implicit-def: $vgpr9
                                        ; implicit-def: $vgpr64
                                        ; implicit-def: $vgpr62
                                        ; implicit-def: $vgpr48
                                        ; implicit-def: $vgpr60
                                        ; implicit-def: $vgpr61
                                        ; implicit-def: $vgpr8
	s_cbranch_execz .LBB46_227
; %bb.202:
	v_cmp_eq_u32_e32 vcc_lo, 0, v0
	s_cmp_lg_u64 s[52:53], 0
	v_cmp_ne_u32_e64 s2, 0, v0
	s_cselect_b32 s3, -1, 0
	s_delay_alu instid0(SALU_CYCLE_1) | instskip(NEXT) | instid1(SALU_CYCLE_1)
	s_and_b32 s3, vcc_lo, s3
	s_and_saveexec_b32 s4, s3
	s_cbranch_execz .LBB46_206
; %bb.203:
	v_dual_mov_b32 v3, 0 :: v_dual_and_b32 v4, 0xff, v37
	s_mov_b32 s5, exec_lo
	global_load_u8 v2, v3, s[52:53] offset:2
	v_cmpx_eq_u16_e32 0, v4
	s_cbranch_execz .LBB46_205
; %bb.204:
	global_load_u16 v3, v3, s[52:53]
	s_waitcnt vmcnt(0)
	v_add_f16_e32 v29, v3, v29
.LBB46_205:
	s_or_b32 exec_lo, exec_lo, s5
	v_and_b32_e32 v3, 1, v37
	s_waitcnt vmcnt(0)
	v_and_b32_e32 v2, 1, v2
	s_delay_alu instid0(VALU_DEP_2) | instskip(NEXT) | instid1(VALU_DEP_1)
	v_cmp_eq_u32_e64 s3, 1, v3
	v_cndmask_b32_e64 v37, v2, 1, s3
.LBB46_206:
	s_or_b32 exec_lo, exec_lo, s4
	v_add_f16_e32 v2, v1, v29
	v_cmp_eq_u16_e64 s3, 0, v83
	v_cmp_eq_u16_e64 s4, 0, v82
	v_cmp_eq_u16_e64 s5, 0, v81
	v_cmp_eq_u16_e64 s6, 0, v80
	v_cmp_eq_u16_e64 s7, 0, v79
	v_cndmask_b32_e64 v2, v1, v2, s3
	v_cmp_eq_u16_e64 s8, 0, v78
	v_cmp_eq_u16_e64 s9, 0, v77
	;; [unrolled: 1-line block ×4, first 2 shown]
	v_add_f16_e32 v2, v2, v30
	v_cmp_eq_u16_e64 s12, 0, v59
	v_cmp_eq_u16_e64 s13, 0, v58
	;; [unrolled: 1-line block ×4, first 2 shown]
	v_cndmask_b32_e64 v2, v30, v2, s4
	v_cmp_eq_u16_e64 s16, 0, v54
	v_cmp_eq_u16_e64 s17, 0, v53
	;; [unrolled: 1-line block ×3, first 2 shown]
	v_cmp_eq_u32_e64 s19, 1, v34
	v_add_f16_e32 v2, v2, v73
	v_cmp_ne_u32_e64 s20, 0, v28
	v_cmp_eq_u32_e64 s25, 1, v26
	v_cmp_eq_u32_e64 s27, 1, v25
	v_cmp_eq_u32_e64 s26, 1, v23
	v_cndmask_b32_e64 v2, v73, v2, s5
	s_or_b32 s19, s20, s19
	v_cmp_eq_u32_e64 s20, 1, v22
	s_or_b32 s19, s19, s25
	v_cmp_eq_u32_e64 s25, 1, v21
	v_add_f16_e32 v2, v2, v31
	s_or_b32 s27, s19, s27
	v_cmp_eq_u16_e64 s19, 0, v51
	s_or_b32 s27, s27, s20
	v_cmp_eq_u32_e64 s20, 1, v20
	v_cndmask_b32_e64 v2, v31, v2, s6
	s_or_b32 s26, s27, s26
	v_cmp_eq_u32_e64 s22, 1, v74
	s_or_b32 s26, s26, s25
	v_cmp_eq_u32_e64 s25, 1, v19
	v_add_f16_e32 v2, v2, v72
	s_or_b32 s27, s26, s20
	v_cmp_eq_u16_e64 s20, 0, v49
	v_cmp_eq_u32_e64 s26, 1, v18
	s_or_b32 s27, s27, s25
	v_cndmask_b32_e64 v2, v72, v2, s7
	v_cmp_eq_u32_e64 s25, 1, v17
	s_or_b32 s22, s27, s22
	v_cmp_eq_u32_e64 s23, 1, v71
	s_or_b32 s22, s22, s26
	v_add_f16_e32 v2, v2, v32
	v_cmp_eq_u32_e64 s26, 1, v16
	s_or_b32 s27, s22, s25
	v_cmp_eq_u16_e64 s22, 0, v35
	v_cmp_eq_u32_e64 s25, 1, v15
	v_cndmask_b32_e64 v2, v32, v2, s8
	s_or_b32 s27, s27, s26
	v_cmp_eq_u32_e64 s26, 1, v14
	s_or_b32 s23, s27, s23
	v_cmp_eq_u32_e64 s21, 1, v47
	v_add_f16_e32 v2, v2, v39
	s_or_b32 s23, s23, s25
	v_cmp_eq_u32_e64 s25, 1, v13
	s_or_b32 s27, s23, s26
	v_cmp_eq_u16_e64 s23, 0, v27
	v_cndmask_b32_e64 v2, v39, v2, s9
	v_cmp_eq_u32_e64 s26, 1, v12
	s_or_b32 s27, s27, s25
	v_cmp_eq_u32_e64 s25, 1, v11
	s_or_b32 s21, s27, s21
	v_add_f16_e32 v2, v2, v40
	v_cmp_eq_u32_e64 s24, 1, v36
	s_or_b32 s21, s21, s26
	v_add_lshl_u32 v4, v24, v0, 2
	s_or_b32 s25, s21, s25
	v_cndmask_b32_e64 v2, v40, v2, s10
	v_cmp_gt_u32_e64 s21, 0x10000, v10
	s_or_b32 s24, s25, s24
	s_mov_b32 s27, exec_lo
	v_cndmask_b32_e64 v3, v37, 1, s24
	v_add_f16_e32 v2, v2, v5
	s_delay_alu instid0(VALU_DEP_1) | instskip(NEXT) | instid1(VALU_DEP_1)
	v_cndmask_b32_e64 v2, v5, v2, s11
	v_add_f16_e32 v2, v2, v41
	s_delay_alu instid0(VALU_DEP_1) | instskip(NEXT) | instid1(VALU_DEP_1)
	;; [unrolled: 3-line block ×12, first 2 shown]
	v_cndmask_b32_e64 v2, v38, v2, s23
	v_add_f16_e32 v2, v2, v10
	s_delay_alu instid0(VALU_DEP_1)
	v_cndmask_b32_e64 v2, v10, v2, s21
	ds_store_b16 v4, v2
	ds_store_b8 v4, v3 offset:2
	s_waitcnt lgkmcnt(0)
	s_barrier
	buffer_gl0_inv
	v_cmpx_gt_u32_e32 32, v0
	s_cbranch_execz .LBB46_222
; %bb.207:
	v_lshrrev_b32_e32 v4, 2, v0
                                        ; implicit-def: $vgpr7
                                        ; implicit-def: $vgpr12
	s_delay_alu instid0(VALU_DEP_1) | instskip(NEXT) | instid1(VALU_DEP_1)
	v_and_b32_e32 v4, 12, v4
	v_lshl_or_b32 v4, v0, 3, v4
	ds_load_u8 v9, v4 offset:6
	ds_load_b32 v6, v4
	s_waitcnt lgkmcnt(1)
	v_cmp_eq_u16_e64 s24, 0, v9
	v_cmp_ne_u16_e64 s25, 0, v9
	s_delay_alu instid0(VALU_DEP_1) | instskip(NEXT) | instid1(SALU_CYCLE_1)
	s_and_saveexec_b32 s26, s25
	s_xor_b32 s25, exec_lo, s26
	s_cbranch_execz .LBB46_209
; %bb.208:
	ds_load_u16 v7, v4 offset:4
	s_waitcnt lgkmcnt(0)
	v_mov_b32_e32 v12, v7
.LBB46_209:
	s_or_saveexec_b32 s25, s25
	s_delay_alu instid0(VALU_DEP_1)
	v_mov_b32_e32 v8, v12
	v_mov_b32_e32 v14, v7
	s_xor_b32 exec_lo, exec_lo, s25
	s_cbranch_execz .LBB46_211
; %bb.210:
	ds_load_u16 v8, v4 offset:4
	s_waitcnt lgkmcnt(0)
	v_add_f16_e32 v12, v8, v6
	v_mov_b32_e32 v7, v8
	s_delay_alu instid0(VALU_DEP_2)
	v_mov_b32_e32 v14, v12
.LBB46_211:
	s_or_b32 exec_lo, exec_lo, s25
	v_and_b32_e32 v13, 1, v9
	s_waitcnt lgkmcnt(0)
	v_and_b32_e32 v9, 0x10000, v6
	v_and_b32_e32 v11, 0xff000000, v6
	;; [unrolled: 1-line block ×3, first 2 shown]
	s_mov_b32 s28, exec_lo
	v_cmp_eq_u32_e64 s25, 1, v13
	v_mbcnt_lo_u32_b32 v13, -1, 0
	s_delay_alu instid0(VALU_DEP_2) | instskip(NEXT) | instid1(VALU_DEP_1)
	v_cndmask_b32_e64 v15, v9, 0x10000, s25
	v_or_b32_e32 v17, v15, v11
	v_or3_b32 v18, v11, v16, v15
	s_delay_alu instid0(VALU_DEP_4) | instskip(NEXT) | instid1(VALU_DEP_3)
	v_and_b32_e32 v16, 15, v13
	v_lshrrev_b32_e32 v15, 16, v17
	s_delay_alu instid0(VALU_DEP_3) | instskip(NEXT) | instid1(VALU_DEP_3)
	v_mov_b32_dpp v19, v18 row_shr:1 row_mask:0xf bank_mask:0xf
	v_cmpx_ne_u32_e32 0, v16
	s_cbranch_execz .LBB46_213
; %bb.212:
	s_delay_alu instid0(VALU_DEP_3) | instskip(NEXT) | instid1(VALU_DEP_3)
	v_and_b32_e32 v15, 0xff, v15
	v_lshrrev_b32_e32 v18, 16, v19
	v_add_f16_e32 v12, v12, v19
	v_and_b32_e32 v17, 0x10000, v17
	s_delay_alu instid0(VALU_DEP_4) | instskip(NEXT) | instid1(VALU_DEP_4)
	v_cmp_eq_u16_e64 s26, 0, v15
	v_and_b32_e32 v18, 1, v18
	s_delay_alu instid0(VALU_DEP_2) | instskip(NEXT) | instid1(VALU_DEP_4)
	v_cndmask_b32_e64 v14, v14, v12, s26
	v_cmp_ne_u32_e64 s26, 0, v17
	s_delay_alu instid0(VALU_DEP_2) | instskip(NEXT) | instid1(VALU_DEP_2)
	v_and_b32_e32 v12, 0xffff, v14
	v_cndmask_b32_e64 v15, v18, 1, s26
	s_delay_alu instid0(VALU_DEP_1) | instskip(NEXT) | instid1(VALU_DEP_1)
	v_lshlrev_b32_e32 v17, 16, v15
	v_or3_b32 v18, v17, v12, v11
	v_mov_b32_e32 v12, v14
.LBB46_213:
	s_or_b32 exec_lo, exec_lo, s28
	s_delay_alu instid0(VALU_DEP_2)
	v_lshrrev_b32_e32 v17, 16, v18
	v_mov_b32_dpp v19, v18 row_shr:2 row_mask:0xf bank_mask:0xf
	s_mov_b32 s28, exec_lo
	v_cmpx_lt_u32_e32 1, v16
	s_cbranch_execz .LBB46_215
; %bb.214:
	s_delay_alu instid0(VALU_DEP_2) | instskip(SKIP_3) | instid1(VALU_DEP_4)
	v_lshrrev_b32_e32 v15, 16, v19
	v_lshrrev_b32_e32 v17, 16, v18
	v_and_b32_e32 v18, 0x10000, v18
	v_add_f16_e32 v12, v12, v19
	v_and_b32_e32 v15, 1, v15
	s_delay_alu instid0(VALU_DEP_4) | instskip(NEXT) | instid1(VALU_DEP_4)
	v_and_b32_e32 v17, 0xff, v17
	v_cmp_ne_u32_e64 s26, 0, v18
	s_delay_alu instid0(VALU_DEP_1) | instskip(NEXT) | instid1(VALU_DEP_3)
	v_cndmask_b32_e64 v15, v15, 1, s26
	v_cmp_eq_u16_e64 s26, 0, v17
	s_delay_alu instid0(VALU_DEP_2) | instskip(NEXT) | instid1(VALU_DEP_2)
	v_lshlrev_b32_e32 v17, 16, v15
	v_cndmask_b32_e64 v12, v14, v12, s26
	s_delay_alu instid0(VALU_DEP_1) | instskip(SKIP_1) | instid1(VALU_DEP_1)
	v_mov_b32_e32 v14, v12
	v_and_b32_e32 v18, 0xffff, v12
	v_or3_b32 v18, v17, v18, v11
	v_mov_b32_e32 v17, v15
.LBB46_215:
	s_or_b32 exec_lo, exec_lo, s28
	s_delay_alu instid0(VALU_DEP_2)
	v_mov_b32_dpp v19, v18 row_shr:4 row_mask:0xf bank_mask:0xf
	s_mov_b32 s28, exec_lo
	v_cmpx_lt_u32_e32 3, v16
	s_cbranch_execz .LBB46_217
; %bb.216:
	v_and_b32_e32 v18, 0xff, v17
	v_add_f16_e32 v12, v12, v19
	v_lshrrev_b32_e32 v15, 16, v19
	s_delay_alu instid0(VALU_DEP_3) | instskip(NEXT) | instid1(VALU_DEP_2)
	v_cmp_eq_u16_e64 s26, 0, v18
	v_and_b32_e32 v15, 1, v15
	s_delay_alu instid0(VALU_DEP_2) | instskip(NEXT) | instid1(VALU_DEP_1)
	v_cndmask_b32_e64 v12, v14, v12, s26
	v_dual_mov_b32 v14, v12 :: v_dual_and_b32 v17, 1, v17
	s_delay_alu instid0(VALU_DEP_1) | instskip(SKIP_1) | instid1(VALU_DEP_2)
	v_cmp_eq_u32_e64 s26, 1, v17
	v_and_b32_e32 v17, 0xffff, v12
	v_cndmask_b32_e64 v15, v15, 1, s26
	s_delay_alu instid0(VALU_DEP_1) | instskip(NEXT) | instid1(VALU_DEP_1)
	v_lshlrev_b32_e32 v18, 16, v15
	v_or3_b32 v18, v18, v17, v11
	v_mov_b32_e32 v17, v15
.LBB46_217:
	s_or_b32 exec_lo, exec_lo, s28
	s_delay_alu instid0(VALU_DEP_2)
	v_mov_b32_dpp v19, v18 row_shr:8 row_mask:0xf bank_mask:0xf
	s_mov_b32 s28, exec_lo
	v_cmpx_lt_u32_e32 7, v16
	s_cbranch_execz .LBB46_219
; %bb.218:
	v_and_b32_e32 v16, 0xff, v17
	v_add_f16_e32 v12, v12, v19
	v_lshrrev_b32_e32 v15, 16, v19
	s_delay_alu instid0(VALU_DEP_3) | instskip(NEXT) | instid1(VALU_DEP_2)
	v_cmp_eq_u16_e64 s26, 0, v16
	v_and_b32_e32 v15, 1, v15
	s_delay_alu instid0(VALU_DEP_2) | instskip(NEXT) | instid1(VALU_DEP_1)
	v_cndmask_b32_e64 v12, v14, v12, s26
	v_dual_mov_b32 v14, v12 :: v_dual_and_b32 v17, 1, v17
	s_delay_alu instid0(VALU_DEP_1) | instskip(SKIP_1) | instid1(VALU_DEP_2)
	v_cmp_eq_u32_e64 s26, 1, v17
	v_and_b32_e32 v16, 0xffff, v12
	v_cndmask_b32_e64 v15, v15, 1, s26
	s_delay_alu instid0(VALU_DEP_1) | instskip(NEXT) | instid1(VALU_DEP_1)
	v_lshlrev_b32_e32 v17, 16, v15
	v_or3_b32 v18, v17, v16, v11
	v_mov_b32_e32 v17, v15
.LBB46_219:
	s_or_b32 exec_lo, exec_lo, s28
	ds_swizzle_b32 v16, v18 offset:swizzle(BROADCAST,32,15)
	v_and_b32_e32 v18, 16, v13
	s_mov_b32 s28, exec_lo
	s_delay_alu instid0(VALU_DEP_1)
	v_cmpx_ne_u32_e32 0, v18
	s_cbranch_execz .LBB46_221
; %bb.220:
	v_and_b32_e32 v18, 0xff, v17
	s_waitcnt lgkmcnt(0)
	v_lshrrev_b32_e32 v15, 16, v16
	v_add_f16_e32 v12, v12, v16
	v_and_b32_e32 v16, 1, v17
	v_cmp_eq_u16_e64 s26, 0, v18
	s_delay_alu instid0(VALU_DEP_4) | instskip(NEXT) | instid1(VALU_DEP_2)
	v_and_b32_e32 v15, 1, v15
	v_cndmask_b32_e64 v14, v14, v12, s26
	s_delay_alu instid0(VALU_DEP_4) | instskip(NEXT) | instid1(VALU_DEP_1)
	v_cmp_eq_u32_e64 s26, 1, v16
	v_cndmask_b32_e64 v15, v15, 1, s26
.LBB46_221:
	s_or_b32 exec_lo, exec_lo, s28
	s_delay_alu instid0(VALU_DEP_1) | instskip(SKIP_2) | instid1(VALU_DEP_3)
	v_and_b32_e32 v12, 0xff, v15
	v_add_nc_u32_e32 v15, -1, v13
	v_and_b32_e32 v14, 0xffff, v14
	v_lshlrev_b32_e32 v12, 16, v12
	s_delay_alu instid0(VALU_DEP_3) | instskip(NEXT) | instid1(VALU_DEP_2)
	v_cmp_gt_i32_e64 s26, 0, v15
	v_or3_b32 v11, v12, v14, v11
	s_delay_alu instid0(VALU_DEP_2) | instskip(NEXT) | instid1(VALU_DEP_1)
	v_cndmask_b32_e64 v13, v15, v13, s26
	v_lshlrev_b32_e32 v12, 2, v13
	ds_bpermute_b32 v11, v12, v11
	v_and_b32_e32 v12, 0xff0000, v6
	s_delay_alu instid0(VALU_DEP_1) | instskip(SKIP_3) | instid1(VALU_DEP_2)
	v_cmp_eq_u32_e64 s26, 0, v12
	s_waitcnt lgkmcnt(0)
	v_add_f16_e32 v13, v6, v11
	v_lshrrev_b32_e32 v11, 16, v11
	v_cndmask_b32_e64 v6, v6, v13, s26
	s_delay_alu instid0(VALU_DEP_2) | instskip(SKIP_1) | instid1(VALU_DEP_3)
	v_and_b32_e32 v11, 1, v11
	v_cmp_eq_u32_e64 s26, 0, v9
	v_cndmask_b32_e32 v6, v6, v2, vcc_lo
	s_delay_alu instid0(VALU_DEP_2) | instskip(NEXT) | instid1(VALU_DEP_2)
	v_cndmask_b32_e64 v9, 1, v11, s26
	v_add_f16_e32 v8, v8, v6
	s_delay_alu instid0(VALU_DEP_2) | instskip(NEXT) | instid1(VALU_DEP_2)
	v_cndmask_b32_e32 v3, v9, v3, vcc_lo
	v_cndmask_b32_e64 v7, v7, v8, s24
	s_delay_alu instid0(VALU_DEP_2)
	v_cndmask_b32_e64 v8, v3, 1, s25
	ds_store_b16 v4, v6
	ds_store_b8 v4, v3 offset:2
	ds_store_b16 v4, v7 offset:4
	ds_store_b8 v4, v8 offset:6
.LBB46_222:
	s_or_b32 exec_lo, exec_lo, s27
	s_waitcnt lgkmcnt(0)
	s_barrier
	buffer_gl0_inv
	s_and_saveexec_b32 s24, s2
	s_cbranch_execz .LBB46_224
; %bb.223:
	v_add_nc_u32_e32 v2, -1, v0
	s_delay_alu instid0(VALU_DEP_1) | instskip(NEXT) | instid1(VALU_DEP_1)
	v_lshrrev_b32_e32 v3, 5, v2
	v_add_lshl_u32 v2, v3, v2, 2
	ds_load_u16 v2, v2
.LBB46_224:
	s_or_b32 exec_lo, exec_lo, s24
	v_and_b32_e32 v3, 0xff, v37
	s_waitcnt lgkmcnt(0)
	v_add_f16_e32 v2, v29, v2
	s_delay_alu instid0(VALU_DEP_2) | instskip(NEXT) | instid1(VALU_DEP_1)
	v_cmp_eq_u16_e64 s2, 0, v3
	v_cndmask_b32_e64 v3, v29, v2, s2
	s_delay_alu instid0(VALU_DEP_1) | instskip(NEXT) | instid1(VALU_DEP_1)
	v_cndmask_b32_e32 v2, v3, v29, vcc_lo
	v_add_f16_e32 v2, v2, v1
	s_delay_alu instid0(VALU_DEP_1) | instskip(NEXT) | instid1(VALU_DEP_1)
	v_cndmask_b32_e64 v2, v1, v2, s3
	v_add_f16_e32 v1, v2, v30
	s_delay_alu instid0(VALU_DEP_1) | instskip(NEXT) | instid1(VALU_DEP_1)
	v_cndmask_b32_e64 v4, v30, v1, s4
	;; [unrolled: 3-line block ×20, first 2 shown]
	v_add_f16_e32 v1, v87, v10
	s_and_saveexec_b32 s2, vcc_lo
	s_cbranch_execz .LBB46_226
; %bb.225:
	v_dual_mov_b32 v5, 0 :: v_dual_mov_b32 v12, 2
	ds_load_u8 v3, v5 offset:258
	ds_load_u16 v7, v5 offset:256
	s_waitcnt lgkmcnt(1)
	v_lshlrev_b32_e32 v3, 16, v3
	s_waitcnt lgkmcnt(0)
	s_delay_alu instid0(VALU_DEP_1)
	v_or_b32_e32 v11, v3, v7
	v_mov_b32_e32 v3, v29
	global_store_b64 v5, v[11:12], s[44:45] offset:256
.LBB46_226:
	s_or_b32 exec_lo, exec_lo, s2
	s_delay_alu instid0(VALU_DEP_1)
	v_cndmask_b32_e64 v88, v10, v1, s21
.LBB46_227:
	s_load_b64 s[0:1], s[0:1], 0x18
	v_mul_u32_u24_e32 v1, 22, v0
	v_perm_b32 v6, v6, v4, 0x5040100
	v_perm_b32 v7, v2, v3, 0x5040100
	;; [unrolled: 1-line block ×11, first 2 shown]
	v_lshlrev_b32_e32 v5, 1, v1
	v_lshlrev_b32_e32 v4, 1, v0
	s_waitcnt lgkmcnt(0)
	s_add_u32 s0, s0, s42
	s_addc_u32 s1, s1, s43
	s_and_b32 vcc_lo, exec_lo, s50
	s_cbranch_vccz .LBB46_271
; %bb.228:
	v_mad_i32_i24 v1, 0xffffffd6, v0, v5
	s_waitcnt_vscnt null, 0x0
	s_barrier
	buffer_gl0_inv
	ds_store_2addr_b32 v5, v7, v6 offset1:1
	ds_store_2addr_b32 v5, v9, v8 offset0:2 offset1:3
	ds_store_2addr_b32 v5, v11, v10 offset0:4 offset1:5
	;; [unrolled: 1-line block ×4, first 2 shown]
	ds_store_b32 v5, v16 offset:40
	s_waitcnt lgkmcnt(0)
	s_barrier
	buffer_gl0_inv
	ds_load_u16 v37, v1 offset:128
	ds_load_u16 v36, v1 offset:256
	;; [unrolled: 1-line block ×21, first 2 shown]
	v_add_co_u32 v2, s2, s0, v4
	v_mov_b32_e32 v1, 0
	v_add_co_ci_u32_e64 v3, null, s1, 0, s2
	s_add_i32 s47, s47, s46
	s_mov_b32 s2, exec_lo
	v_cmpx_gt_u32_e64 s47, v0
	s_cbranch_execz .LBB46_230
; %bb.229:
	v_mul_i32_i24_e32 v38, 0xffffffd6, v0
	s_delay_alu instid0(VALU_DEP_1)
	v_add_nc_u32_e32 v38, v5, v38
	ds_load_u16 v38, v38
	s_waitcnt lgkmcnt(0)
	global_store_b16 v[2:3], v38, off
.LBB46_230:
	s_or_b32 exec_lo, exec_lo, s2
	v_or_b32_e32 v38, 64, v0
	s_mov_b32 s2, exec_lo
	s_delay_alu instid0(VALU_DEP_1)
	v_cmpx_gt_u32_e64 s47, v38
	s_cbranch_execz .LBB46_232
; %bb.231:
	s_waitcnt lgkmcnt(20)
	global_store_b16 v[2:3], v37, off offset:128
.LBB46_232:
	s_or_b32 exec_lo, exec_lo, s2
	s_waitcnt lgkmcnt(20)
	v_or_b32_e32 v37, 0x80, v0
	s_mov_b32 s2, exec_lo
	s_delay_alu instid0(VALU_DEP_1)
	v_cmpx_gt_u32_e64 s47, v37
	s_cbranch_execz .LBB46_234
; %bb.233:
	s_waitcnt lgkmcnt(19)
	global_store_b16 v[2:3], v36, off offset:256
.LBB46_234:
	s_or_b32 exec_lo, exec_lo, s2
	s_waitcnt lgkmcnt(19)
	;; [unrolled: 11-line block ×19, first 2 shown]
	v_or_b32_e32 v19, 0x500, v0
	s_mov_b32 s2, exec_lo
	s_delay_alu instid0(VALU_DEP_1)
	v_cmpx_gt_u32_e64 s47, v19
	s_cbranch_execz .LBB46_270
; %bb.269:
	s_waitcnt lgkmcnt(1)
	global_store_b16 v[2:3], v18, off offset:2560
.LBB46_270:
	s_or_b32 exec_lo, exec_lo, s2
	v_or_b32_e32 v2, 0x540, v0
	s_delay_alu instid0(VALU_DEP_1)
	v_cmp_gt_u32_e64 s2, s47, v2
	s_branch .LBB46_273
.LBB46_271:
	s_mov_b32 s2, 0
                                        ; implicit-def: $vgpr17
	s_cbranch_execz .LBB46_273
; %bb.272:
	v_mad_i32_i24 v2, 0xffffffd6, v0, v5
	s_waitcnt lgkmcnt(0)
	s_waitcnt_vscnt null, 0x0
	s_barrier
	buffer_gl0_inv
	ds_store_2addr_b32 v5, v7, v6 offset1:1
	ds_store_2addr_b32 v5, v9, v8 offset0:2 offset1:3
	ds_store_2addr_b32 v5, v11, v10 offset0:4 offset1:5
	;; [unrolled: 1-line block ×4, first 2 shown]
	ds_store_b32 v5, v16 offset:40
	s_waitcnt lgkmcnt(0)
	s_barrier
	buffer_gl0_inv
	ds_load_u16 v3, v2
	ds_load_u16 v5, v2 offset:128
	ds_load_u16 v6, v2 offset:256
	;; [unrolled: 1-line block ×21, first 2 shown]
	v_mov_b32_e32 v1, 0
	s_or_b32 s2, s2, exec_lo
	s_waitcnt lgkmcnt(21)
	global_store_b16 v4, v3, s[0:1]
	s_waitcnt lgkmcnt(20)
	global_store_b16 v4, v5, s[0:1] offset:128
	s_waitcnt lgkmcnt(19)
	global_store_b16 v4, v6, s[0:1] offset:256
	;; [unrolled: 2-line block ×20, first 2 shown]
.LBB46_273:
	s_delay_alu instid0(VALU_DEP_1)
	s_and_saveexec_b32 s3, s2
	s_cbranch_execz .LBB46_275
; %bb.274:
	v_lshlrev_b64 v[0:1], 1, v[0:1]
	s_delay_alu instid0(VALU_DEP_1) | instskip(NEXT) | instid1(VALU_DEP_2)
	v_add_co_u32 v0, vcc_lo, s0, v0
	v_add_co_ci_u32_e32 v1, vcc_lo, s1, v1, vcc_lo
	s_waitcnt lgkmcnt(0)
	global_store_b16 v[0:1], v17, off offset:2688
	s_nop 0
	s_sendmsg sendmsg(MSG_DEALLOC_VGPRS)
	s_endpgm
.LBB46_275:
	s_nop 0
	s_sendmsg sendmsg(MSG_DEALLOC_VGPRS)
	s_endpgm
	.section	.rodata,"a",@progbits
	.p2align	6, 0x0
	.amdhsa_kernel _ZN7rocprim6detail25device_scan_by_key_kernelILNS0_25lookback_scan_determinismE0ELb0ENS0_26wrapped_scan_by_key_configINS_14default_configEi6__halfEEPiN6hipcub22TransformInputIteratorIS5_NS8_6CastOpIS5_EEPS5_lEESC_S5_NS8_8EqualityENS8_3SumENS0_19lookback_scan_stateINS_5tupleIJS5_bEEELb0ELb1EEES5_EEvT2_T3_T4_T5_T6_T7_T8_mmmPKNSH_IJT9_bEEE
		.amdhsa_group_segment_fixed_size 6144
		.amdhsa_private_segment_fixed_size 0
		.amdhsa_kernarg_size 80
		.amdhsa_user_sgpr_count 15
		.amdhsa_user_sgpr_dispatch_ptr 0
		.amdhsa_user_sgpr_queue_ptr 0
		.amdhsa_user_sgpr_kernarg_segment_ptr 1
		.amdhsa_user_sgpr_dispatch_id 0
		.amdhsa_user_sgpr_private_segment_size 0
		.amdhsa_wavefront_size32 1
		.amdhsa_uses_dynamic_stack 0
		.amdhsa_enable_private_segment 0
		.amdhsa_system_sgpr_workgroup_id_x 1
		.amdhsa_system_sgpr_workgroup_id_y 0
		.amdhsa_system_sgpr_workgroup_id_z 0
		.amdhsa_system_sgpr_workgroup_info 0
		.amdhsa_system_vgpr_workitem_id 0
		.amdhsa_next_free_vgpr 91
		.amdhsa_next_free_sgpr 54
		.amdhsa_reserve_vcc 1
		.amdhsa_float_round_mode_32 0
		.amdhsa_float_round_mode_16_64 0
		.amdhsa_float_denorm_mode_32 3
		.amdhsa_float_denorm_mode_16_64 3
		.amdhsa_dx10_clamp 1
		.amdhsa_ieee_mode 1
		.amdhsa_fp16_overflow 0
		.amdhsa_workgroup_processor_mode 1
		.amdhsa_memory_ordered 1
		.amdhsa_forward_progress 0
		.amdhsa_shared_vgpr_count 0
		.amdhsa_exception_fp_ieee_invalid_op 0
		.amdhsa_exception_fp_denorm_src 0
		.amdhsa_exception_fp_ieee_div_zero 0
		.amdhsa_exception_fp_ieee_overflow 0
		.amdhsa_exception_fp_ieee_underflow 0
		.amdhsa_exception_fp_ieee_inexact 0
		.amdhsa_exception_int_div_zero 0
	.end_amdhsa_kernel
	.section	.text._ZN7rocprim6detail25device_scan_by_key_kernelILNS0_25lookback_scan_determinismE0ELb0ENS0_26wrapped_scan_by_key_configINS_14default_configEi6__halfEEPiN6hipcub22TransformInputIteratorIS5_NS8_6CastOpIS5_EEPS5_lEESC_S5_NS8_8EqualityENS8_3SumENS0_19lookback_scan_stateINS_5tupleIJS5_bEEELb0ELb1EEES5_EEvT2_T3_T4_T5_T6_T7_T8_mmmPKNSH_IJT9_bEEE,"axG",@progbits,_ZN7rocprim6detail25device_scan_by_key_kernelILNS0_25lookback_scan_determinismE0ELb0ENS0_26wrapped_scan_by_key_configINS_14default_configEi6__halfEEPiN6hipcub22TransformInputIteratorIS5_NS8_6CastOpIS5_EEPS5_lEESC_S5_NS8_8EqualityENS8_3SumENS0_19lookback_scan_stateINS_5tupleIJS5_bEEELb0ELb1EEES5_EEvT2_T3_T4_T5_T6_T7_T8_mmmPKNSH_IJT9_bEEE,comdat
.Lfunc_end46:
	.size	_ZN7rocprim6detail25device_scan_by_key_kernelILNS0_25lookback_scan_determinismE0ELb0ENS0_26wrapped_scan_by_key_configINS_14default_configEi6__halfEEPiN6hipcub22TransformInputIteratorIS5_NS8_6CastOpIS5_EEPS5_lEESC_S5_NS8_8EqualityENS8_3SumENS0_19lookback_scan_stateINS_5tupleIJS5_bEEELb0ELb1EEES5_EEvT2_T3_T4_T5_T6_T7_T8_mmmPKNSH_IJT9_bEEE, .Lfunc_end46-_ZN7rocprim6detail25device_scan_by_key_kernelILNS0_25lookback_scan_determinismE0ELb0ENS0_26wrapped_scan_by_key_configINS_14default_configEi6__halfEEPiN6hipcub22TransformInputIteratorIS5_NS8_6CastOpIS5_EEPS5_lEESC_S5_NS8_8EqualityENS8_3SumENS0_19lookback_scan_stateINS_5tupleIJS5_bEEELb0ELb1EEES5_EEvT2_T3_T4_T5_T6_T7_T8_mmmPKNSH_IJT9_bEEE
                                        ; -- End function
	.section	.AMDGPU.csdata,"",@progbits
; Kernel info:
; codeLenInByte = 16180
; NumSgprs: 56
; NumVgprs: 91
; ScratchSize: 0
; MemoryBound: 0
; FloatMode: 240
; IeeeMode: 1
; LDSByteSize: 6144 bytes/workgroup (compile time only)
; SGPRBlocks: 6
; VGPRBlocks: 11
; NumSGPRsForWavesPerEU: 56
; NumVGPRsForWavesPerEU: 91
; Occupancy: 11
; WaveLimiterHint : 1
; COMPUTE_PGM_RSRC2:SCRATCH_EN: 0
; COMPUTE_PGM_RSRC2:USER_SGPR: 15
; COMPUTE_PGM_RSRC2:TRAP_HANDLER: 0
; COMPUTE_PGM_RSRC2:TGID_X_EN: 1
; COMPUTE_PGM_RSRC2:TGID_Y_EN: 0
; COMPUTE_PGM_RSRC2:TGID_Z_EN: 0
; COMPUTE_PGM_RSRC2:TIDIG_COMP_CNT: 0
	.section	.text._ZN7rocprim6detail25device_scan_by_key_kernelILNS0_25lookback_scan_determinismE0ELb0ENS0_26wrapped_scan_by_key_configINS_14default_configEi6__halfEEPiN6hipcub22TransformInputIteratorIS5_NS8_6CastOpIS5_EEPS5_lEESC_S5_NS8_8EqualityENS8_3MaxENS0_19lookback_scan_stateINS_5tupleIJS5_bEEELb1ELb1EEES5_EEvT2_T3_T4_T5_T6_T7_T8_mmmPKNSH_IJT9_bEEE,"axG",@progbits,_ZN7rocprim6detail25device_scan_by_key_kernelILNS0_25lookback_scan_determinismE0ELb0ENS0_26wrapped_scan_by_key_configINS_14default_configEi6__halfEEPiN6hipcub22TransformInputIteratorIS5_NS8_6CastOpIS5_EEPS5_lEESC_S5_NS8_8EqualityENS8_3MaxENS0_19lookback_scan_stateINS_5tupleIJS5_bEEELb1ELb1EEES5_EEvT2_T3_T4_T5_T6_T7_T8_mmmPKNSH_IJT9_bEEE,comdat
	.protected	_ZN7rocprim6detail25device_scan_by_key_kernelILNS0_25lookback_scan_determinismE0ELb0ENS0_26wrapped_scan_by_key_configINS_14default_configEi6__halfEEPiN6hipcub22TransformInputIteratorIS5_NS8_6CastOpIS5_EEPS5_lEESC_S5_NS8_8EqualityENS8_3MaxENS0_19lookback_scan_stateINS_5tupleIJS5_bEEELb1ELb1EEES5_EEvT2_T3_T4_T5_T6_T7_T8_mmmPKNSH_IJT9_bEEE ; -- Begin function _ZN7rocprim6detail25device_scan_by_key_kernelILNS0_25lookback_scan_determinismE0ELb0ENS0_26wrapped_scan_by_key_configINS_14default_configEi6__halfEEPiN6hipcub22TransformInputIteratorIS5_NS8_6CastOpIS5_EEPS5_lEESC_S5_NS8_8EqualityENS8_3MaxENS0_19lookback_scan_stateINS_5tupleIJS5_bEEELb1ELb1EEES5_EEvT2_T3_T4_T5_T6_T7_T8_mmmPKNSH_IJT9_bEEE
	.globl	_ZN7rocprim6detail25device_scan_by_key_kernelILNS0_25lookback_scan_determinismE0ELb0ENS0_26wrapped_scan_by_key_configINS_14default_configEi6__halfEEPiN6hipcub22TransformInputIteratorIS5_NS8_6CastOpIS5_EEPS5_lEESC_S5_NS8_8EqualityENS8_3MaxENS0_19lookback_scan_stateINS_5tupleIJS5_bEEELb1ELb1EEES5_EEvT2_T3_T4_T5_T6_T7_T8_mmmPKNSH_IJT9_bEEE
	.p2align	8
	.type	_ZN7rocprim6detail25device_scan_by_key_kernelILNS0_25lookback_scan_determinismE0ELb0ENS0_26wrapped_scan_by_key_configINS_14default_configEi6__halfEEPiN6hipcub22TransformInputIteratorIS5_NS8_6CastOpIS5_EEPS5_lEESC_S5_NS8_8EqualityENS8_3MaxENS0_19lookback_scan_stateINS_5tupleIJS5_bEEELb1ELb1EEES5_EEvT2_T3_T4_T5_T6_T7_T8_mmmPKNSH_IJT9_bEEE,@function
_ZN7rocprim6detail25device_scan_by_key_kernelILNS0_25lookback_scan_determinismE0ELb0ENS0_26wrapped_scan_by_key_configINS_14default_configEi6__halfEEPiN6hipcub22TransformInputIteratorIS5_NS8_6CastOpIS5_EEPS5_lEESC_S5_NS8_8EqualityENS8_3MaxENS0_19lookback_scan_stateINS_5tupleIJS5_bEEELb1ELb1EEES5_EEvT2_T3_T4_T5_T6_T7_T8_mmmPKNSH_IJT9_bEEE: ; @_ZN7rocprim6detail25device_scan_by_key_kernelILNS0_25lookback_scan_determinismE0ELb0ENS0_26wrapped_scan_by_key_configINS_14default_configEi6__halfEEPiN6hipcub22TransformInputIteratorIS5_NS8_6CastOpIS5_EEPS5_lEESC_S5_NS8_8EqualityENS8_3MaxENS0_19lookback_scan_stateINS_5tupleIJS5_bEEELb1ELb1EEES5_EEvT2_T3_T4_T5_T6_T7_T8_mmmPKNSH_IJT9_bEEE
; %bb.0:
	s_endpgm
	.section	.rodata,"a",@progbits
	.p2align	6, 0x0
	.amdhsa_kernel _ZN7rocprim6detail25device_scan_by_key_kernelILNS0_25lookback_scan_determinismE0ELb0ENS0_26wrapped_scan_by_key_configINS_14default_configEi6__halfEEPiN6hipcub22TransformInputIteratorIS5_NS8_6CastOpIS5_EEPS5_lEESC_S5_NS8_8EqualityENS8_3MaxENS0_19lookback_scan_stateINS_5tupleIJS5_bEEELb1ELb1EEES5_EEvT2_T3_T4_T5_T6_T7_T8_mmmPKNSH_IJT9_bEEE
		.amdhsa_group_segment_fixed_size 0
		.amdhsa_private_segment_fixed_size 0
		.amdhsa_kernarg_size 80
		.amdhsa_user_sgpr_count 15
		.amdhsa_user_sgpr_dispatch_ptr 0
		.amdhsa_user_sgpr_queue_ptr 0
		.amdhsa_user_sgpr_kernarg_segment_ptr 1
		.amdhsa_user_sgpr_dispatch_id 0
		.amdhsa_user_sgpr_private_segment_size 0
		.amdhsa_wavefront_size32 1
		.amdhsa_uses_dynamic_stack 0
		.amdhsa_enable_private_segment 0
		.amdhsa_system_sgpr_workgroup_id_x 1
		.amdhsa_system_sgpr_workgroup_id_y 0
		.amdhsa_system_sgpr_workgroup_id_z 0
		.amdhsa_system_sgpr_workgroup_info 0
		.amdhsa_system_vgpr_workitem_id 0
		.amdhsa_next_free_vgpr 1
		.amdhsa_next_free_sgpr 1
		.amdhsa_reserve_vcc 0
		.amdhsa_float_round_mode_32 0
		.amdhsa_float_round_mode_16_64 0
		.amdhsa_float_denorm_mode_32 3
		.amdhsa_float_denorm_mode_16_64 3
		.amdhsa_dx10_clamp 1
		.amdhsa_ieee_mode 1
		.amdhsa_fp16_overflow 0
		.amdhsa_workgroup_processor_mode 1
		.amdhsa_memory_ordered 1
		.amdhsa_forward_progress 0
		.amdhsa_shared_vgpr_count 0
		.amdhsa_exception_fp_ieee_invalid_op 0
		.amdhsa_exception_fp_denorm_src 0
		.amdhsa_exception_fp_ieee_div_zero 0
		.amdhsa_exception_fp_ieee_overflow 0
		.amdhsa_exception_fp_ieee_underflow 0
		.amdhsa_exception_fp_ieee_inexact 0
		.amdhsa_exception_int_div_zero 0
	.end_amdhsa_kernel
	.section	.text._ZN7rocprim6detail25device_scan_by_key_kernelILNS0_25lookback_scan_determinismE0ELb0ENS0_26wrapped_scan_by_key_configINS_14default_configEi6__halfEEPiN6hipcub22TransformInputIteratorIS5_NS8_6CastOpIS5_EEPS5_lEESC_S5_NS8_8EqualityENS8_3MaxENS0_19lookback_scan_stateINS_5tupleIJS5_bEEELb1ELb1EEES5_EEvT2_T3_T4_T5_T6_T7_T8_mmmPKNSH_IJT9_bEEE,"axG",@progbits,_ZN7rocprim6detail25device_scan_by_key_kernelILNS0_25lookback_scan_determinismE0ELb0ENS0_26wrapped_scan_by_key_configINS_14default_configEi6__halfEEPiN6hipcub22TransformInputIteratorIS5_NS8_6CastOpIS5_EEPS5_lEESC_S5_NS8_8EqualityENS8_3MaxENS0_19lookback_scan_stateINS_5tupleIJS5_bEEELb1ELb1EEES5_EEvT2_T3_T4_T5_T6_T7_T8_mmmPKNSH_IJT9_bEEE,comdat
.Lfunc_end47:
	.size	_ZN7rocprim6detail25device_scan_by_key_kernelILNS0_25lookback_scan_determinismE0ELb0ENS0_26wrapped_scan_by_key_configINS_14default_configEi6__halfEEPiN6hipcub22TransformInputIteratorIS5_NS8_6CastOpIS5_EEPS5_lEESC_S5_NS8_8EqualityENS8_3MaxENS0_19lookback_scan_stateINS_5tupleIJS5_bEEELb1ELb1EEES5_EEvT2_T3_T4_T5_T6_T7_T8_mmmPKNSH_IJT9_bEEE, .Lfunc_end47-_ZN7rocprim6detail25device_scan_by_key_kernelILNS0_25lookback_scan_determinismE0ELb0ENS0_26wrapped_scan_by_key_configINS_14default_configEi6__halfEEPiN6hipcub22TransformInputIteratorIS5_NS8_6CastOpIS5_EEPS5_lEESC_S5_NS8_8EqualityENS8_3MaxENS0_19lookback_scan_stateINS_5tupleIJS5_bEEELb1ELb1EEES5_EEvT2_T3_T4_T5_T6_T7_T8_mmmPKNSH_IJT9_bEEE
                                        ; -- End function
	.section	.AMDGPU.csdata,"",@progbits
; Kernel info:
; codeLenInByte = 4
; NumSgprs: 0
; NumVgprs: 0
; ScratchSize: 0
; MemoryBound: 0
; FloatMode: 240
; IeeeMode: 1
; LDSByteSize: 0 bytes/workgroup (compile time only)
; SGPRBlocks: 0
; VGPRBlocks: 0
; NumSGPRsForWavesPerEU: 1
; NumVGPRsForWavesPerEU: 1
; Occupancy: 16
; WaveLimiterHint : 0
; COMPUTE_PGM_RSRC2:SCRATCH_EN: 0
; COMPUTE_PGM_RSRC2:USER_SGPR: 15
; COMPUTE_PGM_RSRC2:TRAP_HANDLER: 0
; COMPUTE_PGM_RSRC2:TGID_X_EN: 1
; COMPUTE_PGM_RSRC2:TGID_Y_EN: 0
; COMPUTE_PGM_RSRC2:TGID_Z_EN: 0
; COMPUTE_PGM_RSRC2:TIDIG_COMP_CNT: 0
	.section	.text._ZN7rocprim6detail25device_scan_by_key_kernelILNS0_25lookback_scan_determinismE0ELb0ENS0_26wrapped_scan_by_key_configINS_14default_configEi6__halfEEPiN6hipcub22TransformInputIteratorIS5_NS8_6CastOpIS5_EEPS5_lEESC_S5_NS8_8EqualityENS8_3MaxENS0_19lookback_scan_stateINS_5tupleIJS5_bEEELb0ELb1EEES5_EEvT2_T3_T4_T5_T6_T7_T8_mmmPKNSH_IJT9_bEEE,"axG",@progbits,_ZN7rocprim6detail25device_scan_by_key_kernelILNS0_25lookback_scan_determinismE0ELb0ENS0_26wrapped_scan_by_key_configINS_14default_configEi6__halfEEPiN6hipcub22TransformInputIteratorIS5_NS8_6CastOpIS5_EEPS5_lEESC_S5_NS8_8EqualityENS8_3MaxENS0_19lookback_scan_stateINS_5tupleIJS5_bEEELb0ELb1EEES5_EEvT2_T3_T4_T5_T6_T7_T8_mmmPKNSH_IJT9_bEEE,comdat
	.protected	_ZN7rocprim6detail25device_scan_by_key_kernelILNS0_25lookback_scan_determinismE0ELb0ENS0_26wrapped_scan_by_key_configINS_14default_configEi6__halfEEPiN6hipcub22TransformInputIteratorIS5_NS8_6CastOpIS5_EEPS5_lEESC_S5_NS8_8EqualityENS8_3MaxENS0_19lookback_scan_stateINS_5tupleIJS5_bEEELb0ELb1EEES5_EEvT2_T3_T4_T5_T6_T7_T8_mmmPKNSH_IJT9_bEEE ; -- Begin function _ZN7rocprim6detail25device_scan_by_key_kernelILNS0_25lookback_scan_determinismE0ELb0ENS0_26wrapped_scan_by_key_configINS_14default_configEi6__halfEEPiN6hipcub22TransformInputIteratorIS5_NS8_6CastOpIS5_EEPS5_lEESC_S5_NS8_8EqualityENS8_3MaxENS0_19lookback_scan_stateINS_5tupleIJS5_bEEELb0ELb1EEES5_EEvT2_T3_T4_T5_T6_T7_T8_mmmPKNSH_IJT9_bEEE
	.globl	_ZN7rocprim6detail25device_scan_by_key_kernelILNS0_25lookback_scan_determinismE0ELb0ENS0_26wrapped_scan_by_key_configINS_14default_configEi6__halfEEPiN6hipcub22TransformInputIteratorIS5_NS8_6CastOpIS5_EEPS5_lEESC_S5_NS8_8EqualityENS8_3MaxENS0_19lookback_scan_stateINS_5tupleIJS5_bEEELb0ELb1EEES5_EEvT2_T3_T4_T5_T6_T7_T8_mmmPKNSH_IJT9_bEEE
	.p2align	8
	.type	_ZN7rocprim6detail25device_scan_by_key_kernelILNS0_25lookback_scan_determinismE0ELb0ENS0_26wrapped_scan_by_key_configINS_14default_configEi6__halfEEPiN6hipcub22TransformInputIteratorIS5_NS8_6CastOpIS5_EEPS5_lEESC_S5_NS8_8EqualityENS8_3MaxENS0_19lookback_scan_stateINS_5tupleIJS5_bEEELb0ELb1EEES5_EEvT2_T3_T4_T5_T6_T7_T8_mmmPKNSH_IJT9_bEEE,@function
_ZN7rocprim6detail25device_scan_by_key_kernelILNS0_25lookback_scan_determinismE0ELb0ENS0_26wrapped_scan_by_key_configINS_14default_configEi6__halfEEPiN6hipcub22TransformInputIteratorIS5_NS8_6CastOpIS5_EEPS5_lEESC_S5_NS8_8EqualityENS8_3MaxENS0_19lookback_scan_stateINS_5tupleIJS5_bEEELb0ELb1EEES5_EEvT2_T3_T4_T5_T6_T7_T8_mmmPKNSH_IJT9_bEEE: ; @_ZN7rocprim6detail25device_scan_by_key_kernelILNS0_25lookback_scan_determinismE0ELb0ENS0_26wrapped_scan_by_key_configINS_14default_configEi6__halfEEPiN6hipcub22TransformInputIteratorIS5_NS8_6CastOpIS5_EEPS5_lEESC_S5_NS8_8EqualityENS8_3MaxENS0_19lookback_scan_stateINS_5tupleIJS5_bEEELb0ELb1EEES5_EEvT2_T3_T4_T5_T6_T7_T8_mmmPKNSH_IJT9_bEEE
; %bb.0:
	s_clause 0x1
	s_load_b128 s[4:7], s[0:1], 0x0
	s_load_b256 s[36:43], s[0:1], 0x28
	s_mov_b32 s3, 0
	s_mul_i32 s2, s15, 0x580
	s_load_b64 s[30:31], s[0:1], 0x48
	s_lshl_b64 s[8:9], s[2:3], 2
	v_lshlrev_b32_e32 v55, 2, v0
	s_waitcnt lgkmcnt(0)
	s_add_u32 s34, s4, s8
	s_addc_u32 s35, s5, s9
	s_lshl_b64 s[28:29], s[2:3], 1
	s_delay_alu instid0(SALU_CYCLE_1)
	s_add_u32 s26, s6, s28
	s_addc_u32 s27, s7, s29
	s_add_u32 s4, s15, s40
	s_addc_u32 s5, 0, s41
	s_add_u32 s6, s42, -1
	s_addc_u32 s7, s43, -1
	s_mul_i32 s33, s6, 0xfffffa80
	v_cmp_ge_u64_e64 s39, s[4:5], s[6:7]
	s_delay_alu instid0(VALU_DEP_1)
	s_and_b32 vcc_lo, exec_lo, s39
	s_cbranch_vccz .LBB48_114
; %bb.1:
	s_load_b32 s24, s[34:35], 0x0
	s_add_i32 s25, s33, s38
	v_add_co_u32 v1, s2, s34, v55
	s_delay_alu instid0(VALU_DEP_1)
	v_add_co_ci_u32_e64 v2, null, s35, 0, s2
	v_cmp_gt_u32_e32 vcc_lo, s25, v0
	s_waitcnt lgkmcnt(0)
	v_mov_b32_e32 v3, s24
	s_and_saveexec_b32 s2, vcc_lo
	s_cbranch_execz .LBB48_3
; %bb.2:
	global_load_b32 v3, v[1:2], off
.LBB48_3:
	s_or_b32 exec_lo, exec_lo, s2
	v_or_b32_e32 v4, 64, v0
	s_delay_alu instid0(VALU_DEP_1) | instskip(SKIP_1) | instid1(VALU_DEP_2)
	v_cmp_gt_u32_e64 s2, s25, v4
	v_mov_b32_e32 v4, s24
	s_and_saveexec_b32 s3, s2
	s_cbranch_execz .LBB48_5
; %bb.4:
	global_load_b32 v4, v[1:2], off offset:256
.LBB48_5:
	s_or_b32 exec_lo, exec_lo, s3
	v_or_b32_e32 v5, 0x80, v0
	s_delay_alu instid0(VALU_DEP_1) | instskip(SKIP_1) | instid1(VALU_DEP_2)
	v_cmp_gt_u32_e64 s3, s25, v5
	v_mov_b32_e32 v5, s24
	s_and_saveexec_b32 s4, s3
	s_cbranch_execz .LBB48_7
; %bb.6:
	global_load_b32 v5, v[1:2], off offset:512
.LBB48_7:
	s_or_b32 exec_lo, exec_lo, s4
	v_or_b32_e32 v6, 0xc0, v0
	s_delay_alu instid0(VALU_DEP_1) | instskip(SKIP_1) | instid1(VALU_DEP_2)
	v_cmp_gt_u32_e64 s4, s25, v6
	v_mov_b32_e32 v6, s24
	s_and_saveexec_b32 s5, s4
	s_cbranch_execz .LBB48_9
; %bb.8:
	global_load_b32 v6, v[1:2], off offset:768
.LBB48_9:
	s_or_b32 exec_lo, exec_lo, s5
	v_or_b32_e32 v7, 0x100, v0
	s_delay_alu instid0(VALU_DEP_1) | instskip(SKIP_1) | instid1(VALU_DEP_2)
	v_cmp_gt_u32_e64 s5, s25, v7
	v_mov_b32_e32 v7, s24
	s_and_saveexec_b32 s6, s5
	s_cbranch_execz .LBB48_11
; %bb.10:
	global_load_b32 v7, v[1:2], off offset:1024
.LBB48_11:
	s_or_b32 exec_lo, exec_lo, s6
	v_or_b32_e32 v8, 0x140, v0
	s_delay_alu instid0(VALU_DEP_1) | instskip(SKIP_1) | instid1(VALU_DEP_2)
	v_cmp_gt_u32_e64 s6, s25, v8
	v_mov_b32_e32 v8, s24
	s_and_saveexec_b32 s7, s6
	s_cbranch_execz .LBB48_13
; %bb.12:
	global_load_b32 v8, v[1:2], off offset:1280
.LBB48_13:
	s_or_b32 exec_lo, exec_lo, s7
	v_or_b32_e32 v9, 0x180, v0
	s_delay_alu instid0(VALU_DEP_1) | instskip(SKIP_1) | instid1(VALU_DEP_2)
	v_cmp_gt_u32_e64 s7, s25, v9
	v_mov_b32_e32 v9, s24
	s_and_saveexec_b32 s8, s7
	s_cbranch_execz .LBB48_15
; %bb.14:
	global_load_b32 v9, v[1:2], off offset:1536
.LBB48_15:
	s_or_b32 exec_lo, exec_lo, s8
	v_or_b32_e32 v10, 0x1c0, v0
	s_delay_alu instid0(VALU_DEP_1) | instskip(SKIP_1) | instid1(VALU_DEP_2)
	v_cmp_gt_u32_e64 s8, s25, v10
	v_mov_b32_e32 v10, s24
	s_and_saveexec_b32 s9, s8
	s_cbranch_execz .LBB48_17
; %bb.16:
	global_load_b32 v10, v[1:2], off offset:1792
.LBB48_17:
	s_or_b32 exec_lo, exec_lo, s9
	v_or_b32_e32 v11, 0x200, v0
	s_delay_alu instid0(VALU_DEP_1) | instskip(SKIP_1) | instid1(VALU_DEP_2)
	v_cmp_gt_u32_e64 s9, s25, v11
	v_mov_b32_e32 v11, s24
	s_and_saveexec_b32 s10, s9
	s_cbranch_execz .LBB48_19
; %bb.18:
	global_load_b32 v11, v[1:2], off offset:2048
.LBB48_19:
	s_or_b32 exec_lo, exec_lo, s10
	v_or_b32_e32 v12, 0x240, v0
	s_delay_alu instid0(VALU_DEP_1) | instskip(SKIP_1) | instid1(VALU_DEP_2)
	v_cmp_gt_u32_e64 s10, s25, v12
	v_mov_b32_e32 v12, s24
	s_and_saveexec_b32 s11, s10
	s_cbranch_execz .LBB48_21
; %bb.20:
	global_load_b32 v12, v[1:2], off offset:2304
.LBB48_21:
	s_or_b32 exec_lo, exec_lo, s11
	v_or_b32_e32 v13, 0x280, v0
	s_delay_alu instid0(VALU_DEP_1) | instskip(SKIP_1) | instid1(VALU_DEP_2)
	v_cmp_gt_u32_e64 s11, s25, v13
	v_mov_b32_e32 v13, s24
	s_and_saveexec_b32 s12, s11
	s_cbranch_execz .LBB48_23
; %bb.22:
	global_load_b32 v13, v[1:2], off offset:2560
.LBB48_23:
	s_or_b32 exec_lo, exec_lo, s12
	v_or_b32_e32 v14, 0x2c0, v0
	s_delay_alu instid0(VALU_DEP_1) | instskip(SKIP_1) | instid1(VALU_DEP_2)
	v_cmp_gt_u32_e64 s12, s25, v14
	v_mov_b32_e32 v14, s24
	s_and_saveexec_b32 s13, s12
	s_cbranch_execz .LBB48_25
; %bb.24:
	global_load_b32 v14, v[1:2], off offset:2816
.LBB48_25:
	s_or_b32 exec_lo, exec_lo, s13
	v_or_b32_e32 v15, 0x300, v0
	s_delay_alu instid0(VALU_DEP_1) | instskip(SKIP_1) | instid1(VALU_DEP_2)
	v_cmp_gt_u32_e64 s13, s25, v15
	v_mov_b32_e32 v15, s24
	s_and_saveexec_b32 s14, s13
	s_cbranch_execz .LBB48_27
; %bb.26:
	global_load_b32 v15, v[1:2], off offset:3072
.LBB48_27:
	s_or_b32 exec_lo, exec_lo, s14
	v_or_b32_e32 v16, 0x340, v0
	s_delay_alu instid0(VALU_DEP_1) | instskip(SKIP_1) | instid1(VALU_DEP_2)
	v_cmp_gt_u32_e64 s14, s25, v16
	v_mov_b32_e32 v16, s24
	s_and_saveexec_b32 s16, s14
	s_cbranch_execz .LBB48_29
; %bb.28:
	global_load_b32 v16, v[1:2], off offset:3328
.LBB48_29:
	s_or_b32 exec_lo, exec_lo, s16
	v_or_b32_e32 v17, 0x380, v0
	s_delay_alu instid0(VALU_DEP_1) | instskip(SKIP_1) | instid1(VALU_DEP_2)
	v_cmp_gt_u32_e64 s16, s25, v17
	v_mov_b32_e32 v17, s24
	s_and_saveexec_b32 s17, s16
	s_cbranch_execz .LBB48_31
; %bb.30:
	global_load_b32 v17, v[1:2], off offset:3584
.LBB48_31:
	s_or_b32 exec_lo, exec_lo, s17
	v_or_b32_e32 v18, 0x3c0, v0
	s_delay_alu instid0(VALU_DEP_1) | instskip(SKIP_1) | instid1(VALU_DEP_2)
	v_cmp_gt_u32_e64 s17, s25, v18
	v_mov_b32_e32 v18, s24
	s_and_saveexec_b32 s18, s17
	s_cbranch_execz .LBB48_33
; %bb.32:
	global_load_b32 v18, v[1:2], off offset:3840
.LBB48_33:
	s_or_b32 exec_lo, exec_lo, s18
	v_or_b32_e32 v19, 0x400, v0
	s_delay_alu instid0(VALU_DEP_1) | instskip(SKIP_1) | instid1(VALU_DEP_2)
	v_cmp_gt_u32_e64 s18, s25, v19
	v_mov_b32_e32 v19, s24
	s_and_saveexec_b32 s20, s18
	s_cbranch_execz .LBB48_35
; %bb.34:
	v_add_co_u32 v19, s19, 0x1000, v1
	s_delay_alu instid0(VALU_DEP_1)
	v_add_co_ci_u32_e64 v20, s19, 0, v2, s19
	global_load_b32 v19, v[19:20], off
.LBB48_35:
	s_or_b32 exec_lo, exec_lo, s20
	v_or_b32_e32 v20, 0x440, v0
	s_delay_alu instid0(VALU_DEP_1) | instskip(SKIP_1) | instid1(VALU_DEP_2)
	v_cmp_gt_u32_e64 s19, s25, v20
	v_mov_b32_e32 v20, s24
	s_and_saveexec_b32 s21, s19
	s_cbranch_execz .LBB48_37
; %bb.36:
	v_add_co_u32 v20, s20, 0x1000, v1
	s_delay_alu instid0(VALU_DEP_1)
	v_add_co_ci_u32_e64 v21, s20, 0, v2, s20
	global_load_b32 v20, v[20:21], off offset:256
.LBB48_37:
	s_or_b32 exec_lo, exec_lo, s21
	v_or_b32_e32 v21, 0x480, v0
	s_delay_alu instid0(VALU_DEP_1) | instskip(SKIP_1) | instid1(VALU_DEP_2)
	v_cmp_gt_u32_e64 s20, s25, v21
	v_mov_b32_e32 v21, s24
	s_and_saveexec_b32 s22, s20
	s_cbranch_execz .LBB48_39
; %bb.38:
	v_add_co_u32 v21, s21, 0x1000, v1
	s_delay_alu instid0(VALU_DEP_1)
	v_add_co_ci_u32_e64 v22, s21, 0, v2, s21
	global_load_b32 v21, v[21:22], off offset:512
.LBB48_39:
	;; [unrolled: 13-line block ×5, first 2 shown]
	s_or_b32 exec_lo, exec_lo, s42
	s_sub_u32 s42, 0, s15
	s_subb_u32 s43, 0, 0
	s_waitcnt vmcnt(0)
	ds_store_2addr_stride64_b32 v55, v3, v4 offset1:1
	ds_store_2addr_stride64_b32 v55, v5, v6 offset0:2 offset1:3
	ds_store_2addr_stride64_b32 v55, v7, v8 offset0:4 offset1:5
	ds_store_2addr_stride64_b32 v55, v9, v10 offset0:6 offset1:7
	ds_store_2addr_stride64_b32 v55, v11, v12 offset0:8 offset1:9
	ds_store_2addr_stride64_b32 v55, v13, v14 offset0:10 offset1:11
	ds_store_2addr_stride64_b32 v55, v15, v16 offset0:12 offset1:13
	ds_store_2addr_stride64_b32 v55, v17, v18 offset0:14 offset1:15
	ds_store_2addr_stride64_b32 v55, v19, v20 offset0:16 offset1:17
	ds_store_2addr_stride64_b32 v55, v21, v22 offset0:18 offset1:19
	ds_store_2addr_stride64_b32 v55, v23, v24 offset0:20 offset1:21
	s_cmp_eq_u64 s[42:43], s[40:41]
	s_waitcnt lgkmcnt(0)
	s_cselect_b32 s24, 0, -4
	s_cselect_b32 s43, 0, -1
	s_add_u32 s42, s34, s24
	s_addc_u32 s43, s35, s43
	s_barrier
	buffer_gl0_inv
	s_load_b32 s42, s[42:43], 0x0
	v_mad_u32_u24 v1, 0x54, v0, v55
	ds_load_2addr_b64 v[9:12], v1 offset0:8 offset1:9
	ds_load_b64 v[30:31], v1 offset:80
	ds_load_2addr_b64 v[25:28], v1 offset1:1
	ds_load_2addr_b64 v[21:24], v1 offset0:2 offset1:3
	ds_load_2addr_b64 v[17:20], v1 offset0:4 offset1:5
	;; [unrolled: 1-line block ×3, first 2 shown]
	v_mad_i32_i24 v4, 0xffffffac, v0, v1
	s_waitcnt lgkmcnt(0)
	v_mov_b32_e32 v3, s42
	s_mov_b32 s42, exec_lo
	ds_store_b32 v4, v31 offset:5632
	s_waitcnt lgkmcnt(0)
	s_barrier
	buffer_gl0_inv
	v_cmpx_ne_u32_e32 0, v0
	s_cbranch_execz .LBB48_47
; %bb.46:
	ds_load_b32 v3, v4 offset:5628
.LBB48_47:
	s_or_b32 exec_lo, exec_lo, s42
	v_lshlrev_b32_e32 v5, 1, v0
	s_waitcnt lgkmcnt(0)
	s_barrier
	buffer_gl0_inv
                                        ; implicit-def: $vgpr6
	v_add_co_u32 v1, s24, s26, v5
	s_delay_alu instid0(VALU_DEP_1)
	v_add_co_ci_u32_e64 v2, null, s27, 0, s24
	s_and_saveexec_b32 s24, vcc_lo
	s_cbranch_execz .LBB48_183
; %bb.48:
	global_load_u16 v6, v[1:2], off
	s_or_b32 exec_lo, exec_lo, s24
                                        ; implicit-def: $vgpr7
	s_and_saveexec_b32 s24, s2
	s_cbranch_execnz .LBB48_184
.LBB48_49:
	s_or_b32 exec_lo, exec_lo, s24
                                        ; implicit-def: $vgpr8
	s_and_saveexec_b32 s2, s3
	s_cbranch_execz .LBB48_185
.LBB48_50:
	global_load_u16 v8, v[1:2], off offset:256
	s_or_b32 exec_lo, exec_lo, s2
                                        ; implicit-def: $vgpr29
	s_and_saveexec_b32 s2, s4
	s_cbranch_execnz .LBB48_186
.LBB48_51:
	s_or_b32 exec_lo, exec_lo, s2
                                        ; implicit-def: $vgpr32
	s_and_saveexec_b32 s2, s5
	s_cbranch_execz .LBB48_187
.LBB48_52:
	global_load_u16 v32, v[1:2], off offset:512
	s_or_b32 exec_lo, exec_lo, s2
                                        ; implicit-def: $vgpr33
	s_and_saveexec_b32 s2, s6
	s_cbranch_execnz .LBB48_188
.LBB48_53:
	s_or_b32 exec_lo, exec_lo, s2
                                        ; implicit-def: $vgpr34
	s_and_saveexec_b32 s2, s7
	s_cbranch_execz .LBB48_189
.LBB48_54:
	global_load_u16 v34, v[1:2], off offset:768
	s_or_b32 exec_lo, exec_lo, s2
                                        ; implicit-def: $vgpr35
	s_and_saveexec_b32 s2, s8
	s_cbranch_execnz .LBB48_190
.LBB48_55:
	s_or_b32 exec_lo, exec_lo, s2
                                        ; implicit-def: $vgpr36
	s_and_saveexec_b32 s2, s9
	s_cbranch_execz .LBB48_191
.LBB48_56:
	global_load_u16 v36, v[1:2], off offset:1024
	s_or_b32 exec_lo, exec_lo, s2
                                        ; implicit-def: $vgpr37
	s_and_saveexec_b32 s2, s10
	s_cbranch_execnz .LBB48_192
.LBB48_57:
	s_or_b32 exec_lo, exec_lo, s2
                                        ; implicit-def: $vgpr38
	s_and_saveexec_b32 s2, s11
	s_cbranch_execz .LBB48_193
.LBB48_58:
	global_load_u16 v38, v[1:2], off offset:1280
	s_or_b32 exec_lo, exec_lo, s2
                                        ; implicit-def: $vgpr39
	s_and_saveexec_b32 s2, s12
	s_cbranch_execnz .LBB48_194
.LBB48_59:
	s_or_b32 exec_lo, exec_lo, s2
                                        ; implicit-def: $vgpr40
	s_and_saveexec_b32 s2, s13
	s_cbranch_execz .LBB48_195
.LBB48_60:
	global_load_u16 v40, v[1:2], off offset:1536
	s_or_b32 exec_lo, exec_lo, s2
                                        ; implicit-def: $vgpr41
	s_and_saveexec_b32 s2, s14
	s_cbranch_execnz .LBB48_196
.LBB48_61:
	s_or_b32 exec_lo, exec_lo, s2
                                        ; implicit-def: $vgpr42
	s_and_saveexec_b32 s2, s16
	s_cbranch_execz .LBB48_197
.LBB48_62:
	global_load_u16 v42, v[1:2], off offset:1792
	s_or_b32 exec_lo, exec_lo, s2
                                        ; implicit-def: $vgpr43
	s_and_saveexec_b32 s2, s17
	s_cbranch_execnz .LBB48_198
.LBB48_63:
	s_or_b32 exec_lo, exec_lo, s2
                                        ; implicit-def: $vgpr44
	s_and_saveexec_b32 s2, s18
	s_cbranch_execz .LBB48_199
.LBB48_64:
	global_load_u16 v44, v[1:2], off offset:2048
	s_or_b32 exec_lo, exec_lo, s2
                                        ; implicit-def: $vgpr45
	s_and_saveexec_b32 s2, s19
	s_cbranch_execnz .LBB48_200
.LBB48_65:
	s_or_b32 exec_lo, exec_lo, s2
                                        ; implicit-def: $vgpr46
	s_and_saveexec_b32 s2, s20
	s_cbranch_execz .LBB48_201
.LBB48_66:
	global_load_u16 v46, v[1:2], off offset:2304
	s_or_b32 exec_lo, exec_lo, s2
                                        ; implicit-def: $vgpr47
	s_and_saveexec_b32 s2, s21
	s_cbranch_execnz .LBB48_202
.LBB48_67:
	s_or_b32 exec_lo, exec_lo, s2
                                        ; implicit-def: $vgpr48
	s_and_saveexec_b32 s2, s22
	s_cbranch_execz .LBB48_69
.LBB48_68:
	global_load_u16 v48, v[1:2], off offset:2560
.LBB48_69:
	s_or_b32 exec_lo, exec_lo, s2
	v_mul_u32_u24_e32 v66, 22, v0
                                        ; implicit-def: $vgpr49
	s_and_saveexec_b32 s2, s23
	s_cbranch_execz .LBB48_71
; %bb.70:
	global_load_u16 v49, v[1:2], off offset:2688
.LBB48_71:
	s_or_b32 exec_lo, exec_lo, s2
	v_sub_nc_u32_e32 v1, v4, v5
	v_cmp_gt_u32_e32 vcc_lo, s25, v66
	v_dual_mov_b32 v54, 0 :: v_dual_mov_b32 v57, 0
	v_dual_mov_b32 v56, 0 :: v_dual_mov_b32 v59, 0
	s_waitcnt vmcnt(0)
	ds_store_b16 v1, v6
	ds_store_b16 v1, v7 offset:128
	ds_store_b16 v1, v8 offset:256
	;; [unrolled: 1-line block ×21, first 2 shown]
	v_dual_mov_b32 v34, 0 :: v_dual_mov_b32 v33, 0
	v_dual_mov_b32 v32, 0 :: v_dual_mov_b32 v49, 0
	;; [unrolled: 1-line block ×13, first 2 shown]
	v_mov_b32_e32 v40, 0
	v_mov_b32_e32 v42, 0
	s_mov_b32 s3, 0
	s_mov_b32 s4, 0
	s_waitcnt lgkmcnt(0)
	s_barrier
	buffer_gl0_inv
                                        ; implicit-def: $sgpr6
                                        ; implicit-def: $vgpr29
                                        ; implicit-def: $vgpr8
                                        ; implicit-def: $vgpr4
                                        ; implicit-def: $vgpr65
	s_and_saveexec_b32 s5, vcc_lo
	s_cbranch_execz .LBB48_113
; %bb.72:
	v_mad_u32_u24 v2, v0, 42, v1
	v_or_b32_e32 v4, 1, v66
	v_cmp_ne_u32_e32 vcc_lo, v3, v25
	v_dual_mov_b32 v34, 0 :: v_dual_mov_b32 v49, 0
	ds_load_u16 v32, v2
	v_dual_mov_b32 v58, 0 :: v_dual_mov_b32 v57, 0
	v_cndmask_b32_e64 v33, 0, 1, vcc_lo
	v_cmp_gt_u32_e32 vcc_lo, s25, v4
	v_dual_mov_b32 v54, 0 :: v_dual_mov_b32 v59, 0
	v_dual_mov_b32 v56, 0 :: v_dual_mov_b32 v61, 0
	;; [unrolled: 1-line block ×12, first 2 shown]
	v_mov_b32_e32 v40, 0
	v_mov_b32_e32 v42, 0
	s_mov_b32 s2, 0
                                        ; implicit-def: $sgpr7
                                        ; implicit-def: $vgpr29
                                        ; implicit-def: $vgpr8
                                        ; implicit-def: $vgpr4
                                        ; implicit-def: $vgpr65
	s_and_saveexec_b32 s6, vcc_lo
	s_cbranch_execz .LBB48_112
; %bb.73:
	v_mul_u32_u24_e32 v2, 42, v0
	v_cmp_ne_u32_e32 vcc_lo, v25, v26
	v_dual_mov_b32 v34, 0 :: v_dual_add_nc_u32 v5, 2, v66
	v_dual_mov_b32 v49, 0 :: v_dual_mov_b32 v54, 0
	s_delay_alu instid0(VALU_DEP_4)
	v_dual_mov_b32 v58, 0 :: v_dual_add_nc_u32 v25, v1, v2
	v_cndmask_b32_e64 v35, 0, 1, vcc_lo
	v_dual_mov_b32 v56, 0 :: v_dual_mov_b32 v57, 0
	ds_load_b128 v[1:4], v25 offset:2
	v_dual_mov_b32 v59, 0 :: v_dual_mov_b32 v60, 0
	v_dual_mov_b32 v61, 0 :: v_dual_mov_b32 v62, 0
	;; [unrolled: 1-line block ×9, first 2 shown]
	s_waitcnt lgkmcnt(0)
	v_dual_mov_b32 v43, 0 :: v_dual_and_b32 v64, 0xffff, v1
	v_dual_mov_b32 v40, 0 :: v_dual_mov_b32 v41, 0
	v_mov_b32_e32 v42, 0
	s_mov_b32 s7, exec_lo
                                        ; implicit-def: $sgpr8
                                        ; implicit-def: $vgpr29
                                        ; implicit-def: $vgpr8
                                        ; implicit-def: $vgpr65
	v_cmpx_gt_u32_e64 s25, v5
	s_cbranch_execz .LBB48_111
; %bb.74:
	v_dual_mov_b32 v34, 0 :: v_dual_add_nc_u32 v5, 3, v66
	v_cmp_ne_u32_e32 vcc_lo, v26, v27
	v_dual_mov_b32 v58, 0 :: v_dual_mov_b32 v49, 0
	v_dual_mov_b32 v54, 0 :: v_dual_mov_b32 v57, 0
	v_cndmask_b32_e64 v36, 0, 1, vcc_lo
	v_cmp_gt_u32_e32 vcc_lo, s25, v5
	v_dual_mov_b32 v56, 0 :: v_dual_mov_b32 v59, 0
	v_dual_mov_b32 v60, 0 :: v_dual_mov_b32 v61, 0
	v_dual_mov_b32 v63, 0 :: v_dual_mov_b32 v62, 0
	v_dual_mov_b32 v53, 0 :: v_dual_mov_b32 v52, 0
	v_dual_mov_b32 v51, 0 :: v_dual_mov_b32 v50, 0
	v_dual_mov_b32 v37, 0 :: v_dual_mov_b32 v48, 0
	v_dual_mov_b32 v47, 0 :: v_dual_mov_b32 v38, 0
	v_dual_mov_b32 v46, 0 :: v_dual_mov_b32 v45, 0
	v_dual_mov_b32 v39, 0 :: v_dual_mov_b32 v44, 0
	v_dual_mov_b32 v43, 0 :: v_dual_mov_b32 v40, 0
	v_dual_mov_b32 v42, 0 :: v_dual_mov_b32 v41, 0
	s_mov_b32 s10, 0
                                        ; implicit-def: $sgpr3
                                        ; implicit-def: $vgpr29
                                        ; implicit-def: $vgpr8
                                        ; implicit-def: $vgpr65
	s_and_saveexec_b32 s8, vcc_lo
	s_cbranch_execz .LBB48_110
; %bb.75:
	v_dual_mov_b32 v34, 0 :: v_dual_add_nc_u32 v5, 4, v66
	v_cmp_ne_u32_e32 vcc_lo, v27, v28
	v_dual_mov_b32 v58, 0 :: v_dual_and_b32 v63, 0xffff, v2
	v_dual_mov_b32 v49, 0 :: v_dual_mov_b32 v54, 0
	v_cndmask_b32_e64 v37, 0, 1, vcc_lo
	v_cmp_gt_u32_e32 vcc_lo, s25, v5
	v_dual_mov_b32 v56, 0 :: v_dual_mov_b32 v57, 0
	v_dual_mov_b32 v59, 0 :: v_dual_mov_b32 v60, 0
	v_dual_mov_b32 v61, 0 :: v_dual_mov_b32 v62, 0
	v_dual_mov_b32 v53, 0 :: v_dual_mov_b32 v52, 0
	v_dual_mov_b32 v51, 0 :: v_dual_mov_b32 v50, 0
	v_dual_mov_b32 v48, 0 :: v_dual_mov_b32 v47, 0
	v_dual_mov_b32 v38, 0 :: v_dual_mov_b32 v45, 0
	v_dual_mov_b32 v46, 0 :: v_dual_mov_b32 v39, 0
	v_dual_mov_b32 v44, 0 :: v_dual_mov_b32 v43, 0
	v_dual_mov_b32 v40, 0 :: v_dual_mov_b32 v41, 0
	v_mov_b32_e32 v42, 0
                                        ; implicit-def: $sgpr3
                                        ; implicit-def: $vgpr29
                                        ; implicit-def: $vgpr8
                                        ; implicit-def: $vgpr65
	s_and_saveexec_b32 s9, vcc_lo
	s_cbranch_execz .LBB48_109
; %bb.76:
	v_dual_mov_b32 v34, 0 :: v_dual_add_nc_u32 v5, 5, v66
	v_cmp_ne_u32_e32 vcc_lo, v28, v21
	v_dual_mov_b32 v58, 0 :: v_dual_mov_b32 v49, 0
	v_dual_mov_b32 v54, 0 :: v_dual_mov_b32 v57, 0
	v_cndmask_b32_e64 v38, 0, 1, vcc_lo
	v_cmp_gt_u32_e32 vcc_lo, s25, v5
	v_dual_mov_b32 v56, 0 :: v_dual_mov_b32 v59, 0
	v_dual_mov_b32 v60, 0 :: v_dual_mov_b32 v61, 0
	;; [unrolled: 1-line block ×9, first 2 shown]
	v_mov_b32_e32 v42, 0
	s_mov_b32 s12, 0
                                        ; implicit-def: $sgpr3
                                        ; implicit-def: $vgpr29
                                        ; implicit-def: $vgpr8
                                        ; implicit-def: $vgpr65
	s_and_saveexec_b32 s10, vcc_lo
	s_cbranch_execz .LBB48_108
; %bb.77:
	v_dual_mov_b32 v34, 0 :: v_dual_add_nc_u32 v5, 6, v66
	v_cmp_ne_u32_e32 vcc_lo, v21, v22
	v_dual_mov_b32 v58, 0 :: v_dual_and_b32 v61, 0xffff, v3
	v_dual_mov_b32 v49, 0 :: v_dual_mov_b32 v54, 0
	v_cndmask_b32_e64 v39, 0, 1, vcc_lo
	v_cmp_gt_u32_e32 vcc_lo, s25, v5
	v_dual_mov_b32 v56, 0 :: v_dual_mov_b32 v57, 0
	v_dual_mov_b32 v59, 0 :: v_dual_mov_b32 v60, 0
	;; [unrolled: 1-line block ×8, first 2 shown]
	v_mov_b32_e32 v40, 0
	v_mov_b32_e32 v42, 0
                                        ; implicit-def: $sgpr3
                                        ; implicit-def: $vgpr29
                                        ; implicit-def: $vgpr8
                                        ; implicit-def: $vgpr65
	s_and_saveexec_b32 s11, vcc_lo
	s_cbranch_execz .LBB48_107
; %bb.78:
	v_dual_mov_b32 v34, 0 :: v_dual_add_nc_u32 v5, 7, v66
	v_cmp_ne_u32_e32 vcc_lo, v22, v23
	v_dual_mov_b32 v58, 0 :: v_dual_mov_b32 v49, 0
	v_dual_mov_b32 v54, 0 :: v_dual_mov_b32 v57, 0
	v_cndmask_b32_e64 v40, 0, 1, vcc_lo
	v_cmp_gt_u32_e32 vcc_lo, s25, v5
	v_dual_mov_b32 v56, 0 :: v_dual_mov_b32 v59, 0
	v_dual_mov_b32 v60, 0 :: v_dual_mov_b32 v53, 0
	;; [unrolled: 1-line block ×7, first 2 shown]
	v_mov_b32_e32 v44, 0
	v_mov_b32_e32 v42, 0
	s_mov_b32 s14, 0
                                        ; implicit-def: $sgpr3
                                        ; implicit-def: $vgpr29
                                        ; implicit-def: $vgpr8
                                        ; implicit-def: $vgpr65
	s_and_saveexec_b32 s12, vcc_lo
	s_cbranch_execz .LBB48_106
; %bb.79:
	v_dual_mov_b32 v34, 0 :: v_dual_add_nc_u32 v5, 8, v66
	v_cmp_ne_u32_e32 vcc_lo, v23, v24
	v_dual_mov_b32 v49, 0 :: v_dual_and_b32 v60, 0xffff, v4
	v_dual_mov_b32 v58, 0 :: v_dual_mov_b32 v57, 0
	v_cndmask_b32_e64 v41, 0, 1, vcc_lo
	v_cmp_gt_u32_e32 vcc_lo, s25, v5
	v_dual_mov_b32 v54, 0 :: v_dual_mov_b32 v59, 0
	v_dual_mov_b32 v56, 0 :: v_dual_mov_b32 v53, 0
	;; [unrolled: 1-line block ×6, first 2 shown]
	v_mov_b32_e32 v46, 0
	v_mov_b32_e32 v44, 0
	;; [unrolled: 1-line block ×3, first 2 shown]
                                        ; implicit-def: $sgpr3
                                        ; implicit-def: $vgpr29
                                        ; implicit-def: $vgpr8
                                        ; implicit-def: $vgpr65
	s_and_saveexec_b32 s13, vcc_lo
	s_cbranch_execz .LBB48_105
; %bb.80:
	v_dual_mov_b32 v34, 0 :: v_dual_add_nc_u32 v5, 9, v66
	v_cmp_ne_u32_e32 vcc_lo, v24, v17
	v_dual_mov_b32 v58, 0 :: v_dual_mov_b32 v49, 0
	v_dual_mov_b32 v54, 0 :: v_dual_mov_b32 v57, 0
	v_cndmask_b32_e64 v42, 0, 1, vcc_lo
	v_cmp_gt_u32_e32 vcc_lo, s25, v5
	v_dual_mov_b32 v56, 0 :: v_dual_mov_b32 v59, 0
	v_dual_mov_b32 v62, 0 :: v_dual_mov_b32 v53, 0
	;; [unrolled: 1-line block ×6, first 2 shown]
	v_mov_b32_e32 v44, 0
	s_mov_b32 s17, 0
                                        ; implicit-def: $sgpr3
                                        ; implicit-def: $vgpr29
                                        ; implicit-def: $vgpr8
                                        ; implicit-def: $vgpr65
	s_and_saveexec_b32 s14, vcc_lo
	s_cbranch_execz .LBB48_104
; %bb.81:
	ds_load_b128 v[5:8], v25 offset:18
	v_cmp_ne_u32_e32 vcc_lo, v17, v18
	v_dual_mov_b32 v34, 0 :: v_dual_add_nc_u32 v21, 10, v66
	v_dual_mov_b32 v58, 0 :: v_dual_mov_b32 v49, 0
	v_cndmask_b32_e64 v43, 0, 1, vcc_lo
	v_dual_mov_b32 v54, 0 :: v_dual_mov_b32 v57, 0
	v_dual_mov_b32 v56, 0 :: v_dual_mov_b32 v53, 0
	;; [unrolled: 1-line block ×5, first 2 shown]
	v_mov_b32_e32 v48, 0
	v_mov_b32_e32 v46, 0
	s_waitcnt lgkmcnt(0)
	v_dual_mov_b32 v44, 0 :: v_dual_and_b32 v59, 0xffff, v5
	s_mov_b32 s16, exec_lo
                                        ; implicit-def: $sgpr3
                                        ; implicit-def: $vgpr29
                                        ; implicit-def: $vgpr65
	v_cmpx_gt_u32_e64 s25, v21
	s_cbranch_execz .LBB48_103
; %bb.82:
	v_cmp_ne_u32_e32 vcc_lo, v18, v19
	v_dual_mov_b32 v34, 0 :: v_dual_add_nc_u32 v17, 11, v66
	v_dual_mov_b32 v58, 0 :: v_dual_mov_b32 v49, 0
	v_cndmask_b32_e64 v44, 0, 1, vcc_lo
	v_dual_mov_b32 v54, 0 :: v_dual_mov_b32 v57, 0
	v_dual_mov_b32 v56, 0 :: v_dual_mov_b32 v53, 0
	;; [unrolled: 1-line block ×5, first 2 shown]
	v_mov_b32_e32 v48, 0
	v_mov_b32_e32 v46, 0
	s_mov_b32 s19, 0
	s_mov_b32 s17, exec_lo
                                        ; implicit-def: $sgpr3
                                        ; implicit-def: $vgpr29
                                        ; implicit-def: $vgpr65
	v_cmpx_gt_u32_e64 s25, v17
	s_cbranch_execz .LBB48_102
; %bb.83:
	v_cmp_ne_u32_e32 vcc_lo, v19, v20
	v_dual_mov_b32 v34, 0 :: v_dual_add_nc_u32 v17, 12, v66
	v_dual_mov_b32 v58, 0 :: v_dual_and_b32 v57, 0xffff, v6
	v_cndmask_b32_e64 v45, 0, 1, vcc_lo
	v_dual_mov_b32 v49, 0 :: v_dual_mov_b32 v54, 0
	v_dual_mov_b32 v56, 0 :: v_dual_mov_b32 v53, 0
	;; [unrolled: 1-line block ×4, first 2 shown]
	v_mov_b32_e32 v50, 0
	v_mov_b32_e32 v48, 0
	;; [unrolled: 1-line block ×3, first 2 shown]
	s_mov_b32 s18, exec_lo
                                        ; implicit-def: $sgpr3
                                        ; implicit-def: $vgpr29
                                        ; implicit-def: $vgpr65
	v_cmpx_gt_u32_e64 s25, v17
	s_cbranch_execz .LBB48_101
; %bb.84:
	v_cmp_ne_u32_e32 vcc_lo, v20, v13
	v_dual_mov_b32 v34, 0 :: v_dual_add_nc_u32 v17, 13, v66
	v_dual_mov_b32 v58, 0 :: v_dual_mov_b32 v49, 0
	v_cndmask_b32_e64 v46, 0, 1, vcc_lo
	v_dual_mov_b32 v54, 0 :: v_dual_mov_b32 v53, 0
	v_dual_mov_b32 v56, 0 :: v_dual_mov_b32 v51, 0
	;; [unrolled: 1-line block ×3, first 2 shown]
	v_mov_b32_e32 v52, 0
	v_mov_b32_e32 v50, 0
	;; [unrolled: 1-line block ×3, first 2 shown]
	s_mov_b32 s21, 0
	s_mov_b32 s19, exec_lo
                                        ; implicit-def: $sgpr3
                                        ; implicit-def: $vgpr29
                                        ; implicit-def: $vgpr65
	v_cmpx_gt_u32_e64 s25, v17
	s_cbranch_execz .LBB48_100
; %bb.85:
	v_cmp_ne_u32_e32 vcc_lo, v13, v14
	v_dual_mov_b32 v34, 0 :: v_dual_add_nc_u32 v17, 14, v66
	v_dual_mov_b32 v49, 0 :: v_dual_and_b32 v56, 0xffff, v7
	v_cndmask_b32_e64 v47, 0, 1, vcc_lo
	v_dual_mov_b32 v58, 0 :: v_dual_mov_b32 v53, 0
	v_dual_mov_b32 v54, 0 :: v_dual_mov_b32 v51, 0
	v_mov_b32_e32 v62, 0
	v_mov_b32_e32 v52, 0
	;; [unrolled: 1-line block ×4, first 2 shown]
	s_mov_b32 s20, exec_lo
                                        ; implicit-def: $sgpr3
                                        ; implicit-def: $vgpr29
                                        ; implicit-def: $vgpr65
	v_cmpx_gt_u32_e64 s25, v17
	s_cbranch_execz .LBB48_99
; %bb.86:
	v_cmp_ne_u32_e32 vcc_lo, v14, v15
	v_dual_mov_b32 v34, 0 :: v_dual_add_nc_u32 v13, 15, v66
	v_dual_mov_b32 v58, 0 :: v_dual_mov_b32 v49, 0
	v_cndmask_b32_e64 v48, 0, 1, vcc_lo
	v_dual_mov_b32 v54, 0 :: v_dual_mov_b32 v53, 0
	v_dual_mov_b32 v62, 0 :: v_dual_mov_b32 v51, 0
	v_mov_b32_e32 v52, 0
	v_mov_b32_e32 v50, 0
	s_mov_b32 s23, 0
	s_mov_b32 s21, exec_lo
                                        ; implicit-def: $sgpr3
                                        ; implicit-def: $vgpr29
                                        ; implicit-def: $vgpr65
	v_cmpx_gt_u32_e64 s25, v13
	s_cbranch_execz .LBB48_98
; %bb.87:
	v_cmp_ne_u32_e32 vcc_lo, v15, v16
	v_dual_mov_b32 v34, 0 :: v_dual_add_nc_u32 v13, 16, v66
	v_dual_mov_b32 v49, 0 :: v_dual_and_b32 v54, 0xffff, v8
	v_cndmask_b32_e64 v50, 0, 1, vcc_lo
	v_dual_mov_b32 v58, 0 :: v_dual_mov_b32 v53, 0
	v_dual_mov_b32 v62, 0 :: v_dual_mov_b32 v51, 0
	v_mov_b32_e32 v52, 0
	s_mov_b32 s22, exec_lo
                                        ; implicit-def: $sgpr3
                                        ; implicit-def: $vgpr29
                                        ; implicit-def: $vgpr65
	v_cmpx_gt_u32_e64 s25, v13
	s_cbranch_execz .LBB48_97
; %bb.88:
	v_cmp_ne_u32_e32 vcc_lo, v16, v9
	v_dual_mov_b32 v34, 0 :: v_dual_add_nc_u32 v13, 17, v66
	v_dual_mov_b32 v58, 0 :: v_dual_mov_b32 v49, 0
	v_cndmask_b32_e64 v51, 0, 1, vcc_lo
	v_dual_mov_b32 v62, 0 :: v_dual_mov_b32 v53, 0
	v_mov_b32_e32 v52, 0
	s_mov_b32 s42, 0
	s_mov_b32 s23, exec_lo
                                        ; implicit-def: $sgpr3
                                        ; implicit-def: $vgpr29
                                        ; implicit-def: $vgpr65
	v_cmpx_gt_u32_e64 s25, v13
	s_cbranch_execz .LBB48_96
; %bb.89:
	ds_load_b64 v[28:29], v25 offset:34
	v_cmp_ne_u32_e32 vcc_lo, v9, v10
	v_dual_mov_b32 v34, 0 :: v_dual_add_nc_u32 v13, 18, v66
	v_mov_b32_e32 v58, 0
	v_dual_mov_b32 v62, 0 :: v_dual_mov_b32 v53, 0
	v_cndmask_b32_e64 v52, 0, 1, vcc_lo
	s_mov_b32 s24, exec_lo
                                        ; implicit-def: $sgpr3
                                        ; implicit-def: $vgpr65
	s_waitcnt lgkmcnt(0)
	v_and_b32_e32 v49, 0xffff, v28
	v_cmpx_gt_u32_e64 s25, v13
	s_cbranch_execz .LBB48_95
; %bb.90:
	v_cmp_ne_u32_e32 vcc_lo, v10, v11
	v_dual_mov_b32 v34, 0 :: v_dual_add_nc_u32 v9, 19, v66
	v_mov_b32_e32 v58, 0
	v_mov_b32_e32 v62, 0
	v_cndmask_b32_e64 v53, 0, 1, vcc_lo
	s_mov_b32 s43, 0
	s_mov_b32 s42, exec_lo
                                        ; implicit-def: $sgpr3
                                        ; implicit-def: $vgpr65
	v_cmpx_gt_u32_e64 s25, v9
	s_cbranch_execz .LBB48_94
; %bb.91:
	v_cmp_ne_u32_e32 vcc_lo, v11, v12
	v_dual_mov_b32 v58, 0 :: v_dual_add_nc_u32 v9, 20, v66
	v_and_b32_e32 v34, 0xffff, v29
                                        ; implicit-def: $sgpr3
                                        ; implicit-def: $vgpr65
	s_mov_b32 s2, exec_lo
	v_cndmask_b32_e64 v62, 0, 1, vcc_lo
	s_delay_alu instid0(VALU_DEP_3)
	v_cmpx_gt_u32_e64 s25, v9
	s_xor_b32 s44, exec_lo, s2
	s_cbranch_execz .LBB48_93
; %bb.92:
	ds_load_u16 v65, v25 offset:42
	v_dual_mov_b32 v34, v29 :: v_dual_add_nc_u32 v9, 21, v66
	v_cmp_ne_u32_e64 s3, v12, v30
	v_cmp_ne_u32_e32 vcc_lo, v30, v31
	s_delay_alu instid0(VALU_DEP_3) | instskip(NEXT) | instid1(VALU_DEP_3)
	v_cmp_gt_u32_e64 s2, s25, v9
	v_cndmask_b32_e64 v58, 0, 1, s3
	s_and_b32 s3, vcc_lo, exec_lo
	s_delay_alu instid0(VALU_DEP_2)
	s_and_b32 s43, s2, exec_lo
.LBB48_93:
	s_or_b32 exec_lo, exec_lo, s44
	s_delay_alu instid0(SALU_CYCLE_1)
	s_and_b32 s3, s3, exec_lo
	s_and_b32 s2, s43, exec_lo
.LBB48_94:
	s_or_b32 exec_lo, exec_lo, s42
	v_mov_b32_e32 v49, v28
	s_and_b32 s3, s3, exec_lo
	s_and_b32 s42, s2, exec_lo
.LBB48_95:
	s_or_b32 exec_lo, exec_lo, s24
	s_delay_alu instid0(SALU_CYCLE_1)
	s_and_b32 s3, s3, exec_lo
	s_and_b32 s2, s42, exec_lo
.LBB48_96:
	s_or_b32 exec_lo, exec_lo, s23
	v_mov_b32_e32 v54, v8
	s_and_b32 s3, s3, exec_lo
	s_and_b32 s23, s2, exec_lo
.LBB48_97:
	s_or_b32 exec_lo, exec_lo, s22
	s_delay_alu instid0(SALU_CYCLE_1)
	s_and_b32 s3, s3, exec_lo
	s_and_b32 s2, s23, exec_lo
.LBB48_98:
	s_or_b32 exec_lo, exec_lo, s21
	v_mov_b32_e32 v56, v7
	s_and_b32 s3, s3, exec_lo
	s_and_b32 s21, s2, exec_lo
.LBB48_99:
	s_or_b32 exec_lo, exec_lo, s20
	s_delay_alu instid0(SALU_CYCLE_1)
	s_and_b32 s3, s3, exec_lo
	s_and_b32 s2, s21, exec_lo
.LBB48_100:
	s_or_b32 exec_lo, exec_lo, s19
	v_mov_b32_e32 v57, v6
	s_and_b32 s3, s3, exec_lo
	s_and_b32 s19, s2, exec_lo
.LBB48_101:
	s_or_b32 exec_lo, exec_lo, s18
	s_delay_alu instid0(SALU_CYCLE_1)
	s_and_b32 s3, s3, exec_lo
	s_and_b32 s2, s19, exec_lo
.LBB48_102:
	s_or_b32 exec_lo, exec_lo, s17
	v_mov_b32_e32 v59, v5
	s_and_b32 s3, s3, exec_lo
	s_and_b32 s17, s2, exec_lo
.LBB48_103:
	s_or_b32 exec_lo, exec_lo, s16
	s_delay_alu instid0(SALU_CYCLE_1)
	s_and_b32 s3, s3, exec_lo
	s_and_b32 s2, s17, exec_lo
.LBB48_104:
	s_or_b32 exec_lo, exec_lo, s14
	v_mov_b32_e32 v60, v4
	s_and_b32 s3, s3, exec_lo
	s_and_b32 s14, s2, exec_lo
.LBB48_105:
	s_or_b32 exec_lo, exec_lo, s13
	s_delay_alu instid0(SALU_CYCLE_1)
	s_and_b32 s3, s3, exec_lo
	s_and_b32 s2, s14, exec_lo
.LBB48_106:
	s_or_b32 exec_lo, exec_lo, s12
	v_mov_b32_e32 v61, v3
	s_and_b32 s3, s3, exec_lo
	s_and_b32 s12, s2, exec_lo
.LBB48_107:
	s_or_b32 exec_lo, exec_lo, s11
	s_delay_alu instid0(SALU_CYCLE_1)
	s_and_b32 s3, s3, exec_lo
	s_and_b32 s2, s12, exec_lo
.LBB48_108:
	s_or_b32 exec_lo, exec_lo, s10
	v_mov_b32_e32 v63, v2
	s_and_b32 s3, s3, exec_lo
	s_and_b32 s10, s2, exec_lo
.LBB48_109:
	s_or_b32 exec_lo, exec_lo, s9
	s_delay_alu instid0(SALU_CYCLE_1)
	s_and_b32 s3, s3, exec_lo
	s_and_b32 s2, s10, exec_lo
.LBB48_110:
	s_or_b32 exec_lo, exec_lo, s8
	v_mov_b32_e32 v64, v1
	s_and_b32 s8, s3, exec_lo
	s_and_b32 s3, s2, exec_lo
.LBB48_111:
	s_or_b32 exec_lo, exec_lo, s7
	s_delay_alu instid0(SALU_CYCLE_1)
	s_and_b32 s7, s8, exec_lo
	s_and_b32 s2, s3, exec_lo
.LBB48_112:
	s_or_b32 exec_lo, exec_lo, s6
	s_delay_alu instid0(SALU_CYCLE_1)
	s_and_b32 s6, s7, exec_lo
	s_and_b32 s3, s2, exec_lo
.LBB48_113:
	s_or_b32 exec_lo, exec_lo, s5
	s_mov_b32 s7, 0
	s_mov_b32 s5, 0
	v_cmp_ne_u32_e64 s2, 0, v0
	s_and_b32 vcc_lo, exec_lo, s4
	s_cbranch_vccnz .LBB48_115
	s_branch .LBB48_118
.LBB48_114:
                                        ; implicit-def: $sgpr6
                                        ; implicit-def: $vgpr29
                                        ; implicit-def: $vgpr8
                                        ; implicit-def: $vgpr4
                                        ; implicit-def: $vgpr65
                                        ; implicit-def: $vgpr33
                                        ; implicit-def: $vgpr58
                                        ; implicit-def: $vgpr32
                                        ; implicit-def: $vgpr62
                                        ; implicit-def: $vgpr35
                                        ; implicit-def: $vgpr53
                                        ; implicit-def: $vgpr52
                                        ; implicit-def: $vgpr36
                                        ; implicit-def: $vgpr51
                                        ; implicit-def: $vgpr50
                                        ; implicit-def: $vgpr37
                                        ; implicit-def: $vgpr48
                                        ; implicit-def: $vgpr47
                                        ; implicit-def: $vgpr38
                                        ; implicit-def: $vgpr46
                                        ; implicit-def: $vgpr45
                                        ; implicit-def: $vgpr39
                                        ; implicit-def: $vgpr44
                                        ; implicit-def: $vgpr43
                                        ; implicit-def: $vgpr40
                                        ; implicit-def: $vgpr42
                                        ; implicit-def: $vgpr41
                                        ; implicit-def: $vgpr34
                                        ; implicit-def: $vgpr49
                                        ; implicit-def: $vgpr54
                                        ; implicit-def: $vgpr56
                                        ; implicit-def: $vgpr57
                                        ; implicit-def: $vgpr59
                                        ; implicit-def: $vgpr60
                                        ; implicit-def: $vgpr61
                                        ; implicit-def: $vgpr63
                                        ; implicit-def: $vgpr64
                                        ; implicit-def: $sgpr5
                                        ; implicit-def: $sgpr7
	v_cmp_ne_u32_e64 s2, 0, v0
	s_cbranch_execz .LBB48_118
.LBB48_115:
	v_add_co_u32 v1, s3, s34, v55
	s_delay_alu instid0(VALU_DEP_1)
	v_add_co_ci_u32_e64 v2, null, s35, 0, s3
	s_clause 0x9
	global_load_b32 v3, v55, s[34:35]
	global_load_b32 v4, v55, s[34:35] offset:256
	global_load_b32 v5, v55, s[34:35] offset:512
	;; [unrolled: 1-line block ×9, first 2 shown]
	v_add_co_u32 v1, vcc_lo, 0x1000, v1
	v_add_co_ci_u32_e32 v2, vcc_lo, 0, v2, vcc_lo
	s_clause 0xb
	global_load_b32 v13, v55, s[34:35] offset:2560
	global_load_b32 v14, v55, s[34:35] offset:2816
	;; [unrolled: 1-line block ×6, first 2 shown]
	global_load_b32 v19, v[1:2], off
	global_load_b32 v20, v[1:2], off offset:256
	global_load_b32 v21, v[1:2], off offset:512
	;; [unrolled: 1-line block ×5, first 2 shown]
	s_sub_u32 s4, 0, s15
	s_subb_u32 s5, 0, 0
	v_mad_u32_u24 v24, 0x54, v0, v55
	s_cmp_eq_u64 s[4:5], s[40:41]
	s_waitcnt vmcnt(20)
	ds_store_2addr_stride64_b32 v55, v3, v4 offset1:1
	s_waitcnt vmcnt(18)
	ds_store_2addr_stride64_b32 v55, v5, v6 offset0:2 offset1:3
	s_waitcnt vmcnt(16)
	ds_store_2addr_stride64_b32 v55, v7, v8 offset0:4 offset1:5
	;; [unrolled: 2-line block ×10, first 2 shown]
	s_cselect_b32 s3, 0, -4
	s_cselect_b32 s5, 0, -1
	s_add_u32 s4, s34, s3
	s_addc_u32 s5, s35, s5
	s_waitcnt lgkmcnt(0)
	s_barrier
	buffer_gl0_inv
	s_load_b32 s4, s[4:5], 0x0
	ds_load_2addr_b64 v[17:20], v24 offset0:8 offset1:9
	ds_load_b64 v[21:22], v24 offset:80
	ds_load_2addr_b64 v[9:12], v24 offset1:1
	ds_load_2addr_b64 v[13:16], v24 offset0:2 offset1:3
	ds_load_2addr_b64 v[1:4], v24 offset0:4 offset1:5
	;; [unrolled: 1-line block ×3, first 2 shown]
	v_mad_i32_i24 v24, 0xffffffac, v0, v24
	s_mov_b32 s3, -1
	s_waitcnt lgkmcnt(0)
	ds_store_b32 v24, v22 offset:5632
	s_waitcnt lgkmcnt(0)
	s_barrier
	v_mov_b32_e32 v23, s4
	buffer_gl0_inv
	s_and_saveexec_b32 s4, s2
	s_cbranch_execz .LBB48_117
; %bb.116:
	ds_load_b32 v23, v24 offset:5628
.LBB48_117:
	s_or_b32 exec_lo, exec_lo, s4
	v_lshlrev_b32_e32 v25, 1, v0
	s_waitcnt lgkmcnt(0)
	s_barrier
	buffer_gl0_inv
	v_cmp_ne_u32_e32 vcc_lo, v20, v21
	s_clause 0x15
	global_load_u16 v26, v25, s[26:27]
	global_load_u16 v27, v25, s[26:27] offset:128
	global_load_u16 v28, v25, s[26:27] offset:256
	;; [unrolled: 1-line block ×21, first 2 shown]
	v_cmp_ne_u32_e64 s6, v21, v22
                                        ; implicit-def: $vgpr60
                                        ; implicit-def: $vgpr61
                                        ; implicit-def: $vgpr63
                                        ; implicit-def: $vgpr64
                                        ; implicit-def: $sgpr5
                                        ; implicit-def: $sgpr7
	v_cndmask_b32_e64 v58, 0, 1, vcc_lo
	v_cmp_ne_u32_e32 vcc_lo, v19, v20
	v_cndmask_b32_e64 v62, 0, 1, vcc_lo
	v_cmp_ne_u32_e32 vcc_lo, v18, v19
	;; [unrolled: 2-line block ×10, first 2 shown]
	v_sub_nc_u32_e32 v3, v24, v25
	s_waitcnt vmcnt(21)
	ds_store_b16 v3, v26
	s_waitcnt vmcnt(20)
	ds_store_b16 v3, v27 offset:128
	s_waitcnt vmcnt(19)
	ds_store_b16 v3, v28 offset:256
	;; [unrolled: 2-line block ×21, first 2 shown]
	v_cndmask_b32_e64 v44, 0, 1, vcc_lo
	v_cmp_ne_u32_e32 vcc_lo, v1, v2
	v_mad_u32_u24 v17, v0, 42, v3
	s_waitcnt lgkmcnt(0)
	s_barrier
	buffer_gl0_inv
	v_cndmask_b32_e64 v43, 0, 1, vcc_lo
	v_cmp_ne_u32_e32 vcc_lo, v16, v1
	ds_load_u16 v32, v17
	ds_load_b128 v[1:4], v17 offset:2
	ds_load_b128 v[5:8], v17 offset:18
	ds_load_b64 v[28:29], v17 offset:34
	ds_load_u16 v65, v17 offset:42
                                        ; implicit-def: $vgpr34
                                        ; implicit-def: $vgpr49
                                        ; implicit-def: $vgpr54
                                        ; implicit-def: $vgpr56
                                        ; implicit-def: $vgpr57
                                        ; implicit-def: $vgpr59
	v_cndmask_b32_e64 v42, 0, 1, vcc_lo
	v_cmp_ne_u32_e32 vcc_lo, v15, v16
	v_cndmask_b32_e64 v41, 0, 1, vcc_lo
	v_cmp_ne_u32_e32 vcc_lo, v14, v15
	;; [unrolled: 2-line block ×8, first 2 shown]
	v_cndmask_b32_e64 v33, 0, 1, vcc_lo
.LBB48_118:
	v_mov_b32_e32 v19, s7
	v_mov_b32_e32 v9, s5
	s_and_saveexec_b32 s2, s3
	s_cbranch_execz .LBB48_120
; %bb.119:
	v_cndmask_b32_e64 v19, 0, 1, s6
	s_waitcnt lgkmcnt(0)
	v_dual_mov_b32 v9, v65 :: v_dual_mov_b32 v60, v4
	v_dual_mov_b32 v64, v1 :: v_dual_mov_b32 v63, v2
	;; [unrolled: 1-line block ×5, first 2 shown]
	v_mov_b32_e32 v49, v28
.LBB48_120:
	s_or_b32 exec_lo, exec_lo, s2
	s_waitcnt lgkmcnt(3)
	v_or_b32_e32 v1, v19, v58
	v_and_b32_e32 v73, 0xff, v35
	v_and_b32_e32 v72, 0xff, v36
	v_lshrrev_b32_e32 v18, 16, v64
	v_and_b32_e32 v71, 0xff, v37
	v_and_b32_e32 v70, 0xff, v38
	v_lshrrev_b32_e32 v17, 16, v63
	v_and_b32_e32 v69, 0xff, v39
	v_and_b32_e32 v68, 0xff, v40
	v_lshrrev_b32_e32 v16, 16, v61
	v_and_b32_e32 v67, 0xff, v41
	v_and_b32_e32 v66, 0xff, v42
	v_lshrrev_b32_e32 v15, 16, v60
	s_waitcnt lgkmcnt(0)
	v_and_b32_e32 v65, 0xff, v43
	v_and_b32_e32 v55, 0xff, v44
	v_lshrrev_b32_e32 v14, 16, v59
	v_and_b32_e32 v31, 0xff, v45
	v_and_b32_e32 v29, 0xff, v46
	v_lshrrev_b32_e32 v13, 16, v57
	;; [unrolled: 3-line block ×6, first 2 shown]
	v_and_b32_e32 v19, 0xff, v19
	v_or_b32_e32 v30, v1, v62
	v_lshrrev_b32_e32 v20, 5, v0
	v_cmp_gt_u32_e32 vcc_lo, 32, v0
	s_cmp_lg_u32 s15, 0
	s_barrier
	buffer_gl0_inv
	s_cbranch_scc0 .LBB48_203
; %bb.121:
	v_cmp_gt_f16_e64 s2, v64, v32
	v_or_b32_e32 v2, v30, v53
	v_add_lshl_u32 v3, v20, v0, 2
	s_delay_alu instid0(VALU_DEP_3) | instskip(SKIP_1) | instid1(VALU_DEP_4)
	v_cndmask_b32_e64 v1, v32, v64, s2
	v_cmp_eq_u16_e64 s2, 0, v73
	v_or_b32_e32 v2, v2, v52
	s_delay_alu instid0(VALU_DEP_2) | instskip(NEXT) | instid1(VALU_DEP_2)
	v_cndmask_b32_e64 v1, v64, v1, s2
	v_or_b32_e32 v2, v2, v51
	s_delay_alu instid0(VALU_DEP_2) | instskip(NEXT) | instid1(VALU_DEP_2)
	v_cmp_lt_f16_e64 s3, v1, v18
	v_or_b32_e32 v2, v2, v50
	s_delay_alu instid0(VALU_DEP_2) | instskip(SKIP_1) | instid1(VALU_DEP_3)
	v_cndmask_b32_e64 v1, v1, v18, s3
	v_cmp_eq_u16_e64 s3, 0, v72
	v_or_b32_e32 v2, v2, v48
	s_delay_alu instid0(VALU_DEP_2) | instskip(NEXT) | instid1(VALU_DEP_2)
	v_cndmask_b32_e64 v1, v18, v1, s3
	v_or_b32_e32 v2, v2, v47
	s_delay_alu instid0(VALU_DEP_2) | instskip(NEXT) | instid1(VALU_DEP_2)
	v_cmp_lt_f16_e64 s4, v1, v63
	v_or_b32_e32 v2, v2, v46
	s_delay_alu instid0(VALU_DEP_2) | instskip(SKIP_1) | instid1(VALU_DEP_3)
	;; [unrolled: 10-line block ×5, first 2 shown]
	v_cndmask_b32_e64 v1, v1, v16, s7
	v_cmp_eq_u16_e64 s7, 0, v68
	v_or_b32_e32 v2, v2, v36
	s_delay_alu instid0(VALU_DEP_2) | instskip(NEXT) | instid1(VALU_DEP_2)
	v_cndmask_b32_e64 v1, v16, v1, s7
	v_or_b32_e32 v2, v2, v35
	s_delay_alu instid0(VALU_DEP_2) | instskip(NEXT) | instid1(VALU_DEP_2)
	v_cmp_lt_f16_e64 s8, v1, v60
	v_and_b32_e32 v2, 1, v2
	s_delay_alu instid0(VALU_DEP_2) | instskip(SKIP_1) | instid1(VALU_DEP_3)
	v_cndmask_b32_e64 v1, v1, v60, s8
	v_cmp_eq_u16_e64 s8, 0, v67
	v_cmp_eq_u32_e64 s24, 1, v2
	s_delay_alu instid0(VALU_DEP_2) | instskip(NEXT) | instid1(VALU_DEP_2)
	v_cndmask_b32_e64 v1, v60, v1, s8
	v_cndmask_b32_e64 v58, v33, 1, s24
	s_delay_alu instid0(VALU_DEP_2) | instskip(NEXT) | instid1(VALU_DEP_1)
	v_cmp_lt_f16_e64 s9, v1, v15
	v_cndmask_b32_e64 v1, v1, v15, s9
	v_cmp_eq_u16_e64 s9, 0, v66
	s_delay_alu instid0(VALU_DEP_1) | instskip(NEXT) | instid1(VALU_DEP_1)
	v_cndmask_b32_e64 v1, v15, v1, s9
	v_cmp_lt_f16_e64 s10, v1, v59
	s_delay_alu instid0(VALU_DEP_1) | instskip(SKIP_1) | instid1(VALU_DEP_1)
	v_cndmask_b32_e64 v1, v1, v59, s10
	v_cmp_eq_u16_e64 s10, 0, v65
	v_cndmask_b32_e64 v1, v59, v1, s10
	s_delay_alu instid0(VALU_DEP_1) | instskip(NEXT) | instid1(VALU_DEP_1)
	v_cmp_lt_f16_e64 s11, v1, v14
	v_cndmask_b32_e64 v1, v1, v14, s11
	v_cmp_eq_u16_e64 s11, 0, v55
	s_delay_alu instid0(VALU_DEP_1) | instskip(NEXT) | instid1(VALU_DEP_1)
	v_cndmask_b32_e64 v1, v14, v1, s11
	v_cmp_lt_f16_e64 s12, v1, v57
	s_delay_alu instid0(VALU_DEP_1) | instskip(SKIP_1) | instid1(VALU_DEP_1)
	v_cndmask_b32_e64 v1, v1, v57, s12
	v_cmp_eq_u16_e64 s12, 0, v31
	v_cndmask_b32_e64 v1, v57, v1, s12
	s_delay_alu instid0(VALU_DEP_1) | instskip(NEXT) | instid1(VALU_DEP_1)
	;; [unrolled: 11-line block ×6, first 2 shown]
	v_cmp_lt_f16_e64 s22, v1, v8
	v_cndmask_b32_e64 v1, v1, v8, s22
	v_cmp_eq_u16_e64 s22, 0, v21
	s_delay_alu instid0(VALU_DEP_1) | instskip(NEXT) | instid1(VALU_DEP_1)
	v_cndmask_b32_e64 v1, v8, v1, s22
	v_cmp_lt_f16_e64 s23, v1, v9
	s_delay_alu instid0(VALU_DEP_1) | instskip(SKIP_1) | instid1(VALU_DEP_1)
	v_cndmask_b32_e64 v1, v1, v9, s23
	v_cmp_eq_u16_e64 s23, 0, v19
	v_cndmask_b32_e64 v62, v9, v1, s23
	ds_store_b16 v3, v62
	ds_store_b8 v3, v58 offset:2
	s_waitcnt lgkmcnt(0)
	s_barrier
	buffer_gl0_inv
	s_and_saveexec_b32 s34, vcc_lo
	s_cbranch_execz .LBB48_135
; %bb.122:
	v_lshrrev_b32_e32 v1, 2, v0
                                        ; implicit-def: $vgpr3
                                        ; implicit-def: $vgpr74
	s_delay_alu instid0(VALU_DEP_1) | instskip(NEXT) | instid1(VALU_DEP_1)
	v_and_b32_e32 v1, 12, v1
	v_lshl_or_b32 v1, v0, 3, v1
	ds_load_u8 v7, v1 offset:6
	ds_load_u16 v2, v1
	ds_load_u16 v4, v1 offset:2
	s_waitcnt lgkmcnt(2)
	v_cmp_eq_u16_e64 s24, 0, v7
	v_cmp_ne_u16_e64 s25, 0, v7
	s_delay_alu instid0(VALU_DEP_1) | instskip(NEXT) | instid1(SALU_CYCLE_1)
	s_and_saveexec_b32 s26, s25
	s_xor_b32 s25, exec_lo, s26
	s_cbranch_execz .LBB48_124
; %bb.123:
	ds_load_u16 v3, v1 offset:4
	s_waitcnt lgkmcnt(0)
	v_mov_b32_e32 v74, v3
.LBB48_124:
	s_or_saveexec_b32 s26, s25
	s_delay_alu instid0(VALU_DEP_1)
	v_mov_b32_e32 v5, v74
	v_mov_b32_e32 v75, v3
	s_xor_b32 exec_lo, exec_lo, s26
	s_cbranch_execz .LBB48_126
; %bb.125:
	ds_load_u16 v5, v1 offset:4
	s_waitcnt lgkmcnt(0)
	v_cmp_gt_f16_e64 s25, v5, v2
	v_mov_b32_e32 v3, v5
	s_delay_alu instid0(VALU_DEP_2) | instskip(NEXT) | instid1(VALU_DEP_1)
	v_cndmask_b32_e64 v74, v2, v5, s25
	v_mov_b32_e32 v75, v74
.LBB48_126:
	s_or_b32 exec_lo, exec_lo, s26
	s_waitcnt lgkmcnt(0)
	v_and_b32_e32 v6, 1, v4
	v_and_b32_e32 v77, 1, v7
	v_lshrrev_b16 v76, 8, v4
	s_mov_b32 s27, exec_lo
	s_delay_alu instid0(VALU_DEP_3) | instskip(NEXT) | instid1(VALU_DEP_3)
	v_lshlrev_b32_e32 v78, 16, v6
	v_cmp_eq_u32_e64 s25, 1, v77
	s_delay_alu instid0(VALU_DEP_3) | instskip(SKIP_1) | instid1(VALU_DEP_3)
	v_lshlrev_b32_e32 v7, 24, v76
	v_mbcnt_lo_u32_b32 v76, -1, 0
	v_cndmask_b32_e64 v77, v78, 0x10000, s25
	v_and_b32_e32 v78, 0xffff, v75
	s_delay_alu instid0(VALU_DEP_2) | instskip(NEXT) | instid1(VALU_DEP_2)
	v_or_b32_e32 v80, v77, v7
	v_or3_b32 v79, v7, v78, v77
	v_and_b32_e32 v78, 15, v76
	s_delay_alu instid0(VALU_DEP_3) | instskip(NEXT) | instid1(VALU_DEP_3)
	v_lshrrev_b32_e32 v77, 16, v80
	v_mov_b32_dpp v81, v79 row_shr:1 row_mask:0xf bank_mask:0xf
	s_delay_alu instid0(VALU_DEP_3)
	v_cmpx_ne_u32_e32 0, v78
	s_cbranch_execz .LBB48_128
; %bb.127:
	s_delay_alu instid0(VALU_DEP_3) | instskip(NEXT) | instid1(VALU_DEP_3)
	v_and_b32_e32 v77, 0xff, v77
	v_cmp_gt_f16_e64 s26, v74, v81
	v_lshrrev_b32_e32 v79, 16, v81
	v_and_b32_e32 v80, 0x10000, v80
	s_delay_alu instid0(VALU_DEP_3) | instskip(SKIP_1) | instid1(VALU_DEP_4)
	v_cndmask_b32_e64 v74, v81, v74, s26
	v_cmp_eq_u16_e64 s26, 0, v77
	v_and_b32_e32 v79, 1, v79
	s_delay_alu instid0(VALU_DEP_2) | instskip(SKIP_1) | instid1(VALU_DEP_2)
	v_cndmask_b32_e64 v75, v75, v74, s26
	v_cmp_ne_u32_e64 s26, 0, v80
	v_and_b32_e32 v74, 0xffff, v75
	s_delay_alu instid0(VALU_DEP_2) | instskip(NEXT) | instid1(VALU_DEP_1)
	v_cndmask_b32_e64 v77, v79, 1, s26
	v_lshlrev_b32_e32 v79, 16, v77
	s_delay_alu instid0(VALU_DEP_1)
	v_or3_b32 v79, v79, v74, v7
	v_mov_b32_e32 v74, v75
.LBB48_128:
	s_or_b32 exec_lo, exec_lo, s27
	s_delay_alu instid0(VALU_DEP_2)
	v_lshrrev_b32_e32 v80, 16, v79
	v_mov_b32_dpp v81, v79 row_shr:2 row_mask:0xf bank_mask:0xf
	s_mov_b32 s27, exec_lo
	v_cmpx_lt_u32_e32 1, v78
	s_cbranch_execz .LBB48_130
; %bb.129:
	v_lshrrev_b32_e32 v77, 16, v79
	v_lshrrev_b32_e32 v80, 16, v81
	v_and_b32_e32 v79, 0x10000, v79
	v_cmp_gt_f16_e64 s26, v74, v81
	s_delay_alu instid0(VALU_DEP_4) | instskip(NEXT) | instid1(VALU_DEP_4)
	v_and_b32_e32 v82, 0xff, v77
	v_and_b32_e32 v77, 1, v80
	s_delay_alu instid0(VALU_DEP_3) | instskip(SKIP_1) | instid1(VALU_DEP_1)
	v_cndmask_b32_e64 v74, v81, v74, s26
	v_cmp_ne_u32_e64 s26, 0, v79
	v_cndmask_b32_e64 v77, v77, 1, s26
	v_cmp_eq_u16_e64 s26, 0, v82
	s_delay_alu instid0(VALU_DEP_2) | instskip(NEXT) | instid1(VALU_DEP_2)
	v_lshlrev_b32_e32 v79, 16, v77
	v_cndmask_b32_e64 v74, v75, v74, s26
	s_delay_alu instid0(VALU_DEP_1) | instskip(NEXT) | instid1(VALU_DEP_1)
	v_dual_mov_b32 v75, v74 :: v_dual_and_b32 v80, 0xffff, v74
	v_or3_b32 v79, v79, v80, v7
	v_mov_b32_e32 v80, v77
.LBB48_130:
	s_or_b32 exec_lo, exec_lo, s27
	s_delay_alu instid0(VALU_DEP_2)
	v_mov_b32_dpp v81, v79 row_shr:4 row_mask:0xf bank_mask:0xf
	s_mov_b32 s27, exec_lo
	v_cmpx_lt_u32_e32 3, v78
	s_cbranch_execz .LBB48_132
; %bb.131:
	v_and_b32_e32 v79, 0xff, v80
	v_cmp_gt_f16_e64 s26, v74, v81
	v_lshrrev_b32_e32 v77, 16, v81
	s_delay_alu instid0(VALU_DEP_2) | instskip(NEXT) | instid1(VALU_DEP_4)
	v_cndmask_b32_e64 v74, v81, v74, s26
	v_cmp_eq_u16_e64 s26, 0, v79
	s_delay_alu instid0(VALU_DEP_3) | instskip(NEXT) | instid1(VALU_DEP_2)
	v_and_b32_e32 v77, 1, v77
	v_cndmask_b32_e64 v74, v75, v74, s26
	s_delay_alu instid0(VALU_DEP_1) | instskip(NEXT) | instid1(VALU_DEP_1)
	v_dual_mov_b32 v75, v74 :: v_dual_and_b32 v80, 1, v80
	v_cmp_eq_u32_e64 s26, 1, v80
	v_and_b32_e32 v79, 0xffff, v74
	s_delay_alu instid0(VALU_DEP_2) | instskip(NEXT) | instid1(VALU_DEP_1)
	v_cndmask_b32_e64 v77, v77, 1, s26
	v_lshlrev_b32_e32 v80, 16, v77
	s_delay_alu instid0(VALU_DEP_1)
	v_or3_b32 v79, v80, v79, v7
	v_mov_b32_e32 v80, v77
.LBB48_132:
	s_or_b32 exec_lo, exec_lo, s27
	s_delay_alu instid0(VALU_DEP_2)
	v_mov_b32_dpp v81, v79 row_shr:8 row_mask:0xf bank_mask:0xf
	s_mov_b32 s27, exec_lo
	v_cmpx_lt_u32_e32 7, v78
	s_cbranch_execz .LBB48_134
; %bb.133:
	v_and_b32_e32 v78, 0xff, v80
	v_cmp_gt_f16_e64 s26, v74, v81
	v_lshrrev_b32_e32 v77, 16, v81
	v_and_b32_e32 v79, 1, v80
	s_delay_alu instid0(VALU_DEP_3) | instskip(SKIP_1) | instid1(VALU_DEP_4)
	v_cndmask_b32_e64 v74, v81, v74, s26
	v_cmp_eq_u16_e64 s26, 0, v78
	v_and_b32_e32 v77, 1, v77
	s_delay_alu instid0(VALU_DEP_2) | instskip(SKIP_1) | instid1(VALU_DEP_2)
	v_cndmask_b32_e64 v74, v75, v74, s26
	v_cmp_eq_u32_e64 s26, 1, v79
	v_and_b32_e32 v78, 0xffff, v74
	s_delay_alu instid0(VALU_DEP_2) | instskip(NEXT) | instid1(VALU_DEP_1)
	v_cndmask_b32_e64 v77, v77, 1, s26
	v_dual_mov_b32 v75, v74 :: v_dual_mov_b32 v80, v77
	v_lshlrev_b32_e32 v79, 16, v77
	s_delay_alu instid0(VALU_DEP_1)
	v_or3_b32 v79, v79, v78, v7
.LBB48_134:
	s_or_b32 exec_lo, exec_lo, s27
	ds_swizzle_b32 v78, v79 offset:swizzle(BROADCAST,32,15)
	v_and_b32_e32 v81, 0xff, v80
	v_and_b32_e32 v80, 1, v80
	;; [unrolled: 1-line block ×4, first 2 shown]
	v_cmp_eq_u32_e64 s27, 1, v6
	s_waitcnt lgkmcnt(0)
	v_lshrrev_b32_e32 v79, 16, v78
	v_cmp_gt_f16_e64 s26, v74, v78
	s_delay_alu instid0(VALU_DEP_2) | instskip(NEXT) | instid1(VALU_DEP_2)
	v_and_b32_e32 v79, 1, v79
	v_cndmask_b32_e64 v74, v78, v74, s26
	v_cmp_eq_u32_e64 s26, 1, v80
	s_delay_alu instid0(VALU_DEP_1) | instskip(SKIP_1) | instid1(VALU_DEP_1)
	v_cndmask_b32_e64 v78, v79, 1, s26
	v_cmp_eq_u16_e64 s26, 0, v81
	v_cndmask_b32_e64 v74, v75, v74, s26
	v_cmp_eq_u32_e64 s26, 0, v82
	s_delay_alu instid0(VALU_DEP_1) | instskip(SKIP_1) | instid1(VALU_DEP_4)
	v_cndmask_b32_e64 v77, v78, v77, s26
	v_add_nc_u32_e32 v78, -1, v76
	v_cndmask_b32_e64 v74, v74, v75, s26
	s_delay_alu instid0(VALU_DEP_3) | instskip(NEXT) | instid1(VALU_DEP_3)
	v_and_b32_e32 v75, 0xff, v77
	v_cmp_gt_i32_e64 s26, 0, v78
	s_delay_alu instid0(VALU_DEP_3) | instskip(NEXT) | instid1(VALU_DEP_3)
	v_and_b32_e32 v74, 0xffff, v74
	v_lshlrev_b32_e32 v75, 16, v75
	s_delay_alu instid0(VALU_DEP_3) | instskip(NEXT) | instid1(VALU_DEP_2)
	v_cndmask_b32_e64 v76, v78, v76, s26
	v_or3_b32 v7, v75, v74, v7
	s_delay_alu instid0(VALU_DEP_2) | instskip(SKIP_3) | instid1(VALU_DEP_1)
	v_lshlrev_b32_e32 v76, 2, v76
	ds_bpermute_b32 v7, v76, v7
	s_waitcnt lgkmcnt(0)
	v_cmp_gt_f16_e64 s26, v2, v7
	v_cndmask_b32_e64 v74, v7, v2, s26
	v_cmp_eq_u16_e64 s26, 0, v4
	v_lshrrev_b32_e32 v7, 16, v7
	s_delay_alu instid0(VALU_DEP_2) | instskip(SKIP_1) | instid1(VALU_DEP_3)
	v_cndmask_b32_e64 v2, v2, v74, s26
	v_cmp_eq_u32_e64 s26, 0, v0
	v_and_b32_e32 v4, 1, v7
	s_delay_alu instid0(VALU_DEP_2) | instskip(NEXT) | instid1(VALU_DEP_2)
	v_cndmask_b32_e64 v2, v2, v62, s26
	v_cndmask_b32_e64 v4, v4, 1, s27
	s_delay_alu instid0(VALU_DEP_2) | instskip(NEXT) | instid1(VALU_DEP_2)
	v_cmp_gt_f16_e64 s27, v5, v2
	v_cndmask_b32_e64 v4, v4, v58, s26
	s_delay_alu instid0(VALU_DEP_2) | instskip(NEXT) | instid1(VALU_DEP_1)
	v_cndmask_b32_e64 v5, v2, v5, s27
	v_cndmask_b32_e64 v3, v3, v5, s24
	s_delay_alu instid0(VALU_DEP_3)
	v_cndmask_b32_e64 v5, v4, 1, s25
	ds_store_b16 v1, v2
	ds_store_b8 v1, v4 offset:2
	ds_store_b16 v1, v3 offset:4
	ds_store_b8 v1, v5 offset:6
.LBB48_135:
	s_or_b32 exec_lo, exec_lo, s34
	v_cmp_eq_u32_e64 s25, 0, v0
	v_cmp_ne_u32_e64 s24, 0, v0
	s_waitcnt lgkmcnt(0)
	s_barrier
	buffer_gl0_inv
	s_and_saveexec_b32 s26, s24
	s_cbranch_execz .LBB48_137
; %bb.136:
	v_add_nc_u32_e32 v1, -1, v0
	s_delay_alu instid0(VALU_DEP_1) | instskip(NEXT) | instid1(VALU_DEP_1)
	v_lshrrev_b32_e32 v2, 5, v1
	v_add_lshl_u32 v1, v2, v1, 2
	ds_load_u16 v62, v1
	ds_load_u8 v58, v1 offset:2
.LBB48_137:
	s_or_b32 exec_lo, exec_lo, s26
	s_and_saveexec_b32 s27, vcc_lo
	s_cbranch_execz .LBB48_180
; %bb.138:
	v_mov_b32_e32 v4, 0
	v_mbcnt_lo_u32_b32 v83, -1, 0
	s_mov_b32 s35, 0
	ds_load_b32 v1, v4 offset:256
	v_cmp_eq_u32_e64 s26, 0, v83
	s_delay_alu instid0(VALU_DEP_1)
	s_and_saveexec_b32 s40, s26
	s_cbranch_execz .LBB48_140
; %bb.139:
	s_add_i32 s34, s15, 32
	v_mov_b32_e32 v2, 1
	s_lshl_b64 s[34:35], s[34:35], 3
	s_delay_alu instid0(SALU_CYCLE_1)
	s_add_u32 s34, s36, s34
	s_addc_u32 s35, s37, s35
	s_waitcnt lgkmcnt(0)
	global_store_b64 v4, v[1:2], s[34:35]
.LBB48_140:
	s_or_b32 exec_lo, exec_lo, s40
	v_xad_u32 v2, v83, -1, s15
	s_mov_b32 s34, exec_lo
	s_delay_alu instid0(VALU_DEP_1) | instskip(NEXT) | instid1(VALU_DEP_1)
	v_add_nc_u32_e32 v3, 32, v2
	v_lshlrev_b64 v[3:4], 3, v[3:4]
	s_delay_alu instid0(VALU_DEP_1) | instskip(NEXT) | instid1(VALU_DEP_2)
	v_add_co_u32 v6, vcc_lo, s36, v3
	v_add_co_ci_u32_e32 v7, vcc_lo, s37, v4, vcc_lo
	global_load_b64 v[4:5], v[6:7], off glc
	s_waitcnt vmcnt(0)
	v_and_b32_e32 v3, 0xff, v5
	s_delay_alu instid0(VALU_DEP_1)
	v_cmpx_eq_u16_e32 0, v3
	s_cbranch_execz .LBB48_144
; %bb.141:
	s_mov_b32 s35, 0
.LBB48_142:                             ; =>This Inner Loop Header: Depth=1
	global_load_b64 v[4:5], v[6:7], off glc
	s_waitcnt vmcnt(0)
	v_and_b32_e32 v3, 0xff, v5
	s_delay_alu instid0(VALU_DEP_1) | instskip(SKIP_1) | instid1(SALU_CYCLE_1)
	v_cmp_ne_u16_e32 vcc_lo, 0, v3
	s_or_b32 s35, vcc_lo, s35
	s_and_not1_b32 exec_lo, exec_lo, s35
	s_cbranch_execnz .LBB48_142
; %bb.143:
	s_or_b32 exec_lo, exec_lo, s35
.LBB48_144:
	s_delay_alu instid0(SALU_CYCLE_1)
	s_or_b32 exec_lo, exec_lo, s34
	v_cmp_ne_u32_e32 vcc_lo, 31, v83
	v_and_b32_e32 v7, 0xffffff, v4
	v_and_b32_e32 v6, 0xff, v5
	v_lshlrev_b32_e64 v75, v83, -1
	v_add_nc_u32_e32 v76, 1, v83
	v_add_co_ci_u32_e32 v3, vcc_lo, 0, v83, vcc_lo
	s_delay_alu instid0(VALU_DEP_4) | instskip(SKIP_2) | instid1(VALU_DEP_4)
	v_cmp_eq_u16_e32 vcc_lo, 2, v6
	v_lshrrev_b32_e32 v6, 16, v4
	v_bfe_u32 v84, v4, 16, 8
	v_lshlrev_b32_e32 v74, 2, v3
	s_mov_b32 s34, exec_lo
	v_and_or_b32 v3, vcc_lo, v75, 0x80000000
	ds_bpermute_b32 v77, v74, v7
	v_ctz_i32_b32_e32 v3, v3
	s_delay_alu instid0(VALU_DEP_1)
	v_cmpx_le_u32_e64 v76, v3
	s_cbranch_execz .LBB48_146
; %bb.145:
	v_and_b32_e32 v6, 0xff0000, v4
	s_waitcnt lgkmcnt(0)
	v_cmp_gt_f16_e32 vcc_lo, v4, v77
	v_lshrrev_b32_e32 v7, 16, v77
	s_delay_alu instid0(VALU_DEP_3) | instskip(SKIP_1) | instid1(VALU_DEP_2)
	v_dual_cndmask_b32 v77, v77, v4 :: v_dual_and_b32 v78, 0x10000, v6
	v_cmp_eq_u32_e32 vcc_lo, 0, v6
	v_dual_cndmask_b32 v4, v4, v77 :: v_dual_and_b32 v7, 1, v7
	s_delay_alu instid0(VALU_DEP_3) | instskip(NEXT) | instid1(VALU_DEP_2)
	v_cmp_ne_u32_e32 vcc_lo, 0, v78
	v_cndmask_b32_e64 v6, v7, 1, vcc_lo
	s_delay_alu instid0(VALU_DEP_1) | instskip(SKIP_1) | instid1(VALU_DEP_1)
	v_dual_mov_b32 v84, v6 :: v_dual_and_b32 v7, 0xffff, v4
	v_lshlrev_b32_e32 v77, 16, v6
	v_or_b32_e32 v7, v77, v7
.LBB48_146:
	s_or_b32 exec_lo, exec_lo, s34
	v_cmp_gt_u32_e32 vcc_lo, 30, v83
	v_add_nc_u32_e32 v78, 2, v83
	s_mov_b32 s34, exec_lo
	s_waitcnt lgkmcnt(0)
	v_cndmask_b32_e64 v77, 0, 1, vcc_lo
	s_delay_alu instid0(VALU_DEP_1) | instskip(NEXT) | instid1(VALU_DEP_1)
	v_lshlrev_b32_e32 v77, 1, v77
	v_add_lshl_u32 v77, v77, v83, 2
	ds_bpermute_b32 v79, v77, v7
	v_cmpx_le_u32_e64 v78, v3
	s_cbranch_execz .LBB48_148
; %bb.147:
	s_waitcnt lgkmcnt(0)
	v_lshrrev_b32_e32 v6, 16, v79
	v_cmp_gt_f16_e32 vcc_lo, v4, v79
	s_delay_alu instid0(VALU_DEP_2) | instskip(SKIP_1) | instid1(VALU_DEP_2)
	v_dual_cndmask_b32 v7, v79, v4 :: v_dual_and_b32 v6, 1, v6
	v_cmp_eq_u16_e32 vcc_lo, 0, v84
	v_dual_cndmask_b32 v4, v4, v7 :: v_dual_and_b32 v79, 1, v84
	s_delay_alu instid0(VALU_DEP_1) | instskip(NEXT) | instid1(VALU_DEP_4)
	v_cmp_eq_u32_e32 vcc_lo, 1, v79
	v_cndmask_b32_e64 v6, v6, 1, vcc_lo
	s_delay_alu instid0(VALU_DEP_1) | instskip(SKIP_1) | instid1(VALU_DEP_1)
	v_dual_mov_b32 v84, v6 :: v_dual_and_b32 v7, 0xffff, v4
	v_lshlrev_b32_e32 v79, 16, v6
	v_or_b32_e32 v7, v79, v7
.LBB48_148:
	s_or_b32 exec_lo, exec_lo, s34
	v_cmp_gt_u32_e32 vcc_lo, 28, v83
	v_add_nc_u32_e32 v80, 4, v83
	s_mov_b32 s34, exec_lo
	s_waitcnt lgkmcnt(0)
	v_cndmask_b32_e64 v79, 0, 1, vcc_lo
	s_delay_alu instid0(VALU_DEP_1) | instskip(NEXT) | instid1(VALU_DEP_1)
	v_lshlrev_b32_e32 v79, 2, v79
	v_add_lshl_u32 v79, v79, v83, 2
	ds_bpermute_b32 v81, v79, v7
	v_cmpx_le_u32_e64 v80, v3
	s_cbranch_execz .LBB48_150
; %bb.149:
	s_waitcnt lgkmcnt(0)
	v_lshrrev_b32_e32 v6, 16, v81
	v_cmp_gt_f16_e32 vcc_lo, v4, v81
	s_delay_alu instid0(VALU_DEP_2) | instskip(SKIP_1) | instid1(VALU_DEP_2)
	v_dual_cndmask_b32 v7, v81, v4 :: v_dual_and_b32 v6, 1, v6
	v_cmp_eq_u16_e32 vcc_lo, 0, v84
	v_dual_cndmask_b32 v4, v4, v7 :: v_dual_and_b32 v81, 1, v84
	s_delay_alu instid0(VALU_DEP_1) | instskip(NEXT) | instid1(VALU_DEP_4)
	v_cmp_eq_u32_e32 vcc_lo, 1, v81
	v_cndmask_b32_e64 v6, v6, 1, vcc_lo
	s_delay_alu instid0(VALU_DEP_1) | instskip(SKIP_1) | instid1(VALU_DEP_1)
	v_dual_mov_b32 v84, v6 :: v_dual_and_b32 v7, 0xffff, v4
	v_lshlrev_b32_e32 v81, 16, v6
	v_or_b32_e32 v7, v81, v7
.LBB48_150:
	s_or_b32 exec_lo, exec_lo, s34
	v_cmp_gt_u32_e32 vcc_lo, 24, v83
	v_add_nc_u32_e32 v82, 8, v83
	s_mov_b32 s34, exec_lo
	s_waitcnt lgkmcnt(0)
	v_cndmask_b32_e64 v81, 0, 1, vcc_lo
	s_delay_alu instid0(VALU_DEP_1) | instskip(NEXT) | instid1(VALU_DEP_1)
	v_lshlrev_b32_e32 v81, 3, v81
	v_add_lshl_u32 v81, v81, v83, 2
	ds_bpermute_b32 v85, v81, v7
	v_cmpx_le_u32_e64 v82, v3
	s_xor_b32 s34, exec_lo, s34
	s_cbranch_execz .LBB48_152
; %bb.151:
	s_waitcnt lgkmcnt(0)
	v_lshrrev_b32_e32 v6, 16, v85
	v_cmp_gt_f16_e32 vcc_lo, v4, v85
	s_delay_alu instid0(VALU_DEP_2) | instskip(SKIP_1) | instid1(VALU_DEP_1)
	v_dual_cndmask_b32 v85, v85, v4 :: v_dual_and_b32 v6, 1, v6
	v_and_b32_e32 v7, 1, v84
	v_cmp_eq_u32_e32 vcc_lo, 1, v7
	s_delay_alu instid0(VALU_DEP_3) | instskip(SKIP_1) | instid1(VALU_DEP_2)
	v_cndmask_b32_e64 v6, v6, 1, vcc_lo
	v_cmp_eq_u16_e32 vcc_lo, 0, v84
	v_dual_cndmask_b32 v4, v4, v85 :: v_dual_lshlrev_b32 v7, 16, v6
	s_delay_alu instid0(VALU_DEP_1) | instskip(NEXT) | instid1(VALU_DEP_1)
	v_and_b32_e32 v84, 0xffff, v4
	v_or_b32_e32 v7, v7, v84
                                        ; implicit-def: $vgpr84
.LBB48_152:
	s_or_saveexec_b32 s34, s34
	v_mov_b32_e32 v87, v6
	s_xor_b32 exec_lo, exec_lo, s34
; %bb.153:
	v_mov_b32_e32 v87, v84
; %bb.154:
	s_or_b32 exec_lo, exec_lo, s34
	v_cmp_gt_u32_e32 vcc_lo, 16, v83
	v_add_nc_u32_e32 v86, 16, v83
	s_mov_b32 s34, exec_lo
	v_cndmask_b32_e64 v84, 0, 1, vcc_lo
	s_delay_alu instid0(VALU_DEP_1) | instskip(SKIP_1) | instid1(VALU_DEP_1)
	v_lshlrev_b32_e32 v84, 4, v84
	s_waitcnt lgkmcnt(0)
	v_add_lshl_u32 v85, v84, v83, 2
	ds_bpermute_b32 v7, v85, v7
	v_cmpx_le_u32_e64 v86, v3
	s_cbranch_execz .LBB48_156
; %bb.155:
	s_waitcnt lgkmcnt(0)
	v_lshrrev_b32_e32 v3, 16, v7
	v_cmp_gt_f16_e32 vcc_lo, v4, v7
	v_and_b32_e32 v6, 1, v87
	v_and_b32_e32 v83, 0xff, v87
	s_delay_alu instid0(VALU_DEP_4) | instskip(SKIP_1) | instid1(VALU_DEP_4)
	v_and_b32_e32 v3, 1, v3
	v_cndmask_b32_e32 v7, v7, v4, vcc_lo
	v_cmp_eq_u32_e32 vcc_lo, 1, v6
	s_delay_alu instid0(VALU_DEP_3) | instskip(SKIP_1) | instid1(VALU_DEP_4)
	v_cndmask_b32_e64 v6, v3, 1, vcc_lo
	v_cmp_eq_u16_e32 vcc_lo, 0, v83
	v_cndmask_b32_e32 v4, v4, v7, vcc_lo
.LBB48_156:
	s_or_b32 exec_lo, exec_lo, s34
	v_mov_b32_e32 v3, 0
	s_branch .LBB48_158
.LBB48_157:                             ;   in Loop: Header=BB48_158 Depth=1
	s_or_b32 exec_lo, exec_lo, s34
	v_and_b32_e32 v6, 0xff, v83
	s_delay_alu instid0(VALU_DEP_2) | instskip(SKIP_4) | instid1(VALU_DEP_2)
	v_cmp_gt_f16_e32 vcc_lo, v84, v4
	v_subrev_nc_u32_e32 v2, 32, v2
	s_waitcnt lgkmcnt(0)
	v_dual_cndmask_b32 v4, v4, v84 :: v_dual_and_b32 v87, 1, v83
	v_cmp_eq_u16_e32 vcc_lo, 0, v6
	v_dual_cndmask_b32 v4, v84, v4 :: v_dual_and_b32 v7, 1, v7
	s_delay_alu instid0(VALU_DEP_3) | instskip(NEXT) | instid1(VALU_DEP_2)
	v_cmp_eq_u32_e32 vcc_lo, 1, v87
	v_cndmask_b32_e64 v6, v7, 1, vcc_lo
.LBB48_158:                             ; =>This Loop Header: Depth=1
                                        ;     Child Loop BB48_161 Depth 2
	s_delay_alu instid0(VALU_DEP_2) | instskip(NEXT) | instid1(VALU_DEP_2)
	v_dual_mov_b32 v84, v4 :: v_dual_and_b32 v5, 0xff, v5
	v_mov_b32_e32 v83, v6
	s_delay_alu instid0(VALU_DEP_2) | instskip(SKIP_2) | instid1(VALU_DEP_1)
	v_cmp_ne_u16_e32 vcc_lo, 2, v5
	v_cndmask_b32_e64 v5, 0, 1, vcc_lo
	;;#ASMSTART
	;;#ASMEND
	v_cmp_ne_u32_e32 vcc_lo, 0, v5
	s_cmp_lg_u32 vcc_lo, exec_lo
	s_cbranch_scc1 .LBB48_175
; %bb.159:                              ;   in Loop: Header=BB48_158 Depth=1
	v_lshlrev_b64 v[4:5], 3, v[2:3]
	s_mov_b32 s34, exec_lo
	s_delay_alu instid0(VALU_DEP_1) | instskip(SKIP_1) | instid1(VALU_DEP_2)
	v_add_co_u32 v6, vcc_lo, s36, v4
	s_waitcnt lgkmcnt(0)
	v_add_co_ci_u32_e32 v7, vcc_lo, s37, v5, vcc_lo
	global_load_b64 v[4:5], v[6:7], off glc
	s_waitcnt vmcnt(0)
	v_and_b32_e32 v87, 0xff, v5
	s_delay_alu instid0(VALU_DEP_1)
	v_cmpx_eq_u16_e32 0, v87
	s_cbranch_execz .LBB48_163
; %bb.160:                              ;   in Loop: Header=BB48_158 Depth=1
	s_mov_b32 s35, 0
.LBB48_161:                             ;   Parent Loop BB48_158 Depth=1
                                        ; =>  This Inner Loop Header: Depth=2
	global_load_b64 v[4:5], v[6:7], off glc
	s_waitcnt vmcnt(0)
	v_and_b32_e32 v87, 0xff, v5
	s_delay_alu instid0(VALU_DEP_1) | instskip(SKIP_1) | instid1(SALU_CYCLE_1)
	v_cmp_ne_u16_e32 vcc_lo, 0, v87
	s_or_b32 s35, vcc_lo, s35
	s_and_not1_b32 exec_lo, exec_lo, s35
	s_cbranch_execnz .LBB48_161
; %bb.162:                              ;   in Loop: Header=BB48_158 Depth=1
	s_or_b32 exec_lo, exec_lo, s35
.LBB48_163:                             ;   in Loop: Header=BB48_158 Depth=1
	s_delay_alu instid0(SALU_CYCLE_1)
	s_or_b32 exec_lo, exec_lo, s34
	v_and_b32_e32 v88, 0xffffff, v4
	v_and_b32_e32 v6, 0xff, v5
	v_lshrrev_b32_e32 v7, 16, v4
	v_bfe_u32 v87, v4, 16, 8
	s_mov_b32 s34, exec_lo
	ds_bpermute_b32 v89, v74, v88
	v_cmp_eq_u16_e32 vcc_lo, 2, v6
	v_and_or_b32 v6, vcc_lo, v75, 0x80000000
	s_delay_alu instid0(VALU_DEP_1) | instskip(NEXT) | instid1(VALU_DEP_1)
	v_ctz_i32_b32_e32 v6, v6
	v_cmpx_le_u32_e64 v76, v6
	s_cbranch_execz .LBB48_165
; %bb.164:                              ;   in Loop: Header=BB48_158 Depth=1
	v_and_b32_e32 v7, 0xff0000, v4
	s_waitcnt lgkmcnt(0)
	v_cmp_gt_f16_e32 vcc_lo, v4, v89
	v_lshrrev_b32_e32 v87, 16, v89
	s_delay_alu instid0(VALU_DEP_3) | instskip(SKIP_1) | instid1(VALU_DEP_2)
	v_dual_cndmask_b32 v88, v89, v4 :: v_dual_and_b32 v89, 0x10000, v7
	v_cmp_eq_u32_e32 vcc_lo, 0, v7
	v_dual_cndmask_b32 v4, v4, v88 :: v_dual_and_b32 v87, 1, v87
	s_delay_alu instid0(VALU_DEP_3) | instskip(NEXT) | instid1(VALU_DEP_2)
	v_cmp_ne_u32_e32 vcc_lo, 0, v89
	v_cndmask_b32_e64 v7, v87, 1, vcc_lo
	s_delay_alu instid0(VALU_DEP_3) | instskip(NEXT) | instid1(VALU_DEP_2)
	v_and_b32_e32 v87, 0xffff, v4
	v_lshlrev_b32_e32 v88, 16, v7
	s_delay_alu instid0(VALU_DEP_1)
	v_or_b32_e32 v88, v88, v87
	v_mov_b32_e32 v87, v7
.LBB48_165:                             ;   in Loop: Header=BB48_158 Depth=1
	s_or_b32 exec_lo, exec_lo, s34
	s_waitcnt lgkmcnt(0)
	ds_bpermute_b32 v89, v77, v88
	s_mov_b32 s34, exec_lo
	v_cmpx_le_u32_e64 v78, v6
	s_cbranch_execz .LBB48_167
; %bb.166:                              ;   in Loop: Header=BB48_158 Depth=1
	s_waitcnt lgkmcnt(0)
	v_cmp_gt_f16_e32 vcc_lo, v4, v89
	v_lshrrev_b32_e32 v7, 16, v89
	v_dual_cndmask_b32 v88, v89, v4 :: v_dual_and_b32 v89, 1, v87
	v_cmp_eq_u16_e32 vcc_lo, 0, v87
	s_delay_alu instid0(VALU_DEP_2) | instskip(NEXT) | instid1(VALU_DEP_3)
	v_dual_cndmask_b32 v4, v4, v88 :: v_dual_and_b32 v7, 1, v7
	v_cmp_eq_u32_e32 vcc_lo, 1, v89
	s_delay_alu instid0(VALU_DEP_2) | instskip(NEXT) | instid1(VALU_DEP_3)
	v_and_b32_e32 v87, 0xffff, v4
	v_cndmask_b32_e64 v7, v7, 1, vcc_lo
	s_delay_alu instid0(VALU_DEP_1) | instskip(NEXT) | instid1(VALU_DEP_1)
	v_lshlrev_b32_e32 v88, 16, v7
	v_or_b32_e32 v88, v88, v87
	v_mov_b32_e32 v87, v7
.LBB48_167:                             ;   in Loop: Header=BB48_158 Depth=1
	s_or_b32 exec_lo, exec_lo, s34
	s_waitcnt lgkmcnt(0)
	ds_bpermute_b32 v89, v79, v88
	s_mov_b32 s34, exec_lo
	v_cmpx_le_u32_e64 v80, v6
	s_cbranch_execz .LBB48_169
; %bb.168:                              ;   in Loop: Header=BB48_158 Depth=1
	s_waitcnt lgkmcnt(0)
	v_cmp_gt_f16_e32 vcc_lo, v4, v89
	v_lshrrev_b32_e32 v7, 16, v89
	v_dual_cndmask_b32 v88, v89, v4 :: v_dual_and_b32 v89, 1, v87
	v_cmp_eq_u16_e32 vcc_lo, 0, v87
	s_delay_alu instid0(VALU_DEP_2) | instskip(NEXT) | instid1(VALU_DEP_3)
	v_dual_cndmask_b32 v4, v4, v88 :: v_dual_and_b32 v7, 1, v7
	v_cmp_eq_u32_e32 vcc_lo, 1, v89
	s_delay_alu instid0(VALU_DEP_2) | instskip(NEXT) | instid1(VALU_DEP_3)
	v_and_b32_e32 v87, 0xffff, v4
	v_cndmask_b32_e64 v7, v7, 1, vcc_lo
	s_delay_alu instid0(VALU_DEP_1) | instskip(NEXT) | instid1(VALU_DEP_1)
	v_lshlrev_b32_e32 v88, 16, v7
	v_or_b32_e32 v88, v88, v87
	v_mov_b32_e32 v87, v7
.LBB48_169:                             ;   in Loop: Header=BB48_158 Depth=1
	s_or_b32 exec_lo, exec_lo, s34
	s_waitcnt lgkmcnt(0)
	ds_bpermute_b32 v89, v81, v88
	s_mov_b32 s34, exec_lo
	v_cmpx_le_u32_e64 v82, v6
	s_xor_b32 s34, exec_lo, s34
	s_cbranch_execz .LBB48_171
; %bb.170:                              ;   in Loop: Header=BB48_158 Depth=1
	s_waitcnt lgkmcnt(0)
	v_lshrrev_b32_e32 v7, 16, v89
	v_cmp_gt_f16_e32 vcc_lo, v4, v89
	v_dual_cndmask_b32 v89, v89, v4 :: v_dual_and_b32 v88, 1, v87
	s_delay_alu instid0(VALU_DEP_3) | instskip(NEXT) | instid1(VALU_DEP_2)
	v_and_b32_e32 v7, 1, v7
	v_cmp_eq_u32_e32 vcc_lo, 1, v88
	s_delay_alu instid0(VALU_DEP_2) | instskip(SKIP_1) | instid1(VALU_DEP_2)
	v_cndmask_b32_e64 v7, v7, 1, vcc_lo
	v_cmp_eq_u16_e32 vcc_lo, 0, v87
	v_dual_cndmask_b32 v4, v4, v89 :: v_dual_lshlrev_b32 v87, 16, v7
	s_delay_alu instid0(VALU_DEP_1) | instskip(NEXT) | instid1(VALU_DEP_1)
	v_and_b32_e32 v88, 0xffff, v4
	v_or_b32_e32 v88, v87, v88
                                        ; implicit-def: $vgpr87
.LBB48_171:                             ;   in Loop: Header=BB48_158 Depth=1
	s_or_saveexec_b32 s34, s34
	s_waitcnt lgkmcnt(0)
	v_mov_b32_e32 v89, v7
	s_xor_b32 exec_lo, exec_lo, s34
; %bb.172:                              ;   in Loop: Header=BB48_158 Depth=1
	v_mov_b32_e32 v89, v87
; %bb.173:                              ;   in Loop: Header=BB48_158 Depth=1
	s_or_b32 exec_lo, exec_lo, s34
	ds_bpermute_b32 v87, v85, v88
	s_mov_b32 s34, exec_lo
	v_cmpx_le_u32_e64 v86, v6
	s_cbranch_execz .LBB48_157
; %bb.174:                              ;   in Loop: Header=BB48_158 Depth=1
	s_waitcnt lgkmcnt(0)
	v_cmp_gt_f16_e32 vcc_lo, v4, v87
	v_and_b32_e32 v6, 0xff, v89
	v_lshrrev_b32_e32 v88, 16, v87
	v_cndmask_b32_e32 v87, v87, v4, vcc_lo
	v_and_b32_e32 v7, 1, v89
	s_delay_alu instid0(VALU_DEP_1) | instskip(NEXT) | instid1(VALU_DEP_4)
	v_cmp_eq_u32_e32 vcc_lo, 1, v7
	v_cndmask_b32_e64 v7, v88, 1, vcc_lo
	v_cmp_eq_u16_e32 vcc_lo, 0, v6
	v_cndmask_b32_e32 v4, v4, v87, vcc_lo
	s_branch .LBB48_157
.LBB48_175:                             ;   in Loop: Header=BB48_158 Depth=1
                                        ; implicit-def: $vgpr6
                                        ; implicit-def: $vgpr4
	s_cbranch_execz .LBB48_158
; %bb.176:
	s_and_saveexec_b32 s34, s26
	s_cbranch_execz .LBB48_178
; %bb.177:
	v_cmp_lt_f16_e32 vcc_lo, v84, v1
	v_and_b32_e32 v3, 1, v83
	s_mov_b32 s41, 0
	s_add_i32 s40, s15, 32
	v_cndmask_b32_e32 v4, v84, v1, vcc_lo
	v_and_b32_e32 v2, 0xff0000, v1
	v_lshlrev_b32_e32 v3, 16, v3
	v_and_b32_e32 v5, 0x10000, v1
	s_lshl_b64 s[40:41], s[40:41], 3
	s_delay_alu instid0(VALU_DEP_3) | instskip(SKIP_4) | instid1(VALU_DEP_2)
	v_cmp_eq_u32_e32 vcc_lo, 0, v2
	s_add_u32 s40, s36, s40
	s_addc_u32 s41, s37, s41
	v_cndmask_b32_e32 v1, v1, v4, vcc_lo
	v_cmp_eq_u32_e32 vcc_lo, 0, v5
	v_and_b32_e32 v1, 0xffff, v1
	v_dual_cndmask_b32 v2, 0x10000, v3 :: v_dual_mov_b32 v3, 0
	s_delay_alu instid0(VALU_DEP_1)
	v_or_b32_e32 v1, v2, v1
	v_mov_b32_e32 v2, 2
	global_store_b64 v3, v[1:2], s[40:41]
.LBB48_178:
	s_or_b32 exec_lo, exec_lo, s34
	s_delay_alu instid0(SALU_CYCLE_1)
	s_and_b32 exec_lo, exec_lo, s25
	s_cbranch_execz .LBB48_180
; %bb.179:
	v_mov_b32_e32 v1, 0
	ds_store_b16 v1, v84
	ds_store_b8 v1, v83 offset:2
.LBB48_180:
	s_or_b32 exec_lo, exec_lo, s27
	v_dual_mov_b32 v1, 0 :: v_dual_mov_b32 v2, v32
	s_waitcnt lgkmcnt(0)
	s_waitcnt_vscnt null, 0x0
	s_barrier
	buffer_gl0_inv
	ds_load_u16 v1, v1
	v_mov_b32_e32 v3, v33
	s_and_saveexec_b32 s15, s24
; %bb.181:
	v_cmp_lt_f16_e32 vcc_lo, v62, v32
	v_and_b32_e32 v2, 0xff, v33
	v_dual_cndmask_b32 v3, v62, v32 :: v_dual_and_b32 v4, 1, v33
	s_delay_alu instid0(VALU_DEP_2) | instskip(NEXT) | instid1(VALU_DEP_2)
	v_cmp_eq_u16_e32 vcc_lo, 0, v2
	v_dual_cndmask_b32 v2, v32, v3 :: v_dual_and_b32 v5, 1, v58
	s_delay_alu instid0(VALU_DEP_3) | instskip(NEXT) | instid1(VALU_DEP_2)
	v_cmp_eq_u32_e32 vcc_lo, 1, v4
	v_cndmask_b32_e64 v3, v5, 1, vcc_lo
; %bb.182:
	s_or_b32 exec_lo, exec_lo, s15
	s_waitcnt lgkmcnt(0)
	v_cmp_lt_f16_e32 vcc_lo, v1, v2
	v_cndmask_b32_e32 v1, v1, v2, vcc_lo
	v_and_b32_e32 v3, 0xff, v3
	s_delay_alu instid0(VALU_DEP_1) | instskip(NEXT) | instid1(VALU_DEP_3)
	v_cmp_eq_u16_e32 vcc_lo, 0, v3
	v_cndmask_b32_e32 v2, v2, v1, vcc_lo
	s_delay_alu instid0(VALU_DEP_1) | instskip(SKIP_1) | instid1(VALU_DEP_1)
	v_cmp_gt_f16_e32 vcc_lo, v64, v2
	v_cndmask_b32_e32 v1, v2, v64, vcc_lo
	v_cndmask_b32_e64 v1, v64, v1, s2
	s_delay_alu instid0(VALU_DEP_1) | instskip(SKIP_1) | instid1(VALU_DEP_1)
	v_cmp_lt_f16_e32 vcc_lo, v1, v18
	v_cndmask_b32_e32 v3, v1, v18, vcc_lo
	v_cndmask_b32_e64 v3, v18, v3, s3
	s_delay_alu instid0(VALU_DEP_1) | instskip(SKIP_1) | instid1(VALU_DEP_1)
	v_cmp_lt_f16_e32 vcc_lo, v3, v63
	;; [unrolled: 4-line block ×20, first 2 shown]
	v_cndmask_b32_e32 v6, v87, v9, vcc_lo
	v_cndmask_b32_e64 v88, v9, v6, s23
	s_branch .LBB48_227
.LBB48_183:
	s_or_b32 exec_lo, exec_lo, s24
                                        ; implicit-def: $vgpr7
	s_and_saveexec_b32 s24, s2
	s_cbranch_execz .LBB48_49
.LBB48_184:
	global_load_u16 v7, v[1:2], off offset:128
	s_or_b32 exec_lo, exec_lo, s24
                                        ; implicit-def: $vgpr8
	s_and_saveexec_b32 s2, s3
	s_cbranch_execnz .LBB48_50
.LBB48_185:
	s_or_b32 exec_lo, exec_lo, s2
                                        ; implicit-def: $vgpr29
	s_and_saveexec_b32 s2, s4
	s_cbranch_execz .LBB48_51
.LBB48_186:
	global_load_u16 v29, v[1:2], off offset:384
	s_or_b32 exec_lo, exec_lo, s2
                                        ; implicit-def: $vgpr32
	s_and_saveexec_b32 s2, s5
	s_cbranch_execnz .LBB48_52
.LBB48_187:
	s_or_b32 exec_lo, exec_lo, s2
                                        ; implicit-def: $vgpr33
	s_and_saveexec_b32 s2, s6
	s_cbranch_execz .LBB48_53
.LBB48_188:
	global_load_u16 v33, v[1:2], off offset:640
	s_or_b32 exec_lo, exec_lo, s2
                                        ; implicit-def: $vgpr34
	s_and_saveexec_b32 s2, s7
	s_cbranch_execnz .LBB48_54
.LBB48_189:
	s_or_b32 exec_lo, exec_lo, s2
                                        ; implicit-def: $vgpr35
	s_and_saveexec_b32 s2, s8
	s_cbranch_execz .LBB48_55
.LBB48_190:
	global_load_u16 v35, v[1:2], off offset:896
	s_or_b32 exec_lo, exec_lo, s2
                                        ; implicit-def: $vgpr36
	s_and_saveexec_b32 s2, s9
	s_cbranch_execnz .LBB48_56
.LBB48_191:
	s_or_b32 exec_lo, exec_lo, s2
                                        ; implicit-def: $vgpr37
	s_and_saveexec_b32 s2, s10
	s_cbranch_execz .LBB48_57
.LBB48_192:
	global_load_u16 v37, v[1:2], off offset:1152
	s_or_b32 exec_lo, exec_lo, s2
                                        ; implicit-def: $vgpr38
	s_and_saveexec_b32 s2, s11
	s_cbranch_execnz .LBB48_58
.LBB48_193:
	s_or_b32 exec_lo, exec_lo, s2
                                        ; implicit-def: $vgpr39
	s_and_saveexec_b32 s2, s12
	s_cbranch_execz .LBB48_59
.LBB48_194:
	global_load_u16 v39, v[1:2], off offset:1408
	s_or_b32 exec_lo, exec_lo, s2
                                        ; implicit-def: $vgpr40
	s_and_saveexec_b32 s2, s13
	s_cbranch_execnz .LBB48_60
.LBB48_195:
	s_or_b32 exec_lo, exec_lo, s2
                                        ; implicit-def: $vgpr41
	s_and_saveexec_b32 s2, s14
	s_cbranch_execz .LBB48_61
.LBB48_196:
	global_load_u16 v41, v[1:2], off offset:1664
	s_or_b32 exec_lo, exec_lo, s2
                                        ; implicit-def: $vgpr42
	s_and_saveexec_b32 s2, s16
	s_cbranch_execnz .LBB48_62
.LBB48_197:
	s_or_b32 exec_lo, exec_lo, s2
                                        ; implicit-def: $vgpr43
	s_and_saveexec_b32 s2, s17
	s_cbranch_execz .LBB48_63
.LBB48_198:
	global_load_u16 v43, v[1:2], off offset:1920
	s_or_b32 exec_lo, exec_lo, s2
                                        ; implicit-def: $vgpr44
	s_and_saveexec_b32 s2, s18
	s_cbranch_execnz .LBB48_64
.LBB48_199:
	s_or_b32 exec_lo, exec_lo, s2
                                        ; implicit-def: $vgpr45
	s_and_saveexec_b32 s2, s19
	s_cbranch_execz .LBB48_65
.LBB48_200:
	global_load_u16 v45, v[1:2], off offset:2176
	s_or_b32 exec_lo, exec_lo, s2
                                        ; implicit-def: $vgpr46
	s_and_saveexec_b32 s2, s20
	s_cbranch_execnz .LBB48_66
.LBB48_201:
	s_or_b32 exec_lo, exec_lo, s2
                                        ; implicit-def: $vgpr47
	s_and_saveexec_b32 s2, s21
	s_cbranch_execz .LBB48_67
.LBB48_202:
	global_load_u16 v47, v[1:2], off offset:2432
	s_or_b32 exec_lo, exec_lo, s2
                                        ; implicit-def: $vgpr48
	s_and_saveexec_b32 s2, s22
	s_cbranch_execz .LBB48_69
	s_branch .LBB48_68
.LBB48_203:
                                        ; implicit-def: $vgpr88
                                        ; implicit-def: $vgpr87
                                        ; implicit-def: $vgpr2
                                        ; implicit-def: $vgpr86
                                        ; implicit-def: $vgpr85
                                        ; implicit-def: $vgpr1
                                        ; implicit-def: $vgpr84
                                        ; implicit-def: $vgpr83
                                        ; implicit-def: $vgpr3
                                        ; implicit-def: $vgpr82
                                        ; implicit-def: $vgpr81
                                        ; implicit-def: $vgpr4
                                        ; implicit-def: $vgpr80
                                        ; implicit-def: $vgpr79
                                        ; implicit-def: $vgpr5
                                        ; implicit-def: $vgpr78
                                        ; implicit-def: $vgpr77
                                        ; implicit-def: $vgpr58
                                        ; implicit-def: $vgpr76
                                        ; implicit-def: $vgpr75
                                        ; implicit-def: $vgpr62
                                        ; implicit-def: $vgpr74
	s_cbranch_execz .LBB48_227
; %bb.204:
	v_cmp_eq_u32_e32 vcc_lo, 0, v0
	s_cmp_lg_u64 s[30:31], 0
	v_cmp_ne_u32_e64 s2, 0, v0
	s_cselect_b32 s3, -1, 0
	s_delay_alu instid0(SALU_CYCLE_1) | instskip(NEXT) | instid1(SALU_CYCLE_1)
	s_and_b32 s3, vcc_lo, s3
	s_and_saveexec_b32 s4, s3
	s_cbranch_execz .LBB48_208
; %bb.205:
	v_dual_mov_b32 v2, 0 :: v_dual_and_b32 v3, 0xff, v33
	s_mov_b32 s5, exec_lo
	global_load_u8 v1, v2, s[30:31] offset:2
	v_cmpx_eq_u16_e32 0, v3
	s_cbranch_execz .LBB48_207
; %bb.206:
	global_load_u16 v2, v2, s[30:31]
	s_waitcnt vmcnt(0)
	v_cmp_lt_f16_e64 s3, v2, v32
	s_delay_alu instid0(VALU_DEP_1)
	v_cndmask_b32_e64 v32, v2, v32, s3
.LBB48_207:
	s_or_b32 exec_lo, exec_lo, s5
	v_and_b32_e32 v2, 1, v33
	s_waitcnt vmcnt(0)
	v_and_b32_e32 v1, 1, v1
	s_delay_alu instid0(VALU_DEP_2) | instskip(NEXT) | instid1(VALU_DEP_1)
	v_cmp_eq_u32_e64 s3, 1, v2
	v_cndmask_b32_e64 v33, v1, 1, s3
.LBB48_208:
	s_or_b32 exec_lo, exec_lo, s4
	v_cmp_gt_f16_e64 s3, v64, v32
	v_or_b32_e32 v2, v30, v53
	v_cmp_eq_u16_e64 s18, 0, v26
	v_cmp_eq_u16_e64 s19, 0, v25
	;; [unrolled: 1-line block ×3, first 2 shown]
	v_cndmask_b32_e64 v1, v32, v64, s3
	v_cmp_eq_u16_e64 s3, 0, v73
	v_or_b32_e32 v2, v2, v52
	v_cmp_eq_u16_e64 s21, 0, v23
	v_cmp_eq_u16_e64 s22, 0, v22
	;; [unrolled: 1-line block ×3, first 2 shown]
	v_cndmask_b32_e64 v1, v64, v1, s3
	v_or_b32_e32 v2, v2, v51
	v_add_lshl_u32 v3, v20, v0, 2
	s_mov_b32 s27, exec_lo
	s_delay_alu instid0(VALU_DEP_3) | instskip(NEXT) | instid1(VALU_DEP_3)
	v_cmp_lt_f16_e64 s4, v1, v18
	v_or_b32_e32 v2, v2, v50
	s_delay_alu instid0(VALU_DEP_2) | instskip(SKIP_1) | instid1(VALU_DEP_3)
	v_cndmask_b32_e64 v1, v1, v18, s4
	v_cmp_eq_u16_e64 s4, 0, v72
	v_or_b32_e32 v2, v2, v48
	s_delay_alu instid0(VALU_DEP_2) | instskip(NEXT) | instid1(VALU_DEP_2)
	v_cndmask_b32_e64 v1, v18, v1, s4
	v_or_b32_e32 v2, v2, v47
	s_delay_alu instid0(VALU_DEP_2) | instskip(NEXT) | instid1(VALU_DEP_2)
	v_cmp_lt_f16_e64 s5, v1, v63
	v_or_b32_e32 v2, v2, v46
	s_delay_alu instid0(VALU_DEP_2) | instskip(SKIP_1) | instid1(VALU_DEP_3)
	v_cndmask_b32_e64 v1, v1, v63, s5
	v_cmp_eq_u16_e64 s5, 0, v71
	v_or_b32_e32 v2, v2, v45
	s_delay_alu instid0(VALU_DEP_2) | instskip(NEXT) | instid1(VALU_DEP_2)
	v_cndmask_b32_e64 v1, v63, v1, s5
	v_or_b32_e32 v2, v2, v44
	s_delay_alu instid0(VALU_DEP_2) | instskip(NEXT) | instid1(VALU_DEP_2)
	;; [unrolled: 10-line block ×5, first 2 shown]
	v_cmp_lt_f16_e64 s9, v1, v60
	v_and_b32_e32 v2, 1, v2
	s_delay_alu instid0(VALU_DEP_2) | instskip(SKIP_1) | instid1(VALU_DEP_3)
	v_cndmask_b32_e64 v1, v1, v60, s9
	v_cmp_eq_u16_e64 s9, 0, v67
	v_cmp_eq_u32_e64 s24, 1, v2
	s_delay_alu instid0(VALU_DEP_2) | instskip(NEXT) | instid1(VALU_DEP_2)
	v_cndmask_b32_e64 v1, v60, v1, s9
	v_cndmask_b32_e64 v2, v33, 1, s24
	s_delay_alu instid0(VALU_DEP_2) | instskip(NEXT) | instid1(VALU_DEP_1)
	v_cmp_lt_f16_e64 s10, v1, v15
	v_cndmask_b32_e64 v1, v1, v15, s10
	v_cmp_eq_u16_e64 s10, 0, v66
	s_delay_alu instid0(VALU_DEP_1) | instskip(NEXT) | instid1(VALU_DEP_1)
	v_cndmask_b32_e64 v1, v15, v1, s10
	v_cmp_lt_f16_e64 s11, v1, v59
	s_delay_alu instid0(VALU_DEP_1) | instskip(SKIP_1) | instid1(VALU_DEP_1)
	v_cndmask_b32_e64 v1, v1, v59, s11
	v_cmp_eq_u16_e64 s11, 0, v65
	v_cndmask_b32_e64 v1, v59, v1, s11
	s_delay_alu instid0(VALU_DEP_1) | instskip(NEXT) | instid1(VALU_DEP_1)
	v_cmp_lt_f16_e64 s12, v1, v14
	v_cndmask_b32_e64 v1, v1, v14, s12
	v_cmp_eq_u16_e64 s12, 0, v55
	s_delay_alu instid0(VALU_DEP_1) | instskip(NEXT) | instid1(VALU_DEP_1)
	v_cndmask_b32_e64 v1, v14, v1, s12
	v_cmp_lt_f16_e64 s13, v1, v57
	s_delay_alu instid0(VALU_DEP_1) | instskip(SKIP_1) | instid1(VALU_DEP_1)
	v_cndmask_b32_e64 v1, v1, v57, s13
	v_cmp_eq_u16_e64 s13, 0, v31
	v_cndmask_b32_e64 v1, v57, v1, s13
	s_delay_alu instid0(VALU_DEP_1) | instskip(NEXT) | instid1(VALU_DEP_1)
	;; [unrolled: 11-line block ×3, first 2 shown]
	v_cmp_lt_f16_e64 s16, v1, v12
	v_cndmask_b32_e64 v1, v1, v12, s16
	v_cmp_eq_u16_e64 s16, 0, v27
	s_delay_alu instid0(VALU_DEP_1) | instskip(NEXT) | instid1(VALU_DEP_1)
	v_cndmask_b32_e64 v1, v12, v1, s16
	v_cmp_lt_f16_e64 s17, v1, v54
	s_delay_alu instid0(VALU_DEP_1) | instskip(NEXT) | instid1(VALU_DEP_1)
	v_cndmask_b32_e64 v1, v1, v54, s17
	v_cndmask_b32_e64 v1, v54, v1, s18
	s_delay_alu instid0(VALU_DEP_1) | instskip(NEXT) | instid1(VALU_DEP_1)
	v_cmp_lt_f16_e64 s17, v1, v11
	v_cndmask_b32_e64 v1, v1, v11, s17
	s_delay_alu instid0(VALU_DEP_1) | instskip(NEXT) | instid1(VALU_DEP_1)
	v_cndmask_b32_e64 v1, v11, v1, s19
	v_cmp_lt_f16_e64 s17, v1, v49
	s_delay_alu instid0(VALU_DEP_1) | instskip(NEXT) | instid1(VALU_DEP_1)
	v_cndmask_b32_e64 v1, v1, v49, s17
	v_cndmask_b32_e64 v1, v49, v1, s20
	s_delay_alu instid0(VALU_DEP_1) | instskip(NEXT) | instid1(VALU_DEP_1)
	v_cmp_lt_f16_e64 s17, v1, v10
	v_cndmask_b32_e64 v1, v1, v10, s17
	;; [unrolled: 9-line block ×3, first 2 shown]
	s_delay_alu instid0(VALU_DEP_1) | instskip(NEXT) | instid1(VALU_DEP_1)
	v_cndmask_b32_e64 v1, v8, v1, s23
	v_cmp_lt_f16_e64 s17, v1, v9
	s_delay_alu instid0(VALU_DEP_1) | instskip(SKIP_1) | instid1(VALU_DEP_1)
	v_cndmask_b32_e64 v1, v1, v9, s17
	v_cmp_eq_u16_e64 s17, 0, v19
	v_cndmask_b32_e64 v1, v9, v1, s17
	ds_store_b16 v3, v1
	ds_store_b8 v3, v2 offset:2
	s_waitcnt lgkmcnt(0)
	s_barrier
	buffer_gl0_inv
	v_cmpx_gt_u32_e32 32, v0
	s_cbranch_execz .LBB48_222
; %bb.209:
	v_lshrrev_b32_e32 v3, 2, v0
                                        ; implicit-def: $vgpr5
                                        ; implicit-def: $vgpr21
	s_delay_alu instid0(VALU_DEP_1) | instskip(NEXT) | instid1(VALU_DEP_1)
	v_and_b32_e32 v3, 12, v3
	v_lshl_or_b32 v3, v0, 3, v3
	ds_load_u8 v20, v3 offset:6
	ds_load_u16 v4, v3
	ds_load_u16 v6, v3 offset:2
	s_waitcnt lgkmcnt(2)
	v_cmp_eq_u16_e64 s24, 0, v20
	v_cmp_ne_u16_e64 s25, 0, v20
	s_delay_alu instid0(VALU_DEP_1) | instskip(NEXT) | instid1(SALU_CYCLE_1)
	s_and_saveexec_b32 s26, s25
	s_xor_b32 s25, exec_lo, s26
	s_cbranch_execz .LBB48_211
; %bb.210:
	ds_load_u16 v5, v3 offset:4
	s_waitcnt lgkmcnt(0)
	v_mov_b32_e32 v21, v5
.LBB48_211:
	s_or_saveexec_b32 s26, s25
	s_delay_alu instid0(VALU_DEP_1)
	v_mov_b32_e32 v7, v21
	v_mov_b32_e32 v22, v5
	s_xor_b32 exec_lo, exec_lo, s26
	s_cbranch_execz .LBB48_213
; %bb.212:
	ds_load_u16 v7, v3 offset:4
	s_waitcnt lgkmcnt(0)
	v_cmp_gt_f16_e64 s25, v7, v4
	s_delay_alu instid0(VALU_DEP_1) | instskip(NEXT) | instid1(VALU_DEP_1)
	v_cndmask_b32_e64 v21, v4, v7, s25
	v_dual_mov_b32 v5, v7 :: v_dual_mov_b32 v22, v21
.LBB48_213:
	s_or_b32 exec_lo, exec_lo, s26
	s_waitcnt lgkmcnt(0)
	v_and_b32_e32 v19, 1, v6
	v_and_b32_e32 v24, 1, v20
	v_lshrrev_b16 v23, 8, v6
	s_mov_b32 s30, exec_lo
	s_delay_alu instid0(VALU_DEP_3) | instskip(NEXT) | instid1(VALU_DEP_3)
	v_lshlrev_b32_e32 v25, 16, v19
	v_cmp_eq_u32_e64 s25, 1, v24
	s_delay_alu instid0(VALU_DEP_3) | instskip(SKIP_1) | instid1(VALU_DEP_3)
	v_lshlrev_b32_e32 v20, 24, v23
	v_mbcnt_lo_u32_b32 v23, -1, 0
	v_cndmask_b32_e64 v24, v25, 0x10000, s25
	v_and_b32_e32 v25, 0xffff, v22
	s_delay_alu instid0(VALU_DEP_2) | instskip(NEXT) | instid1(VALU_DEP_2)
	v_or_b32_e32 v27, v24, v20
	v_or3_b32 v26, v20, v25, v24
	v_and_b32_e32 v25, 15, v23
	s_delay_alu instid0(VALU_DEP_3) | instskip(NEXT) | instid1(VALU_DEP_3)
	v_lshrrev_b32_e32 v24, 16, v27
	v_mov_b32_dpp v28, v26 row_shr:1 row_mask:0xf bank_mask:0xf
	s_delay_alu instid0(VALU_DEP_3)
	v_cmpx_ne_u32_e32 0, v25
	s_cbranch_execz .LBB48_215
; %bb.214:
	s_delay_alu instid0(VALU_DEP_3) | instskip(NEXT) | instid1(VALU_DEP_3)
	v_and_b32_e32 v24, 0xff, v24
	v_cmp_gt_f16_e64 s26, v21, v28
	v_lshrrev_b32_e32 v26, 16, v28
	v_and_b32_e32 v27, 0x10000, v27
	s_delay_alu instid0(VALU_DEP_3) | instskip(SKIP_1) | instid1(VALU_DEP_4)
	v_cndmask_b32_e64 v21, v28, v21, s26
	v_cmp_eq_u16_e64 s26, 0, v24
	v_and_b32_e32 v26, 1, v26
	s_delay_alu instid0(VALU_DEP_2) | instskip(SKIP_1) | instid1(VALU_DEP_2)
	v_cndmask_b32_e64 v22, v22, v21, s26
	v_cmp_ne_u32_e64 s26, 0, v27
	v_and_b32_e32 v21, 0xffff, v22
	s_delay_alu instid0(VALU_DEP_2) | instskip(NEXT) | instid1(VALU_DEP_1)
	v_cndmask_b32_e64 v24, v26, 1, s26
	v_lshlrev_b32_e32 v26, 16, v24
	s_delay_alu instid0(VALU_DEP_1)
	v_or3_b32 v26, v26, v21, v20
	v_mov_b32_e32 v21, v22
.LBB48_215:
	s_or_b32 exec_lo, exec_lo, s30
	s_delay_alu instid0(VALU_DEP_2)
	v_lshrrev_b32_e32 v27, 16, v26
	v_mov_b32_dpp v28, v26 row_shr:2 row_mask:0xf bank_mask:0xf
	s_mov_b32 s30, exec_lo
	v_cmpx_lt_u32_e32 1, v25
	s_cbranch_execz .LBB48_217
; %bb.216:
	v_lshrrev_b32_e32 v24, 16, v26
	v_lshrrev_b32_e32 v27, 16, v28
	v_and_b32_e32 v26, 0x10000, v26
	v_cmp_gt_f16_e64 s26, v21, v28
	s_delay_alu instid0(VALU_DEP_4) | instskip(NEXT) | instid1(VALU_DEP_4)
	v_and_b32_e32 v29, 0xff, v24
	v_and_b32_e32 v24, 1, v27
	s_delay_alu instid0(VALU_DEP_3) | instskip(SKIP_1) | instid1(VALU_DEP_1)
	v_cndmask_b32_e64 v21, v28, v21, s26
	v_cmp_ne_u32_e64 s26, 0, v26
	v_cndmask_b32_e64 v24, v24, 1, s26
	v_cmp_eq_u16_e64 s26, 0, v29
	s_delay_alu instid0(VALU_DEP_2) | instskip(NEXT) | instid1(VALU_DEP_2)
	v_lshlrev_b32_e32 v26, 16, v24
	v_cndmask_b32_e64 v21, v22, v21, s26
	s_delay_alu instid0(VALU_DEP_1) | instskip(NEXT) | instid1(VALU_DEP_1)
	v_dual_mov_b32 v22, v21 :: v_dual_and_b32 v27, 0xffff, v21
	v_or3_b32 v26, v26, v27, v20
	v_mov_b32_e32 v27, v24
.LBB48_217:
	s_or_b32 exec_lo, exec_lo, s30
	s_delay_alu instid0(VALU_DEP_2)
	v_mov_b32_dpp v28, v26 row_shr:4 row_mask:0xf bank_mask:0xf
	s_mov_b32 s30, exec_lo
	v_cmpx_lt_u32_e32 3, v25
	s_cbranch_execz .LBB48_219
; %bb.218:
	v_and_b32_e32 v26, 0xff, v27
	v_cmp_gt_f16_e64 s26, v21, v28
	v_lshrrev_b32_e32 v24, 16, v28
	s_delay_alu instid0(VALU_DEP_2) | instskip(NEXT) | instid1(VALU_DEP_4)
	v_cndmask_b32_e64 v21, v28, v21, s26
	v_cmp_eq_u16_e64 s26, 0, v26
	s_delay_alu instid0(VALU_DEP_3) | instskip(NEXT) | instid1(VALU_DEP_2)
	v_and_b32_e32 v24, 1, v24
	v_cndmask_b32_e64 v21, v22, v21, s26
	s_delay_alu instid0(VALU_DEP_1) | instskip(NEXT) | instid1(VALU_DEP_1)
	v_dual_mov_b32 v22, v21 :: v_dual_and_b32 v27, 1, v27
	v_cmp_eq_u32_e64 s26, 1, v27
	v_and_b32_e32 v26, 0xffff, v21
	s_delay_alu instid0(VALU_DEP_2) | instskip(NEXT) | instid1(VALU_DEP_1)
	v_cndmask_b32_e64 v24, v24, 1, s26
	v_lshlrev_b32_e32 v27, 16, v24
	s_delay_alu instid0(VALU_DEP_1)
	v_or3_b32 v26, v27, v26, v20
	v_mov_b32_e32 v27, v24
.LBB48_219:
	s_or_b32 exec_lo, exec_lo, s30
	s_delay_alu instid0(VALU_DEP_2)
	v_mov_b32_dpp v28, v26 row_shr:8 row_mask:0xf bank_mask:0xf
	s_mov_b32 s30, exec_lo
	v_cmpx_lt_u32_e32 7, v25
	s_cbranch_execz .LBB48_221
; %bb.220:
	v_and_b32_e32 v25, 0xff, v27
	v_cmp_gt_f16_e64 s26, v21, v28
	v_lshrrev_b32_e32 v24, 16, v28
	v_and_b32_e32 v26, 1, v27
	s_delay_alu instid0(VALU_DEP_3) | instskip(SKIP_1) | instid1(VALU_DEP_4)
	v_cndmask_b32_e64 v21, v28, v21, s26
	v_cmp_eq_u16_e64 s26, 0, v25
	v_and_b32_e32 v24, 1, v24
	s_delay_alu instid0(VALU_DEP_2) | instskip(SKIP_1) | instid1(VALU_DEP_2)
	v_cndmask_b32_e64 v21, v22, v21, s26
	v_cmp_eq_u32_e64 s26, 1, v26
	v_and_b32_e32 v25, 0xffff, v21
	s_delay_alu instid0(VALU_DEP_2) | instskip(NEXT) | instid1(VALU_DEP_1)
	v_cndmask_b32_e64 v24, v24, 1, s26
	v_dual_mov_b32 v22, v21 :: v_dual_mov_b32 v27, v24
	v_lshlrev_b32_e32 v26, 16, v24
	s_delay_alu instid0(VALU_DEP_1)
	v_or3_b32 v26, v26, v25, v20
.LBB48_221:
	s_or_b32 exec_lo, exec_lo, s30
	ds_swizzle_b32 v25, v26 offset:swizzle(BROADCAST,32,15)
	v_and_b32_e32 v28, 0xff, v27
	v_and_b32_e32 v27, 1, v27
	v_and_b32_e32 v29, 16, v23
	v_and_b32_e32 v6, 0xff, v6
	s_waitcnt lgkmcnt(0)
	v_lshrrev_b32_e32 v26, 16, v25
	v_cmp_gt_f16_e64 s26, v21, v25
	s_delay_alu instid0(VALU_DEP_2) | instskip(NEXT) | instid1(VALU_DEP_2)
	v_and_b32_e32 v26, 1, v26
	v_cndmask_b32_e64 v21, v25, v21, s26
	v_cmp_eq_u32_e64 s26, 1, v27
	s_delay_alu instid0(VALU_DEP_1) | instskip(SKIP_1) | instid1(VALU_DEP_1)
	v_cndmask_b32_e64 v25, v26, 1, s26
	v_cmp_eq_u16_e64 s26, 0, v28
	v_cndmask_b32_e64 v21, v22, v21, s26
	v_cmp_eq_u32_e64 s26, 0, v29
	s_delay_alu instid0(VALU_DEP_1) | instskip(SKIP_1) | instid1(VALU_DEP_4)
	v_cndmask_b32_e64 v24, v25, v24, s26
	v_add_nc_u32_e32 v25, -1, v23
	v_cndmask_b32_e64 v21, v21, v22, s26
	s_delay_alu instid0(VALU_DEP_3) | instskip(NEXT) | instid1(VALU_DEP_3)
	v_and_b32_e32 v22, 0xff, v24
	v_cmp_gt_i32_e64 s26, 0, v25
	s_delay_alu instid0(VALU_DEP_3) | instskip(NEXT) | instid1(VALU_DEP_3)
	v_and_b32_e32 v21, 0xffff, v21
	v_lshlrev_b32_e32 v22, 16, v22
	s_delay_alu instid0(VALU_DEP_3) | instskip(NEXT) | instid1(VALU_DEP_2)
	v_cndmask_b32_e64 v23, v25, v23, s26
	v_or3_b32 v20, v22, v21, v20
	s_delay_alu instid0(VALU_DEP_2) | instskip(SKIP_3) | instid1(VALU_DEP_1)
	v_lshlrev_b32_e32 v23, 2, v23
	ds_bpermute_b32 v20, v23, v20
	s_waitcnt lgkmcnt(0)
	v_cmp_gt_f16_e64 s26, v4, v20
	v_cndmask_b32_e64 v21, v20, v4, s26
	v_cmp_eq_u16_e64 s26, 0, v6
	v_lshrrev_b32_e32 v20, 16, v20
	s_delay_alu instid0(VALU_DEP_2) | instskip(NEXT) | instid1(VALU_DEP_2)
	v_cndmask_b32_e64 v4, v4, v21, s26
	v_and_b32_e32 v6, 1, v20
	v_cmp_eq_u32_e64 s26, 1, v19
	s_delay_alu instid0(VALU_DEP_3) | instskip(NEXT) | instid1(VALU_DEP_2)
	v_cndmask_b32_e32 v4, v4, v1, vcc_lo
	v_cndmask_b32_e64 v6, v6, 1, s26
	s_delay_alu instid0(VALU_DEP_2) | instskip(NEXT) | instid1(VALU_DEP_2)
	v_cmp_gt_f16_e64 s26, v7, v4
	v_cndmask_b32_e32 v2, v6, v2, vcc_lo
	s_delay_alu instid0(VALU_DEP_2) | instskip(NEXT) | instid1(VALU_DEP_2)
	v_cndmask_b32_e64 v7, v4, v7, s26
	v_cndmask_b32_e64 v6, v2, 1, s25
	s_delay_alu instid0(VALU_DEP_2)
	v_cndmask_b32_e64 v5, v5, v7, s24
	ds_store_b16 v3, v4
	ds_store_b8 v3, v2 offset:2
	ds_store_b16 v3, v5 offset:4
	ds_store_b8 v3, v6 offset:6
.LBB48_222:
	s_or_b32 exec_lo, exec_lo, s27
	s_waitcnt lgkmcnt(0)
	s_barrier
	buffer_gl0_inv
	s_and_saveexec_b32 s24, s2
	s_cbranch_execz .LBB48_224
; %bb.223:
	v_add_nc_u32_e32 v1, -1, v0
	s_delay_alu instid0(VALU_DEP_1) | instskip(NEXT) | instid1(VALU_DEP_1)
	v_lshrrev_b32_e32 v2, 5, v1
	v_add_lshl_u32 v1, v2, v1, 2
	ds_load_u16 v1, v1
.LBB48_224:
	s_or_b32 exec_lo, exec_lo, s24
	v_and_b32_e32 v2, 0xff, v33
	s_waitcnt lgkmcnt(0)
	v_cmp_lt_f16_e64 s2, v1, v32
	s_delay_alu instid0(VALU_DEP_1) | instskip(NEXT) | instid1(VALU_DEP_3)
	v_cndmask_b32_e64 v1, v1, v32, s2
	v_cmp_eq_u16_e64 s2, 0, v2
	s_delay_alu instid0(VALU_DEP_1) | instskip(NEXT) | instid1(VALU_DEP_1)
	v_cndmask_b32_e64 v2, v32, v1, s2
	v_cndmask_b32_e32 v1, v2, v32, vcc_lo
	s_delay_alu instid0(VALU_DEP_1) | instskip(NEXT) | instid1(VALU_DEP_1)
	v_cmp_lt_f16_e64 s2, v1, v64
	v_cndmask_b32_e64 v1, v1, v64, s2
	s_delay_alu instid0(VALU_DEP_1) | instskip(NEXT) | instid1(VALU_DEP_1)
	v_cndmask_b32_e64 v1, v64, v1, s3
	v_cmp_lt_f16_e64 s2, v1, v18
	s_delay_alu instid0(VALU_DEP_1) | instskip(NEXT) | instid1(VALU_DEP_1)
	v_cndmask_b32_e64 v3, v1, v18, s2
	v_cndmask_b32_e64 v3, v18, v3, s4
	s_delay_alu instid0(VALU_DEP_1) | instskip(NEXT) | instid1(VALU_DEP_1)
	v_cmp_lt_f16_e64 s2, v3, v63
	v_cndmask_b32_e64 v4, v3, v63, s2
	s_delay_alu instid0(VALU_DEP_1) | instskip(NEXT) | instid1(VALU_DEP_1)
	v_cndmask_b32_e64 v4, v63, v4, s5
	v_cmp_lt_f16_e64 s2, v4, v17
	s_delay_alu instid0(VALU_DEP_1) | instskip(NEXT) | instid1(VALU_DEP_1)
	v_cndmask_b32_e64 v5, v4, v17, s2
	v_cndmask_b32_e64 v5, v17, v5, s6
	;; [unrolled: 9-line block ×10, first 2 shown]
	s_delay_alu instid0(VALU_DEP_1) | instskip(NEXT) | instid1(VALU_DEP_1)
	v_cmp_lt_f16_e64 s2, v87, v9
	v_cndmask_b32_e64 v6, v87, v9, s2
	s_and_saveexec_b32 s2, vcc_lo
	s_cbranch_execz .LBB48_226
; %bb.225:
	v_mov_b32_e32 v10, 0
	v_mov_b32_e32 v8, 2
	ds_load_u8 v2, v10 offset:258
	ds_load_u16 v7, v10 offset:256
	s_waitcnt lgkmcnt(1)
	v_lshlrev_b32_e32 v2, 16, v2
	s_waitcnt lgkmcnt(0)
	s_delay_alu instid0(VALU_DEP_1)
	v_or_b32_e32 v7, v2, v7
	v_mov_b32_e32 v2, v32
	global_store_b64 v10, v[7:8], s[36:37] offset:256
.LBB48_226:
	s_or_b32 exec_lo, exec_lo, s2
	s_delay_alu instid0(VALU_DEP_1)
	v_cndmask_b32_e64 v88, v9, v6, s17
.LBB48_227:
	s_load_b64 s[0:1], s[0:1], 0x18
	v_mul_u32_u24_e32 v17, 22, v0
	v_perm_b32 v6, v4, v3, 0x5040100
	v_perm_b32 v7, v1, v2, 0x5040100
	;; [unrolled: 1-line block ×11, first 2 shown]
	v_lshlrev_b32_e32 v5, 1, v17
	v_lshlrev_b32_e32 v4, 1, v0
	s_waitcnt lgkmcnt(0)
	s_add_u32 s0, s0, s28
	s_addc_u32 s1, s1, s29
	s_and_b32 vcc_lo, exec_lo, s39
	s_cbranch_vccz .LBB48_271
; %bb.228:
	v_mad_i32_i24 v1, 0xffffffd6, v0, v5
	s_waitcnt_vscnt null, 0x0
	s_barrier
	buffer_gl0_inv
	ds_store_2addr_b32 v5, v7, v6 offset1:1
	ds_store_2addr_b32 v5, v9, v8 offset0:2 offset1:3
	ds_store_2addr_b32 v5, v11, v10 offset0:4 offset1:5
	;; [unrolled: 1-line block ×4, first 2 shown]
	ds_store_b32 v5, v16 offset:40
	s_waitcnt lgkmcnt(0)
	s_barrier
	buffer_gl0_inv
	ds_load_u16 v37, v1 offset:128
	ds_load_u16 v36, v1 offset:256
	;; [unrolled: 1-line block ×21, first 2 shown]
	v_add_co_u32 v2, s2, s0, v4
	v_mov_b32_e32 v1, 0
	v_add_co_ci_u32_e64 v3, null, s1, 0, s2
	s_add_i32 s33, s33, s38
	s_mov_b32 s2, exec_lo
	v_cmpx_gt_u32_e64 s33, v0
	s_cbranch_execz .LBB48_230
; %bb.229:
	v_mul_i32_i24_e32 v38, 0xffffffd6, v0
	s_delay_alu instid0(VALU_DEP_1)
	v_add_nc_u32_e32 v38, v5, v38
	ds_load_u16 v38, v38
	s_waitcnt lgkmcnt(0)
	global_store_b16 v[2:3], v38, off
.LBB48_230:
	s_or_b32 exec_lo, exec_lo, s2
	v_or_b32_e32 v38, 64, v0
	s_mov_b32 s2, exec_lo
	s_delay_alu instid0(VALU_DEP_1)
	v_cmpx_gt_u32_e64 s33, v38
	s_cbranch_execz .LBB48_232
; %bb.231:
	s_waitcnt lgkmcnt(20)
	global_store_b16 v[2:3], v37, off offset:128
.LBB48_232:
	s_or_b32 exec_lo, exec_lo, s2
	s_waitcnt lgkmcnt(20)
	v_or_b32_e32 v37, 0x80, v0
	s_mov_b32 s2, exec_lo
	s_delay_alu instid0(VALU_DEP_1)
	v_cmpx_gt_u32_e64 s33, v37
	s_cbranch_execz .LBB48_234
; %bb.233:
	s_waitcnt lgkmcnt(19)
	global_store_b16 v[2:3], v36, off offset:256
.LBB48_234:
	s_or_b32 exec_lo, exec_lo, s2
	s_waitcnt lgkmcnt(19)
	;; [unrolled: 11-line block ×19, first 2 shown]
	v_or_b32_e32 v19, 0x500, v0
	s_mov_b32 s2, exec_lo
	s_delay_alu instid0(VALU_DEP_1)
	v_cmpx_gt_u32_e64 s33, v19
	s_cbranch_execz .LBB48_270
; %bb.269:
	s_waitcnt lgkmcnt(1)
	global_store_b16 v[2:3], v18, off offset:2560
.LBB48_270:
	s_or_b32 exec_lo, exec_lo, s2
	v_or_b32_e32 v2, 0x540, v0
	s_delay_alu instid0(VALU_DEP_1)
	v_cmp_gt_u32_e64 s2, s33, v2
	s_branch .LBB48_273
.LBB48_271:
	s_mov_b32 s2, 0
                                        ; implicit-def: $vgpr17
	s_cbranch_execz .LBB48_273
; %bb.272:
	v_mad_i32_i24 v2, 0xffffffd6, v0, v5
	s_waitcnt lgkmcnt(0)
	s_waitcnt_vscnt null, 0x0
	s_barrier
	buffer_gl0_inv
	ds_store_2addr_b32 v5, v7, v6 offset1:1
	ds_store_2addr_b32 v5, v9, v8 offset0:2 offset1:3
	ds_store_2addr_b32 v5, v11, v10 offset0:4 offset1:5
	;; [unrolled: 1-line block ×4, first 2 shown]
	ds_store_b32 v5, v16 offset:40
	s_waitcnt lgkmcnt(0)
	s_barrier
	buffer_gl0_inv
	ds_load_u16 v3, v2
	ds_load_u16 v5, v2 offset:128
	ds_load_u16 v6, v2 offset:256
	;; [unrolled: 1-line block ×21, first 2 shown]
	v_mov_b32_e32 v1, 0
	s_or_b32 s2, s2, exec_lo
	s_waitcnt lgkmcnt(21)
	global_store_b16 v4, v3, s[0:1]
	s_waitcnt lgkmcnt(20)
	global_store_b16 v4, v5, s[0:1] offset:128
	s_waitcnt lgkmcnt(19)
	global_store_b16 v4, v6, s[0:1] offset:256
	;; [unrolled: 2-line block ×20, first 2 shown]
.LBB48_273:
	s_delay_alu instid0(VALU_DEP_1)
	s_and_saveexec_b32 s3, s2
	s_cbranch_execz .LBB48_275
; %bb.274:
	v_lshlrev_b64 v[0:1], 1, v[0:1]
	s_delay_alu instid0(VALU_DEP_1) | instskip(NEXT) | instid1(VALU_DEP_2)
	v_add_co_u32 v0, vcc_lo, s0, v0
	v_add_co_ci_u32_e32 v1, vcc_lo, s1, v1, vcc_lo
	s_waitcnt lgkmcnt(0)
	global_store_b16 v[0:1], v17, off offset:2688
	s_nop 0
	s_sendmsg sendmsg(MSG_DEALLOC_VGPRS)
	s_endpgm
.LBB48_275:
	s_nop 0
	s_sendmsg sendmsg(MSG_DEALLOC_VGPRS)
	s_endpgm
	.section	.rodata,"a",@progbits
	.p2align	6, 0x0
	.amdhsa_kernel _ZN7rocprim6detail25device_scan_by_key_kernelILNS0_25lookback_scan_determinismE0ELb0ENS0_26wrapped_scan_by_key_configINS_14default_configEi6__halfEEPiN6hipcub22TransformInputIteratorIS5_NS8_6CastOpIS5_EEPS5_lEESC_S5_NS8_8EqualityENS8_3MaxENS0_19lookback_scan_stateINS_5tupleIJS5_bEEELb0ELb1EEES5_EEvT2_T3_T4_T5_T6_T7_T8_mmmPKNSH_IJT9_bEEE
		.amdhsa_group_segment_fixed_size 6144
		.amdhsa_private_segment_fixed_size 0
		.amdhsa_kernarg_size 80
		.amdhsa_user_sgpr_count 15
		.amdhsa_user_sgpr_dispatch_ptr 0
		.amdhsa_user_sgpr_queue_ptr 0
		.amdhsa_user_sgpr_kernarg_segment_ptr 1
		.amdhsa_user_sgpr_dispatch_id 0
		.amdhsa_user_sgpr_private_segment_size 0
		.amdhsa_wavefront_size32 1
		.amdhsa_uses_dynamic_stack 0
		.amdhsa_enable_private_segment 0
		.amdhsa_system_sgpr_workgroup_id_x 1
		.amdhsa_system_sgpr_workgroup_id_y 0
		.amdhsa_system_sgpr_workgroup_id_z 0
		.amdhsa_system_sgpr_workgroup_info 0
		.amdhsa_system_vgpr_workitem_id 0
		.amdhsa_next_free_vgpr 90
		.amdhsa_next_free_sgpr 45
		.amdhsa_reserve_vcc 1
		.amdhsa_float_round_mode_32 0
		.amdhsa_float_round_mode_16_64 0
		.amdhsa_float_denorm_mode_32 3
		.amdhsa_float_denorm_mode_16_64 3
		.amdhsa_dx10_clamp 1
		.amdhsa_ieee_mode 1
		.amdhsa_fp16_overflow 0
		.amdhsa_workgroup_processor_mode 1
		.amdhsa_memory_ordered 1
		.amdhsa_forward_progress 0
		.amdhsa_shared_vgpr_count 0
		.amdhsa_exception_fp_ieee_invalid_op 0
		.amdhsa_exception_fp_denorm_src 0
		.amdhsa_exception_fp_ieee_div_zero 0
		.amdhsa_exception_fp_ieee_overflow 0
		.amdhsa_exception_fp_ieee_underflow 0
		.amdhsa_exception_fp_ieee_inexact 0
		.amdhsa_exception_int_div_zero 0
	.end_amdhsa_kernel
	.section	.text._ZN7rocprim6detail25device_scan_by_key_kernelILNS0_25lookback_scan_determinismE0ELb0ENS0_26wrapped_scan_by_key_configINS_14default_configEi6__halfEEPiN6hipcub22TransformInputIteratorIS5_NS8_6CastOpIS5_EEPS5_lEESC_S5_NS8_8EqualityENS8_3MaxENS0_19lookback_scan_stateINS_5tupleIJS5_bEEELb0ELb1EEES5_EEvT2_T3_T4_T5_T6_T7_T8_mmmPKNSH_IJT9_bEEE,"axG",@progbits,_ZN7rocprim6detail25device_scan_by_key_kernelILNS0_25lookback_scan_determinismE0ELb0ENS0_26wrapped_scan_by_key_configINS_14default_configEi6__halfEEPiN6hipcub22TransformInputIteratorIS5_NS8_6CastOpIS5_EEPS5_lEESC_S5_NS8_8EqualityENS8_3MaxENS0_19lookback_scan_stateINS_5tupleIJS5_bEEELb0ELb1EEES5_EEvT2_T3_T4_T5_T6_T7_T8_mmmPKNSH_IJT9_bEEE,comdat
.Lfunc_end48:
	.size	_ZN7rocprim6detail25device_scan_by_key_kernelILNS0_25lookback_scan_determinismE0ELb0ENS0_26wrapped_scan_by_key_configINS_14default_configEi6__halfEEPiN6hipcub22TransformInputIteratorIS5_NS8_6CastOpIS5_EEPS5_lEESC_S5_NS8_8EqualityENS8_3MaxENS0_19lookback_scan_stateINS_5tupleIJS5_bEEELb0ELb1EEES5_EEvT2_T3_T4_T5_T6_T7_T8_mmmPKNSH_IJT9_bEEE, .Lfunc_end48-_ZN7rocprim6detail25device_scan_by_key_kernelILNS0_25lookback_scan_determinismE0ELb0ENS0_26wrapped_scan_by_key_configINS_14default_configEi6__halfEEPiN6hipcub22TransformInputIteratorIS5_NS8_6CastOpIS5_EEPS5_lEESC_S5_NS8_8EqualityENS8_3MaxENS0_19lookback_scan_stateINS_5tupleIJS5_bEEELb0ELb1EEES5_EEvT2_T3_T4_T5_T6_T7_T8_mmmPKNSH_IJT9_bEEE
                                        ; -- End function
	.section	.AMDGPU.csdata,"",@progbits
; Kernel info:
; codeLenInByte = 16752
; NumSgprs: 47
; NumVgprs: 90
; ScratchSize: 0
; MemoryBound: 0
; FloatMode: 240
; IeeeMode: 1
; LDSByteSize: 6144 bytes/workgroup (compile time only)
; SGPRBlocks: 5
; VGPRBlocks: 11
; NumSGPRsForWavesPerEU: 47
; NumVGPRsForWavesPerEU: 90
; Occupancy: 11
; WaveLimiterHint : 1
; COMPUTE_PGM_RSRC2:SCRATCH_EN: 0
; COMPUTE_PGM_RSRC2:USER_SGPR: 15
; COMPUTE_PGM_RSRC2:TRAP_HANDLER: 0
; COMPUTE_PGM_RSRC2:TGID_X_EN: 1
; COMPUTE_PGM_RSRC2:TGID_Y_EN: 0
; COMPUTE_PGM_RSRC2:TGID_Z_EN: 0
; COMPUTE_PGM_RSRC2:TIDIG_COMP_CNT: 0
	.section	.text._ZN7rocprim6detail31init_lookback_scan_state_kernelINS0_19lookback_scan_stateINS_5tupleIJ12hip_bfloat16bEEELb1ELb1EEEEEvT_jjPNS7_10value_typeE,"axG",@progbits,_ZN7rocprim6detail31init_lookback_scan_state_kernelINS0_19lookback_scan_stateINS_5tupleIJ12hip_bfloat16bEEELb1ELb1EEEEEvT_jjPNS7_10value_typeE,comdat
	.protected	_ZN7rocprim6detail31init_lookback_scan_state_kernelINS0_19lookback_scan_stateINS_5tupleIJ12hip_bfloat16bEEELb1ELb1EEEEEvT_jjPNS7_10value_typeE ; -- Begin function _ZN7rocprim6detail31init_lookback_scan_state_kernelINS0_19lookback_scan_stateINS_5tupleIJ12hip_bfloat16bEEELb1ELb1EEEEEvT_jjPNS7_10value_typeE
	.globl	_ZN7rocprim6detail31init_lookback_scan_state_kernelINS0_19lookback_scan_stateINS_5tupleIJ12hip_bfloat16bEEELb1ELb1EEEEEvT_jjPNS7_10value_typeE
	.p2align	8
	.type	_ZN7rocprim6detail31init_lookback_scan_state_kernelINS0_19lookback_scan_stateINS_5tupleIJ12hip_bfloat16bEEELb1ELb1EEEEEvT_jjPNS7_10value_typeE,@function
_ZN7rocprim6detail31init_lookback_scan_state_kernelINS0_19lookback_scan_stateINS_5tupleIJ12hip_bfloat16bEEELb1ELb1EEEEEvT_jjPNS7_10value_typeE: ; @_ZN7rocprim6detail31init_lookback_scan_state_kernelINS0_19lookback_scan_stateINS_5tupleIJ12hip_bfloat16bEEELb1ELb1EEEEEvT_jjPNS7_10value_typeE
; %bb.0:
	s_clause 0x2
	s_load_b32 s6, s[0:1], 0x24
	s_load_b64 s[4:5], s[0:1], 0x10
	s_load_b128 s[0:3], s[0:1], 0x0
	s_waitcnt lgkmcnt(0)
	s_and_b32 s6, s6, 0xffff
	s_cmp_eq_u64 s[4:5], 0
	v_mad_u64_u32 v[1:2], null, s15, s6, v[0:1]
	s_cbranch_scc1 .LBB49_9
; %bb.1:
	s_cmp_lt_u32 s3, s2
	s_mov_b32 s7, 0
	s_cselect_b32 s6, s3, 0
	s_mov_b32 s8, exec_lo
	s_delay_alu instid0(VALU_DEP_1)
	v_cmpx_eq_u32_e64 s6, v1
	s_cbranch_execz .LBB49_8
; %bb.2:
	s_add_i32 s6, s3, 32
	v_mov_b32_e32 v2, 0
	s_lshl_b64 s[6:7], s[6:7], 3
	s_delay_alu instid0(SALU_CYCLE_1) | instskip(SKIP_4) | instid1(VALU_DEP_1)
	s_add_u32 s6, s0, s6
	s_addc_u32 s7, s1, s7
	global_load_b64 v[4:5], v2, s[6:7] glc
	s_waitcnt vmcnt(0)
	v_and_b32_e32 v3, 0xff, v5
	v_cmp_ne_u64_e32 vcc_lo, 0, v[2:3]
	s_cbranch_vccnz .LBB49_7
; %bb.3:
	s_mov_b32 s3, 1
.LBB49_4:                               ; =>This Loop Header: Depth=1
                                        ;     Child Loop BB49_5 Depth 2
	s_delay_alu instid0(SALU_CYCLE_1)
	s_max_u32 s9, s3, 1
.LBB49_5:                               ;   Parent Loop BB49_4 Depth=1
                                        ; =>  This Inner Loop Header: Depth=2
	s_delay_alu instid0(SALU_CYCLE_1)
	s_add_i32 s9, s9, -1
	s_sleep 1
	s_cmp_eq_u32 s9, 0
	s_cbranch_scc0 .LBB49_5
; %bb.6:                                ;   in Loop: Header=BB49_4 Depth=1
	global_load_b64 v[4:5], v2, s[6:7] glc
	s_cmp_lt_u32 s3, 32
	s_cselect_b32 s9, -1, 0
	s_delay_alu instid0(SALU_CYCLE_1) | instskip(SKIP_3) | instid1(VALU_DEP_1)
	s_cmp_lg_u32 s9, 0
	s_addc_u32 s3, s3, 0
	s_waitcnt vmcnt(0)
	v_and_b32_e32 v3, 0xff, v5
	v_cmp_ne_u64_e32 vcc_lo, 0, v[2:3]
	s_cbranch_vccz .LBB49_4
.LBB49_7:
	v_mov_b32_e32 v0, 0
	s_clause 0x1
	global_store_b16 v0, v4, s[4:5]
	global_store_d16_hi_b8 v0, v4, s[4:5] offset:2
.LBB49_8:
	s_or_b32 exec_lo, exec_lo, s8
.LBB49_9:
	s_delay_alu instid0(VALU_DEP_1)
	v_cmp_gt_u32_e32 vcc_lo, s2, v1
	s_and_saveexec_b32 s2, vcc_lo
	s_cbranch_execz .LBB49_11
; %bb.10:
	v_dual_mov_b32 v3, 0 :: v_dual_add_nc_u32 v2, 32, v1
	s_delay_alu instid0(VALU_DEP_1) | instskip(SKIP_1) | instid1(VALU_DEP_2)
	v_lshlrev_b64 v[4:5], 3, v[2:3]
	v_mov_b32_e32 v2, v3
	v_add_co_u32 v4, vcc_lo, s0, v4
	s_delay_alu instid0(VALU_DEP_3)
	v_add_co_ci_u32_e32 v5, vcc_lo, s1, v5, vcc_lo
	global_store_b64 v[4:5], v[2:3], off
.LBB49_11:
	s_or_b32 exec_lo, exec_lo, s2
	s_delay_alu instid0(SALU_CYCLE_1)
	s_mov_b32 s2, exec_lo
	v_cmpx_gt_u32_e32 32, v1
	s_cbranch_execz .LBB49_13
; %bb.12:
	v_dual_mov_b32 v2, 0 :: v_dual_mov_b32 v3, 0xff
	s_delay_alu instid0(VALU_DEP_1) | instskip(NEXT) | instid1(VALU_DEP_1)
	v_lshlrev_b64 v[0:1], 3, v[1:2]
	v_add_co_u32 v0, vcc_lo, s0, v0
	s_delay_alu instid0(VALU_DEP_2)
	v_add_co_ci_u32_e32 v1, vcc_lo, s1, v1, vcc_lo
	global_store_b64 v[0:1], v[2:3], off
.LBB49_13:
	s_nop 0
	s_sendmsg sendmsg(MSG_DEALLOC_VGPRS)
	s_endpgm
	.section	.rodata,"a",@progbits
	.p2align	6, 0x0
	.amdhsa_kernel _ZN7rocprim6detail31init_lookback_scan_state_kernelINS0_19lookback_scan_stateINS_5tupleIJ12hip_bfloat16bEEELb1ELb1EEEEEvT_jjPNS7_10value_typeE
		.amdhsa_group_segment_fixed_size 0
		.amdhsa_private_segment_fixed_size 0
		.amdhsa_kernarg_size 280
		.amdhsa_user_sgpr_count 15
		.amdhsa_user_sgpr_dispatch_ptr 0
		.amdhsa_user_sgpr_queue_ptr 0
		.amdhsa_user_sgpr_kernarg_segment_ptr 1
		.amdhsa_user_sgpr_dispatch_id 0
		.amdhsa_user_sgpr_private_segment_size 0
		.amdhsa_wavefront_size32 1
		.amdhsa_uses_dynamic_stack 0
		.amdhsa_enable_private_segment 0
		.amdhsa_system_sgpr_workgroup_id_x 1
		.amdhsa_system_sgpr_workgroup_id_y 0
		.amdhsa_system_sgpr_workgroup_id_z 0
		.amdhsa_system_sgpr_workgroup_info 0
		.amdhsa_system_vgpr_workitem_id 0
		.amdhsa_next_free_vgpr 6
		.amdhsa_next_free_sgpr 16
		.amdhsa_reserve_vcc 1
		.amdhsa_float_round_mode_32 0
		.amdhsa_float_round_mode_16_64 0
		.amdhsa_float_denorm_mode_32 3
		.amdhsa_float_denorm_mode_16_64 3
		.amdhsa_dx10_clamp 1
		.amdhsa_ieee_mode 1
		.amdhsa_fp16_overflow 0
		.amdhsa_workgroup_processor_mode 1
		.amdhsa_memory_ordered 1
		.amdhsa_forward_progress 0
		.amdhsa_shared_vgpr_count 0
		.amdhsa_exception_fp_ieee_invalid_op 0
		.amdhsa_exception_fp_denorm_src 0
		.amdhsa_exception_fp_ieee_div_zero 0
		.amdhsa_exception_fp_ieee_overflow 0
		.amdhsa_exception_fp_ieee_underflow 0
		.amdhsa_exception_fp_ieee_inexact 0
		.amdhsa_exception_int_div_zero 0
	.end_amdhsa_kernel
	.section	.text._ZN7rocprim6detail31init_lookback_scan_state_kernelINS0_19lookback_scan_stateINS_5tupleIJ12hip_bfloat16bEEELb1ELb1EEEEEvT_jjPNS7_10value_typeE,"axG",@progbits,_ZN7rocprim6detail31init_lookback_scan_state_kernelINS0_19lookback_scan_stateINS_5tupleIJ12hip_bfloat16bEEELb1ELb1EEEEEvT_jjPNS7_10value_typeE,comdat
.Lfunc_end49:
	.size	_ZN7rocprim6detail31init_lookback_scan_state_kernelINS0_19lookback_scan_stateINS_5tupleIJ12hip_bfloat16bEEELb1ELb1EEEEEvT_jjPNS7_10value_typeE, .Lfunc_end49-_ZN7rocprim6detail31init_lookback_scan_state_kernelINS0_19lookback_scan_stateINS_5tupleIJ12hip_bfloat16bEEELb1ELb1EEEEEvT_jjPNS7_10value_typeE
                                        ; -- End function
	.section	.AMDGPU.csdata,"",@progbits
; Kernel info:
; codeLenInByte = 392
; NumSgprs: 18
; NumVgprs: 6
; ScratchSize: 0
; MemoryBound: 0
; FloatMode: 240
; IeeeMode: 1
; LDSByteSize: 0 bytes/workgroup (compile time only)
; SGPRBlocks: 2
; VGPRBlocks: 0
; NumSGPRsForWavesPerEU: 18
; NumVGPRsForWavesPerEU: 6
; Occupancy: 16
; WaveLimiterHint : 0
; COMPUTE_PGM_RSRC2:SCRATCH_EN: 0
; COMPUTE_PGM_RSRC2:USER_SGPR: 15
; COMPUTE_PGM_RSRC2:TRAP_HANDLER: 0
; COMPUTE_PGM_RSRC2:TGID_X_EN: 1
; COMPUTE_PGM_RSRC2:TGID_Y_EN: 0
; COMPUTE_PGM_RSRC2:TGID_Z_EN: 0
; COMPUTE_PGM_RSRC2:TIDIG_COMP_CNT: 0
	.section	.text._ZN7rocprim6detail31init_lookback_scan_state_kernelINS0_19lookback_scan_stateINS_5tupleIJ12hip_bfloat16bEEELb0ELb1EEEEEvT_jjPNS7_10value_typeE,"axG",@progbits,_ZN7rocprim6detail31init_lookback_scan_state_kernelINS0_19lookback_scan_stateINS_5tupleIJ12hip_bfloat16bEEELb0ELb1EEEEEvT_jjPNS7_10value_typeE,comdat
	.protected	_ZN7rocprim6detail31init_lookback_scan_state_kernelINS0_19lookback_scan_stateINS_5tupleIJ12hip_bfloat16bEEELb0ELb1EEEEEvT_jjPNS7_10value_typeE ; -- Begin function _ZN7rocprim6detail31init_lookback_scan_state_kernelINS0_19lookback_scan_stateINS_5tupleIJ12hip_bfloat16bEEELb0ELb1EEEEEvT_jjPNS7_10value_typeE
	.globl	_ZN7rocprim6detail31init_lookback_scan_state_kernelINS0_19lookback_scan_stateINS_5tupleIJ12hip_bfloat16bEEELb0ELb1EEEEEvT_jjPNS7_10value_typeE
	.p2align	8
	.type	_ZN7rocprim6detail31init_lookback_scan_state_kernelINS0_19lookback_scan_stateINS_5tupleIJ12hip_bfloat16bEEELb0ELb1EEEEEvT_jjPNS7_10value_typeE,@function
_ZN7rocprim6detail31init_lookback_scan_state_kernelINS0_19lookback_scan_stateINS_5tupleIJ12hip_bfloat16bEEELb0ELb1EEEEEvT_jjPNS7_10value_typeE: ; @_ZN7rocprim6detail31init_lookback_scan_state_kernelINS0_19lookback_scan_stateINS_5tupleIJ12hip_bfloat16bEEELb0ELb1EEEEEvT_jjPNS7_10value_typeE
; %bb.0:
	s_clause 0x2
	s_load_b32 s6, s[0:1], 0x24
	s_load_b64 s[4:5], s[0:1], 0x10
	s_load_b128 s[0:3], s[0:1], 0x0
	s_waitcnt lgkmcnt(0)
	s_and_b32 s6, s6, 0xffff
	s_cmp_eq_u64 s[4:5], 0
	v_mad_u64_u32 v[1:2], null, s15, s6, v[0:1]
	s_cbranch_scc1 .LBB50_6
; %bb.1:
	s_cmp_lt_u32 s3, s2
	s_mov_b32 s7, 0
	s_cselect_b32 s6, s3, 0
	s_mov_b32 s8, exec_lo
	s_delay_alu instid0(VALU_DEP_1)
	v_cmpx_eq_u32_e64 s6, v1
	s_cbranch_execz .LBB50_5
; %bb.2:
	s_add_i32 s6, s3, 32
	v_mov_b32_e32 v4, 0
	s_lshl_b64 s[6:7], s[6:7], 3
	s_delay_alu instid0(SALU_CYCLE_1) | instskip(SKIP_4) | instid1(VALU_DEP_1)
	s_add_u32 s6, s0, s6
	s_addc_u32 s7, s1, s7
	global_load_b64 v[2:3], v4, s[6:7] glc
	s_waitcnt vmcnt(0)
	v_and_b32_e32 v5, 0xff, v3
	v_cmp_ne_u64_e32 vcc_lo, 0, v[4:5]
	s_cbranch_vccnz .LBB50_4
.LBB50_3:                               ; =>This Inner Loop Header: Depth=1
	global_load_b64 v[2:3], v4, s[6:7] glc
	s_waitcnt vmcnt(0)
	v_and_b32_e32 v5, 0xff, v3
	s_delay_alu instid0(VALU_DEP_1)
	v_cmp_eq_u64_e32 vcc_lo, 0, v[4:5]
	s_cbranch_vccnz .LBB50_3
.LBB50_4:
	v_mov_b32_e32 v0, 0
	s_clause 0x1
	global_store_b16 v0, v2, s[4:5]
	global_store_d16_hi_b8 v0, v2, s[4:5] offset:2
.LBB50_5:
	s_or_b32 exec_lo, exec_lo, s8
.LBB50_6:
	s_delay_alu instid0(VALU_DEP_1)
	v_cmp_gt_u32_e32 vcc_lo, s2, v1
	s_and_saveexec_b32 s2, vcc_lo
	s_cbranch_execz .LBB50_8
; %bb.7:
	v_dual_mov_b32 v3, 0 :: v_dual_add_nc_u32 v2, 32, v1
	s_delay_alu instid0(VALU_DEP_1) | instskip(SKIP_1) | instid1(VALU_DEP_2)
	v_lshlrev_b64 v[4:5], 3, v[2:3]
	v_mov_b32_e32 v2, v3
	v_add_co_u32 v4, vcc_lo, s0, v4
	s_delay_alu instid0(VALU_DEP_3)
	v_add_co_ci_u32_e32 v5, vcc_lo, s1, v5, vcc_lo
	global_store_b64 v[4:5], v[2:3], off
.LBB50_8:
	s_or_b32 exec_lo, exec_lo, s2
	s_delay_alu instid0(SALU_CYCLE_1)
	s_mov_b32 s2, exec_lo
	v_cmpx_gt_u32_e32 32, v1
	s_cbranch_execz .LBB50_10
; %bb.9:
	v_dual_mov_b32 v2, 0 :: v_dual_mov_b32 v3, 0xff
	s_delay_alu instid0(VALU_DEP_1) | instskip(NEXT) | instid1(VALU_DEP_1)
	v_lshlrev_b64 v[0:1], 3, v[1:2]
	v_add_co_u32 v0, vcc_lo, s0, v0
	s_delay_alu instid0(VALU_DEP_2)
	v_add_co_ci_u32_e32 v1, vcc_lo, s1, v1, vcc_lo
	global_store_b64 v[0:1], v[2:3], off
.LBB50_10:
	s_nop 0
	s_sendmsg sendmsg(MSG_DEALLOC_VGPRS)
	s_endpgm
	.section	.rodata,"a",@progbits
	.p2align	6, 0x0
	.amdhsa_kernel _ZN7rocprim6detail31init_lookback_scan_state_kernelINS0_19lookback_scan_stateINS_5tupleIJ12hip_bfloat16bEEELb0ELb1EEEEEvT_jjPNS7_10value_typeE
		.amdhsa_group_segment_fixed_size 0
		.amdhsa_private_segment_fixed_size 0
		.amdhsa_kernarg_size 280
		.amdhsa_user_sgpr_count 15
		.amdhsa_user_sgpr_dispatch_ptr 0
		.amdhsa_user_sgpr_queue_ptr 0
		.amdhsa_user_sgpr_kernarg_segment_ptr 1
		.amdhsa_user_sgpr_dispatch_id 0
		.amdhsa_user_sgpr_private_segment_size 0
		.amdhsa_wavefront_size32 1
		.amdhsa_uses_dynamic_stack 0
		.amdhsa_enable_private_segment 0
		.amdhsa_system_sgpr_workgroup_id_x 1
		.amdhsa_system_sgpr_workgroup_id_y 0
		.amdhsa_system_sgpr_workgroup_id_z 0
		.amdhsa_system_sgpr_workgroup_info 0
		.amdhsa_system_vgpr_workitem_id 0
		.amdhsa_next_free_vgpr 6
		.amdhsa_next_free_sgpr 16
		.amdhsa_reserve_vcc 1
		.amdhsa_float_round_mode_32 0
		.amdhsa_float_round_mode_16_64 0
		.amdhsa_float_denorm_mode_32 3
		.amdhsa_float_denorm_mode_16_64 3
		.amdhsa_dx10_clamp 1
		.amdhsa_ieee_mode 1
		.amdhsa_fp16_overflow 0
		.amdhsa_workgroup_processor_mode 1
		.amdhsa_memory_ordered 1
		.amdhsa_forward_progress 0
		.amdhsa_shared_vgpr_count 0
		.amdhsa_exception_fp_ieee_invalid_op 0
		.amdhsa_exception_fp_denorm_src 0
		.amdhsa_exception_fp_ieee_div_zero 0
		.amdhsa_exception_fp_ieee_overflow 0
		.amdhsa_exception_fp_ieee_underflow 0
		.amdhsa_exception_fp_ieee_inexact 0
		.amdhsa_exception_int_div_zero 0
	.end_amdhsa_kernel
	.section	.text._ZN7rocprim6detail31init_lookback_scan_state_kernelINS0_19lookback_scan_stateINS_5tupleIJ12hip_bfloat16bEEELb0ELb1EEEEEvT_jjPNS7_10value_typeE,"axG",@progbits,_ZN7rocprim6detail31init_lookback_scan_state_kernelINS0_19lookback_scan_stateINS_5tupleIJ12hip_bfloat16bEEELb0ELb1EEEEEvT_jjPNS7_10value_typeE,comdat
.Lfunc_end50:
	.size	_ZN7rocprim6detail31init_lookback_scan_state_kernelINS0_19lookback_scan_stateINS_5tupleIJ12hip_bfloat16bEEELb0ELb1EEEEEvT_jjPNS7_10value_typeE, .Lfunc_end50-_ZN7rocprim6detail31init_lookback_scan_state_kernelINS0_19lookback_scan_stateINS_5tupleIJ12hip_bfloat16bEEELb0ELb1EEEEEvT_jjPNS7_10value_typeE
                                        ; -- End function
	.section	.AMDGPU.csdata,"",@progbits
; Kernel info:
; codeLenInByte = 344
; NumSgprs: 18
; NumVgprs: 6
; ScratchSize: 0
; MemoryBound: 0
; FloatMode: 240
; IeeeMode: 1
; LDSByteSize: 0 bytes/workgroup (compile time only)
; SGPRBlocks: 2
; VGPRBlocks: 0
; NumSGPRsForWavesPerEU: 18
; NumVGPRsForWavesPerEU: 6
; Occupancy: 16
; WaveLimiterHint : 0
; COMPUTE_PGM_RSRC2:SCRATCH_EN: 0
; COMPUTE_PGM_RSRC2:USER_SGPR: 15
; COMPUTE_PGM_RSRC2:TRAP_HANDLER: 0
; COMPUTE_PGM_RSRC2:TGID_X_EN: 1
; COMPUTE_PGM_RSRC2:TGID_Y_EN: 0
; COMPUTE_PGM_RSRC2:TGID_Z_EN: 0
; COMPUTE_PGM_RSRC2:TIDIG_COMP_CNT: 0
	.section	.text._ZN7rocprim6detail25device_scan_by_key_kernelILNS0_25lookback_scan_determinismE0ELb0ENS0_26wrapped_scan_by_key_configINS_14default_configEi12hip_bfloat16EEPiN6hipcub22TransformInputIteratorIS5_NS8_6CastOpIS5_EEPS5_lEESC_S5_NS8_8EqualityENS8_3SumENS0_19lookback_scan_stateINS_5tupleIJS5_bEEELb1ELb1EEES5_EEvT2_T3_T4_T5_T6_T7_T8_mmmPKNSH_IJT9_bEEE,"axG",@progbits,_ZN7rocprim6detail25device_scan_by_key_kernelILNS0_25lookback_scan_determinismE0ELb0ENS0_26wrapped_scan_by_key_configINS_14default_configEi12hip_bfloat16EEPiN6hipcub22TransformInputIteratorIS5_NS8_6CastOpIS5_EEPS5_lEESC_S5_NS8_8EqualityENS8_3SumENS0_19lookback_scan_stateINS_5tupleIJS5_bEEELb1ELb1EEES5_EEvT2_T3_T4_T5_T6_T7_T8_mmmPKNSH_IJT9_bEEE,comdat
	.protected	_ZN7rocprim6detail25device_scan_by_key_kernelILNS0_25lookback_scan_determinismE0ELb0ENS0_26wrapped_scan_by_key_configINS_14default_configEi12hip_bfloat16EEPiN6hipcub22TransformInputIteratorIS5_NS8_6CastOpIS5_EEPS5_lEESC_S5_NS8_8EqualityENS8_3SumENS0_19lookback_scan_stateINS_5tupleIJS5_bEEELb1ELb1EEES5_EEvT2_T3_T4_T5_T6_T7_T8_mmmPKNSH_IJT9_bEEE ; -- Begin function _ZN7rocprim6detail25device_scan_by_key_kernelILNS0_25lookback_scan_determinismE0ELb0ENS0_26wrapped_scan_by_key_configINS_14default_configEi12hip_bfloat16EEPiN6hipcub22TransformInputIteratorIS5_NS8_6CastOpIS5_EEPS5_lEESC_S5_NS8_8EqualityENS8_3SumENS0_19lookback_scan_stateINS_5tupleIJS5_bEEELb1ELb1EEES5_EEvT2_T3_T4_T5_T6_T7_T8_mmmPKNSH_IJT9_bEEE
	.globl	_ZN7rocprim6detail25device_scan_by_key_kernelILNS0_25lookback_scan_determinismE0ELb0ENS0_26wrapped_scan_by_key_configINS_14default_configEi12hip_bfloat16EEPiN6hipcub22TransformInputIteratorIS5_NS8_6CastOpIS5_EEPS5_lEESC_S5_NS8_8EqualityENS8_3SumENS0_19lookback_scan_stateINS_5tupleIJS5_bEEELb1ELb1EEES5_EEvT2_T3_T4_T5_T6_T7_T8_mmmPKNSH_IJT9_bEEE
	.p2align	8
	.type	_ZN7rocprim6detail25device_scan_by_key_kernelILNS0_25lookback_scan_determinismE0ELb0ENS0_26wrapped_scan_by_key_configINS_14default_configEi12hip_bfloat16EEPiN6hipcub22TransformInputIteratorIS5_NS8_6CastOpIS5_EEPS5_lEESC_S5_NS8_8EqualityENS8_3SumENS0_19lookback_scan_stateINS_5tupleIJS5_bEEELb1ELb1EEES5_EEvT2_T3_T4_T5_T6_T7_T8_mmmPKNSH_IJT9_bEEE,@function
_ZN7rocprim6detail25device_scan_by_key_kernelILNS0_25lookback_scan_determinismE0ELb0ENS0_26wrapped_scan_by_key_configINS_14default_configEi12hip_bfloat16EEPiN6hipcub22TransformInputIteratorIS5_NS8_6CastOpIS5_EEPS5_lEESC_S5_NS8_8EqualityENS8_3SumENS0_19lookback_scan_stateINS_5tupleIJS5_bEEELb1ELb1EEES5_EEvT2_T3_T4_T5_T6_T7_T8_mmmPKNSH_IJT9_bEEE: ; @_ZN7rocprim6detail25device_scan_by_key_kernelILNS0_25lookback_scan_determinismE0ELb0ENS0_26wrapped_scan_by_key_configINS_14default_configEi12hip_bfloat16EEPiN6hipcub22TransformInputIteratorIS5_NS8_6CastOpIS5_EEPS5_lEESC_S5_NS8_8EqualityENS8_3SumENS0_19lookback_scan_stateINS_5tupleIJS5_bEEELb1ELb1EEES5_EEvT2_T3_T4_T5_T6_T7_T8_mmmPKNSH_IJT9_bEEE
; %bb.0:
	s_endpgm
	.section	.rodata,"a",@progbits
	.p2align	6, 0x0
	.amdhsa_kernel _ZN7rocprim6detail25device_scan_by_key_kernelILNS0_25lookback_scan_determinismE0ELb0ENS0_26wrapped_scan_by_key_configINS_14default_configEi12hip_bfloat16EEPiN6hipcub22TransformInputIteratorIS5_NS8_6CastOpIS5_EEPS5_lEESC_S5_NS8_8EqualityENS8_3SumENS0_19lookback_scan_stateINS_5tupleIJS5_bEEELb1ELb1EEES5_EEvT2_T3_T4_T5_T6_T7_T8_mmmPKNSH_IJT9_bEEE
		.amdhsa_group_segment_fixed_size 0
		.amdhsa_private_segment_fixed_size 0
		.amdhsa_kernarg_size 80
		.amdhsa_user_sgpr_count 15
		.amdhsa_user_sgpr_dispatch_ptr 0
		.amdhsa_user_sgpr_queue_ptr 0
		.amdhsa_user_sgpr_kernarg_segment_ptr 1
		.amdhsa_user_sgpr_dispatch_id 0
		.amdhsa_user_sgpr_private_segment_size 0
		.amdhsa_wavefront_size32 1
		.amdhsa_uses_dynamic_stack 0
		.amdhsa_enable_private_segment 0
		.amdhsa_system_sgpr_workgroup_id_x 1
		.amdhsa_system_sgpr_workgroup_id_y 0
		.amdhsa_system_sgpr_workgroup_id_z 0
		.amdhsa_system_sgpr_workgroup_info 0
		.amdhsa_system_vgpr_workitem_id 0
		.amdhsa_next_free_vgpr 1
		.amdhsa_next_free_sgpr 1
		.amdhsa_reserve_vcc 0
		.amdhsa_float_round_mode_32 0
		.amdhsa_float_round_mode_16_64 0
		.amdhsa_float_denorm_mode_32 3
		.amdhsa_float_denorm_mode_16_64 3
		.amdhsa_dx10_clamp 1
		.amdhsa_ieee_mode 1
		.amdhsa_fp16_overflow 0
		.amdhsa_workgroup_processor_mode 1
		.amdhsa_memory_ordered 1
		.amdhsa_forward_progress 0
		.amdhsa_shared_vgpr_count 0
		.amdhsa_exception_fp_ieee_invalid_op 0
		.amdhsa_exception_fp_denorm_src 0
		.amdhsa_exception_fp_ieee_div_zero 0
		.amdhsa_exception_fp_ieee_overflow 0
		.amdhsa_exception_fp_ieee_underflow 0
		.amdhsa_exception_fp_ieee_inexact 0
		.amdhsa_exception_int_div_zero 0
	.end_amdhsa_kernel
	.section	.text._ZN7rocprim6detail25device_scan_by_key_kernelILNS0_25lookback_scan_determinismE0ELb0ENS0_26wrapped_scan_by_key_configINS_14default_configEi12hip_bfloat16EEPiN6hipcub22TransformInputIteratorIS5_NS8_6CastOpIS5_EEPS5_lEESC_S5_NS8_8EqualityENS8_3SumENS0_19lookback_scan_stateINS_5tupleIJS5_bEEELb1ELb1EEES5_EEvT2_T3_T4_T5_T6_T7_T8_mmmPKNSH_IJT9_bEEE,"axG",@progbits,_ZN7rocprim6detail25device_scan_by_key_kernelILNS0_25lookback_scan_determinismE0ELb0ENS0_26wrapped_scan_by_key_configINS_14default_configEi12hip_bfloat16EEPiN6hipcub22TransformInputIteratorIS5_NS8_6CastOpIS5_EEPS5_lEESC_S5_NS8_8EqualityENS8_3SumENS0_19lookback_scan_stateINS_5tupleIJS5_bEEELb1ELb1EEES5_EEvT2_T3_T4_T5_T6_T7_T8_mmmPKNSH_IJT9_bEEE,comdat
.Lfunc_end51:
	.size	_ZN7rocprim6detail25device_scan_by_key_kernelILNS0_25lookback_scan_determinismE0ELb0ENS0_26wrapped_scan_by_key_configINS_14default_configEi12hip_bfloat16EEPiN6hipcub22TransformInputIteratorIS5_NS8_6CastOpIS5_EEPS5_lEESC_S5_NS8_8EqualityENS8_3SumENS0_19lookback_scan_stateINS_5tupleIJS5_bEEELb1ELb1EEES5_EEvT2_T3_T4_T5_T6_T7_T8_mmmPKNSH_IJT9_bEEE, .Lfunc_end51-_ZN7rocprim6detail25device_scan_by_key_kernelILNS0_25lookback_scan_determinismE0ELb0ENS0_26wrapped_scan_by_key_configINS_14default_configEi12hip_bfloat16EEPiN6hipcub22TransformInputIteratorIS5_NS8_6CastOpIS5_EEPS5_lEESC_S5_NS8_8EqualityENS8_3SumENS0_19lookback_scan_stateINS_5tupleIJS5_bEEELb1ELb1EEES5_EEvT2_T3_T4_T5_T6_T7_T8_mmmPKNSH_IJT9_bEEE
                                        ; -- End function
	.section	.AMDGPU.csdata,"",@progbits
; Kernel info:
; codeLenInByte = 4
; NumSgprs: 0
; NumVgprs: 0
; ScratchSize: 0
; MemoryBound: 0
; FloatMode: 240
; IeeeMode: 1
; LDSByteSize: 0 bytes/workgroup (compile time only)
; SGPRBlocks: 0
; VGPRBlocks: 0
; NumSGPRsForWavesPerEU: 1
; NumVGPRsForWavesPerEU: 1
; Occupancy: 16
; WaveLimiterHint : 0
; COMPUTE_PGM_RSRC2:SCRATCH_EN: 0
; COMPUTE_PGM_RSRC2:USER_SGPR: 15
; COMPUTE_PGM_RSRC2:TRAP_HANDLER: 0
; COMPUTE_PGM_RSRC2:TGID_X_EN: 1
; COMPUTE_PGM_RSRC2:TGID_Y_EN: 0
; COMPUTE_PGM_RSRC2:TGID_Z_EN: 0
; COMPUTE_PGM_RSRC2:TIDIG_COMP_CNT: 0
	.section	.text._ZN7rocprim6detail25device_scan_by_key_kernelILNS0_25lookback_scan_determinismE0ELb0ENS0_26wrapped_scan_by_key_configINS_14default_configEi12hip_bfloat16EEPiN6hipcub22TransformInputIteratorIS5_NS8_6CastOpIS5_EEPS5_lEESC_S5_NS8_8EqualityENS8_3SumENS0_19lookback_scan_stateINS_5tupleIJS5_bEEELb0ELb1EEES5_EEvT2_T3_T4_T5_T6_T7_T8_mmmPKNSH_IJT9_bEEE,"axG",@progbits,_ZN7rocprim6detail25device_scan_by_key_kernelILNS0_25lookback_scan_determinismE0ELb0ENS0_26wrapped_scan_by_key_configINS_14default_configEi12hip_bfloat16EEPiN6hipcub22TransformInputIteratorIS5_NS8_6CastOpIS5_EEPS5_lEESC_S5_NS8_8EqualityENS8_3SumENS0_19lookback_scan_stateINS_5tupleIJS5_bEEELb0ELb1EEES5_EEvT2_T3_T4_T5_T6_T7_T8_mmmPKNSH_IJT9_bEEE,comdat
	.protected	_ZN7rocprim6detail25device_scan_by_key_kernelILNS0_25lookback_scan_determinismE0ELb0ENS0_26wrapped_scan_by_key_configINS_14default_configEi12hip_bfloat16EEPiN6hipcub22TransformInputIteratorIS5_NS8_6CastOpIS5_EEPS5_lEESC_S5_NS8_8EqualityENS8_3SumENS0_19lookback_scan_stateINS_5tupleIJS5_bEEELb0ELb1EEES5_EEvT2_T3_T4_T5_T6_T7_T8_mmmPKNSH_IJT9_bEEE ; -- Begin function _ZN7rocprim6detail25device_scan_by_key_kernelILNS0_25lookback_scan_determinismE0ELb0ENS0_26wrapped_scan_by_key_configINS_14default_configEi12hip_bfloat16EEPiN6hipcub22TransformInputIteratorIS5_NS8_6CastOpIS5_EEPS5_lEESC_S5_NS8_8EqualityENS8_3SumENS0_19lookback_scan_stateINS_5tupleIJS5_bEEELb0ELb1EEES5_EEvT2_T3_T4_T5_T6_T7_T8_mmmPKNSH_IJT9_bEEE
	.globl	_ZN7rocprim6detail25device_scan_by_key_kernelILNS0_25lookback_scan_determinismE0ELb0ENS0_26wrapped_scan_by_key_configINS_14default_configEi12hip_bfloat16EEPiN6hipcub22TransformInputIteratorIS5_NS8_6CastOpIS5_EEPS5_lEESC_S5_NS8_8EqualityENS8_3SumENS0_19lookback_scan_stateINS_5tupleIJS5_bEEELb0ELb1EEES5_EEvT2_T3_T4_T5_T6_T7_T8_mmmPKNSH_IJT9_bEEE
	.p2align	8
	.type	_ZN7rocprim6detail25device_scan_by_key_kernelILNS0_25lookback_scan_determinismE0ELb0ENS0_26wrapped_scan_by_key_configINS_14default_configEi12hip_bfloat16EEPiN6hipcub22TransformInputIteratorIS5_NS8_6CastOpIS5_EEPS5_lEESC_S5_NS8_8EqualityENS8_3SumENS0_19lookback_scan_stateINS_5tupleIJS5_bEEELb0ELb1EEES5_EEvT2_T3_T4_T5_T6_T7_T8_mmmPKNSH_IJT9_bEEE,@function
_ZN7rocprim6detail25device_scan_by_key_kernelILNS0_25lookback_scan_determinismE0ELb0ENS0_26wrapped_scan_by_key_configINS_14default_configEi12hip_bfloat16EEPiN6hipcub22TransformInputIteratorIS5_NS8_6CastOpIS5_EEPS5_lEESC_S5_NS8_8EqualityENS8_3SumENS0_19lookback_scan_stateINS_5tupleIJS5_bEEELb0ELb1EEES5_EEvT2_T3_T4_T5_T6_T7_T8_mmmPKNSH_IJT9_bEEE: ; @_ZN7rocprim6detail25device_scan_by_key_kernelILNS0_25lookback_scan_determinismE0ELb0ENS0_26wrapped_scan_by_key_configINS_14default_configEi12hip_bfloat16EEPiN6hipcub22TransformInputIteratorIS5_NS8_6CastOpIS5_EEPS5_lEESC_S5_NS8_8EqualityENS8_3SumENS0_19lookback_scan_stateINS_5tupleIJS5_bEEELb0ELb1EEES5_EEvT2_T3_T4_T5_T6_T7_T8_mmmPKNSH_IJT9_bEEE
; %bb.0:
	s_clause 0x1
	s_load_b128 s[4:7], s[0:1], 0x0
	s_load_b256 s[36:43], s[0:1], 0x28
	s_mov_b32 s3, 0
	s_mul_i32 s2, s15, 0x580
	s_load_b64 s[30:31], s[0:1], 0x48
	s_lshl_b64 s[8:9], s[2:3], 2
	v_lshlrev_b32_e32 v48, 2, v0
	s_waitcnt lgkmcnt(0)
	s_add_u32 s34, s4, s8
	s_addc_u32 s35, s5, s9
	s_lshl_b64 s[28:29], s[2:3], 1
	s_delay_alu instid0(SALU_CYCLE_1)
	s_add_u32 s26, s6, s28
	s_addc_u32 s27, s7, s29
	s_add_u32 s4, s15, s40
	s_addc_u32 s5, 0, s41
	s_add_u32 s6, s42, -1
	s_addc_u32 s7, s43, -1
	s_mul_i32 s33, s6, 0xfffffa80
	v_cmp_ge_u64_e64 s39, s[4:5], s[6:7]
	s_delay_alu instid0(VALU_DEP_1)
	s_and_b32 vcc_lo, exec_lo, s39
	s_cbranch_vccz .LBB52_114
; %bb.1:
	s_load_b32 s24, s[34:35], 0x0
	s_add_i32 s25, s33, s38
	v_add_co_u32 v1, s2, s34, v48
	s_delay_alu instid0(VALU_DEP_1)
	v_add_co_ci_u32_e64 v2, null, s35, 0, s2
	v_cmp_gt_u32_e32 vcc_lo, s25, v0
	s_waitcnt lgkmcnt(0)
	v_mov_b32_e32 v3, s24
	s_and_saveexec_b32 s2, vcc_lo
	s_cbranch_execz .LBB52_3
; %bb.2:
	global_load_b32 v3, v[1:2], off
.LBB52_3:
	s_or_b32 exec_lo, exec_lo, s2
	v_or_b32_e32 v4, 64, v0
	s_delay_alu instid0(VALU_DEP_1) | instskip(SKIP_1) | instid1(VALU_DEP_2)
	v_cmp_gt_u32_e64 s2, s25, v4
	v_mov_b32_e32 v4, s24
	s_and_saveexec_b32 s3, s2
	s_cbranch_execz .LBB52_5
; %bb.4:
	global_load_b32 v4, v[1:2], off offset:256
.LBB52_5:
	s_or_b32 exec_lo, exec_lo, s3
	v_or_b32_e32 v5, 0x80, v0
	s_delay_alu instid0(VALU_DEP_1) | instskip(SKIP_1) | instid1(VALU_DEP_2)
	v_cmp_gt_u32_e64 s3, s25, v5
	v_mov_b32_e32 v5, s24
	s_and_saveexec_b32 s4, s3
	s_cbranch_execz .LBB52_7
; %bb.6:
	global_load_b32 v5, v[1:2], off offset:512
.LBB52_7:
	s_or_b32 exec_lo, exec_lo, s4
	v_or_b32_e32 v6, 0xc0, v0
	s_delay_alu instid0(VALU_DEP_1) | instskip(SKIP_1) | instid1(VALU_DEP_2)
	v_cmp_gt_u32_e64 s4, s25, v6
	v_mov_b32_e32 v6, s24
	s_and_saveexec_b32 s5, s4
	s_cbranch_execz .LBB52_9
; %bb.8:
	global_load_b32 v6, v[1:2], off offset:768
.LBB52_9:
	s_or_b32 exec_lo, exec_lo, s5
	v_or_b32_e32 v7, 0x100, v0
	s_delay_alu instid0(VALU_DEP_1) | instskip(SKIP_1) | instid1(VALU_DEP_2)
	v_cmp_gt_u32_e64 s5, s25, v7
	v_mov_b32_e32 v7, s24
	s_and_saveexec_b32 s6, s5
	s_cbranch_execz .LBB52_11
; %bb.10:
	global_load_b32 v7, v[1:2], off offset:1024
.LBB52_11:
	s_or_b32 exec_lo, exec_lo, s6
	v_or_b32_e32 v8, 0x140, v0
	s_delay_alu instid0(VALU_DEP_1) | instskip(SKIP_1) | instid1(VALU_DEP_2)
	v_cmp_gt_u32_e64 s6, s25, v8
	v_mov_b32_e32 v8, s24
	s_and_saveexec_b32 s7, s6
	s_cbranch_execz .LBB52_13
; %bb.12:
	global_load_b32 v8, v[1:2], off offset:1280
.LBB52_13:
	s_or_b32 exec_lo, exec_lo, s7
	v_or_b32_e32 v9, 0x180, v0
	s_delay_alu instid0(VALU_DEP_1) | instskip(SKIP_1) | instid1(VALU_DEP_2)
	v_cmp_gt_u32_e64 s7, s25, v9
	v_mov_b32_e32 v9, s24
	s_and_saveexec_b32 s8, s7
	s_cbranch_execz .LBB52_15
; %bb.14:
	global_load_b32 v9, v[1:2], off offset:1536
.LBB52_15:
	s_or_b32 exec_lo, exec_lo, s8
	v_or_b32_e32 v10, 0x1c0, v0
	s_delay_alu instid0(VALU_DEP_1) | instskip(SKIP_1) | instid1(VALU_DEP_2)
	v_cmp_gt_u32_e64 s8, s25, v10
	v_mov_b32_e32 v10, s24
	s_and_saveexec_b32 s9, s8
	s_cbranch_execz .LBB52_17
; %bb.16:
	global_load_b32 v10, v[1:2], off offset:1792
.LBB52_17:
	s_or_b32 exec_lo, exec_lo, s9
	v_or_b32_e32 v11, 0x200, v0
	s_delay_alu instid0(VALU_DEP_1) | instskip(SKIP_1) | instid1(VALU_DEP_2)
	v_cmp_gt_u32_e64 s9, s25, v11
	v_mov_b32_e32 v11, s24
	s_and_saveexec_b32 s10, s9
	s_cbranch_execz .LBB52_19
; %bb.18:
	global_load_b32 v11, v[1:2], off offset:2048
.LBB52_19:
	s_or_b32 exec_lo, exec_lo, s10
	v_or_b32_e32 v12, 0x240, v0
	s_delay_alu instid0(VALU_DEP_1) | instskip(SKIP_1) | instid1(VALU_DEP_2)
	v_cmp_gt_u32_e64 s10, s25, v12
	v_mov_b32_e32 v12, s24
	s_and_saveexec_b32 s11, s10
	s_cbranch_execz .LBB52_21
; %bb.20:
	global_load_b32 v12, v[1:2], off offset:2304
.LBB52_21:
	s_or_b32 exec_lo, exec_lo, s11
	v_or_b32_e32 v13, 0x280, v0
	s_delay_alu instid0(VALU_DEP_1) | instskip(SKIP_1) | instid1(VALU_DEP_2)
	v_cmp_gt_u32_e64 s11, s25, v13
	v_mov_b32_e32 v13, s24
	s_and_saveexec_b32 s12, s11
	s_cbranch_execz .LBB52_23
; %bb.22:
	global_load_b32 v13, v[1:2], off offset:2560
.LBB52_23:
	s_or_b32 exec_lo, exec_lo, s12
	v_or_b32_e32 v14, 0x2c0, v0
	s_delay_alu instid0(VALU_DEP_1) | instskip(SKIP_1) | instid1(VALU_DEP_2)
	v_cmp_gt_u32_e64 s12, s25, v14
	v_mov_b32_e32 v14, s24
	s_and_saveexec_b32 s13, s12
	s_cbranch_execz .LBB52_25
; %bb.24:
	global_load_b32 v14, v[1:2], off offset:2816
.LBB52_25:
	s_or_b32 exec_lo, exec_lo, s13
	v_or_b32_e32 v15, 0x300, v0
	s_delay_alu instid0(VALU_DEP_1) | instskip(SKIP_1) | instid1(VALU_DEP_2)
	v_cmp_gt_u32_e64 s13, s25, v15
	v_mov_b32_e32 v15, s24
	s_and_saveexec_b32 s14, s13
	s_cbranch_execz .LBB52_27
; %bb.26:
	global_load_b32 v15, v[1:2], off offset:3072
.LBB52_27:
	s_or_b32 exec_lo, exec_lo, s14
	v_or_b32_e32 v16, 0x340, v0
	s_delay_alu instid0(VALU_DEP_1) | instskip(SKIP_1) | instid1(VALU_DEP_2)
	v_cmp_gt_u32_e64 s14, s25, v16
	v_mov_b32_e32 v16, s24
	s_and_saveexec_b32 s16, s14
	s_cbranch_execz .LBB52_29
; %bb.28:
	global_load_b32 v16, v[1:2], off offset:3328
.LBB52_29:
	s_or_b32 exec_lo, exec_lo, s16
	v_or_b32_e32 v17, 0x380, v0
	s_delay_alu instid0(VALU_DEP_1) | instskip(SKIP_1) | instid1(VALU_DEP_2)
	v_cmp_gt_u32_e64 s16, s25, v17
	v_mov_b32_e32 v17, s24
	s_and_saveexec_b32 s17, s16
	s_cbranch_execz .LBB52_31
; %bb.30:
	global_load_b32 v17, v[1:2], off offset:3584
.LBB52_31:
	s_or_b32 exec_lo, exec_lo, s17
	v_or_b32_e32 v18, 0x3c0, v0
	s_delay_alu instid0(VALU_DEP_1) | instskip(SKIP_1) | instid1(VALU_DEP_2)
	v_cmp_gt_u32_e64 s17, s25, v18
	v_mov_b32_e32 v18, s24
	s_and_saveexec_b32 s18, s17
	s_cbranch_execz .LBB52_33
; %bb.32:
	global_load_b32 v18, v[1:2], off offset:3840
.LBB52_33:
	s_or_b32 exec_lo, exec_lo, s18
	v_or_b32_e32 v19, 0x400, v0
	s_delay_alu instid0(VALU_DEP_1) | instskip(SKIP_1) | instid1(VALU_DEP_2)
	v_cmp_gt_u32_e64 s18, s25, v19
	v_mov_b32_e32 v19, s24
	s_and_saveexec_b32 s20, s18
	s_cbranch_execz .LBB52_35
; %bb.34:
	v_add_co_u32 v19, s19, 0x1000, v1
	s_delay_alu instid0(VALU_DEP_1)
	v_add_co_ci_u32_e64 v20, s19, 0, v2, s19
	global_load_b32 v19, v[19:20], off
.LBB52_35:
	s_or_b32 exec_lo, exec_lo, s20
	v_or_b32_e32 v20, 0x440, v0
	s_delay_alu instid0(VALU_DEP_1) | instskip(SKIP_1) | instid1(VALU_DEP_2)
	v_cmp_gt_u32_e64 s19, s25, v20
	v_mov_b32_e32 v20, s24
	s_and_saveexec_b32 s21, s19
	s_cbranch_execz .LBB52_37
; %bb.36:
	v_add_co_u32 v20, s20, 0x1000, v1
	s_delay_alu instid0(VALU_DEP_1)
	v_add_co_ci_u32_e64 v21, s20, 0, v2, s20
	global_load_b32 v20, v[20:21], off offset:256
.LBB52_37:
	s_or_b32 exec_lo, exec_lo, s21
	v_or_b32_e32 v21, 0x480, v0
	s_delay_alu instid0(VALU_DEP_1) | instskip(SKIP_1) | instid1(VALU_DEP_2)
	v_cmp_gt_u32_e64 s20, s25, v21
	v_mov_b32_e32 v21, s24
	s_and_saveexec_b32 s22, s20
	s_cbranch_execz .LBB52_39
; %bb.38:
	v_add_co_u32 v21, s21, 0x1000, v1
	s_delay_alu instid0(VALU_DEP_1)
	v_add_co_ci_u32_e64 v22, s21, 0, v2, s21
	global_load_b32 v21, v[21:22], off offset:512
.LBB52_39:
	;; [unrolled: 13-line block ×5, first 2 shown]
	s_or_b32 exec_lo, exec_lo, s42
	s_sub_u32 s42, 0, s15
	s_subb_u32 s43, 0, 0
	s_waitcnt vmcnt(0)
	ds_store_2addr_stride64_b32 v48, v3, v4 offset1:1
	ds_store_2addr_stride64_b32 v48, v5, v6 offset0:2 offset1:3
	ds_store_2addr_stride64_b32 v48, v7, v8 offset0:4 offset1:5
	;; [unrolled: 1-line block ×10, first 2 shown]
	s_cmp_eq_u64 s[42:43], s[40:41]
	s_waitcnt lgkmcnt(0)
	s_cselect_b32 s24, 0, -4
	s_cselect_b32 s43, 0, -1
	s_add_u32 s42, s34, s24
	s_addc_u32 s43, s35, s43
	s_barrier
	buffer_gl0_inv
	s_load_b32 s42, s[42:43], 0x0
	v_mad_u32_u24 v21, 0x54, v0, v48
	ds_load_2addr_b64 v[1:4], v21 offset0:8 offset1:9
	ds_load_b64 v[25:26], v21 offset:80
	ds_load_2addr_b64 v[17:20], v21 offset1:1
	ds_load_2addr_b64 v[13:16], v21 offset0:2 offset1:3
	ds_load_2addr_b64 v[9:12], v21 offset0:4 offset1:5
	;; [unrolled: 1-line block ×3, first 2 shown]
	v_mad_i32_i24 v24, 0xffffffac, v0, v21
	s_waitcnt lgkmcnt(0)
	v_mov_b32_e32 v23, s42
	s_mov_b32 s42, exec_lo
	ds_store_b32 v24, v26 offset:5632
	s_waitcnt lgkmcnt(0)
	s_barrier
	buffer_gl0_inv
	v_cmpx_ne_u32_e32 0, v0
	s_cbranch_execz .LBB52_47
; %bb.46:
	ds_load_b32 v23, v24 offset:5628
.LBB52_47:
	s_or_b32 exec_lo, exec_lo, s42
	v_lshlrev_b32_e32 v27, 1, v0
	s_waitcnt lgkmcnt(0)
	s_barrier
	buffer_gl0_inv
                                        ; implicit-def: $vgpr28
	v_add_co_u32 v21, s24, s26, v27
	s_delay_alu instid0(VALU_DEP_1)
	v_add_co_ci_u32_e64 v22, null, s27, 0, s24
	s_and_saveexec_b32 s24, vcc_lo
	s_cbranch_execz .LBB52_559
; %bb.48:
	global_load_u16 v28, v[21:22], off
	s_or_b32 exec_lo, exec_lo, s24
                                        ; implicit-def: $vgpr29
	s_and_saveexec_b32 s24, s2
	s_cbranch_execnz .LBB52_560
.LBB52_49:
	s_or_b32 exec_lo, exec_lo, s24
                                        ; implicit-def: $vgpr30
	s_and_saveexec_b32 s2, s3
	s_cbranch_execz .LBB52_561
.LBB52_50:
	global_load_u16 v30, v[21:22], off offset:256
	s_or_b32 exec_lo, exec_lo, s2
                                        ; implicit-def: $vgpr31
	s_and_saveexec_b32 s2, s4
	s_cbranch_execnz .LBB52_562
.LBB52_51:
	s_or_b32 exec_lo, exec_lo, s2
                                        ; implicit-def: $vgpr32
	s_and_saveexec_b32 s2, s5
	s_cbranch_execz .LBB52_563
.LBB52_52:
	global_load_u16 v32, v[21:22], off offset:512
	s_or_b32 exec_lo, exec_lo, s2
                                        ; implicit-def: $vgpr33
	s_and_saveexec_b32 s2, s6
	s_cbranch_execnz .LBB52_564
.LBB52_53:
	s_or_b32 exec_lo, exec_lo, s2
                                        ; implicit-def: $vgpr34
	s_and_saveexec_b32 s2, s7
	s_cbranch_execz .LBB52_565
.LBB52_54:
	global_load_u16 v34, v[21:22], off offset:768
	s_or_b32 exec_lo, exec_lo, s2
                                        ; implicit-def: $vgpr35
	s_and_saveexec_b32 s2, s8
	s_cbranch_execnz .LBB52_566
.LBB52_55:
	s_or_b32 exec_lo, exec_lo, s2
                                        ; implicit-def: $vgpr36
	s_and_saveexec_b32 s2, s9
	s_cbranch_execz .LBB52_567
.LBB52_56:
	global_load_u16 v36, v[21:22], off offset:1024
	s_or_b32 exec_lo, exec_lo, s2
                                        ; implicit-def: $vgpr37
	s_and_saveexec_b32 s2, s10
	s_cbranch_execnz .LBB52_568
.LBB52_57:
	s_or_b32 exec_lo, exec_lo, s2
                                        ; implicit-def: $vgpr38
	s_and_saveexec_b32 s2, s11
	s_cbranch_execz .LBB52_569
.LBB52_58:
	global_load_u16 v38, v[21:22], off offset:1280
	s_or_b32 exec_lo, exec_lo, s2
                                        ; implicit-def: $vgpr39
	s_and_saveexec_b32 s2, s12
	s_cbranch_execnz .LBB52_570
.LBB52_59:
	s_or_b32 exec_lo, exec_lo, s2
                                        ; implicit-def: $vgpr40
	s_and_saveexec_b32 s2, s13
	s_cbranch_execz .LBB52_571
.LBB52_60:
	global_load_u16 v40, v[21:22], off offset:1536
	s_or_b32 exec_lo, exec_lo, s2
                                        ; implicit-def: $vgpr41
	s_and_saveexec_b32 s2, s14
	s_cbranch_execnz .LBB52_572
.LBB52_61:
	s_or_b32 exec_lo, exec_lo, s2
                                        ; implicit-def: $vgpr42
	s_and_saveexec_b32 s2, s16
	s_cbranch_execz .LBB52_573
.LBB52_62:
	global_load_u16 v42, v[21:22], off offset:1792
	s_or_b32 exec_lo, exec_lo, s2
                                        ; implicit-def: $vgpr43
	s_and_saveexec_b32 s2, s17
	s_cbranch_execnz .LBB52_574
.LBB52_63:
	s_or_b32 exec_lo, exec_lo, s2
                                        ; implicit-def: $vgpr44
	s_and_saveexec_b32 s2, s18
	s_cbranch_execz .LBB52_575
.LBB52_64:
	global_load_u16 v44, v[21:22], off offset:2048
	s_or_b32 exec_lo, exec_lo, s2
                                        ; implicit-def: $vgpr45
	s_and_saveexec_b32 s2, s19
	s_cbranch_execnz .LBB52_576
.LBB52_65:
	s_or_b32 exec_lo, exec_lo, s2
                                        ; implicit-def: $vgpr46
	s_and_saveexec_b32 s2, s20
	s_cbranch_execz .LBB52_577
.LBB52_66:
	global_load_u16 v46, v[21:22], off offset:2304
	s_or_b32 exec_lo, exec_lo, s2
                                        ; implicit-def: $vgpr47
	s_and_saveexec_b32 s2, s21
	s_cbranch_execnz .LBB52_578
.LBB52_67:
	s_or_b32 exec_lo, exec_lo, s2
                                        ; implicit-def: $vgpr49
	s_and_saveexec_b32 s2, s22
	s_cbranch_execz .LBB52_69
.LBB52_68:
	global_load_u16 v49, v[21:22], off offset:2560
.LBB52_69:
	s_or_b32 exec_lo, exec_lo, s2
	v_mul_u32_u24_e32 v50, 22, v0
                                        ; implicit-def: $vgpr51
	s_and_saveexec_b32 s2, s23
	s_cbranch_execz .LBB52_71
; %bb.70:
	global_load_u16 v51, v[21:22], off offset:2688
.LBB52_71:
	s_or_b32 exec_lo, exec_lo, s2
	v_sub_nc_u32_e32 v21, v24, v27
	v_cmp_gt_u32_e32 vcc_lo, s25, v50
	s_mov_b32 s3, 0
	s_mov_b32 s4, 0
                                        ; implicit-def: $sgpr6
	s_waitcnt vmcnt(0)
	ds_store_b16 v21, v28
	ds_store_b16 v21, v29 offset:128
	ds_store_b16 v21, v30 offset:256
	;; [unrolled: 1-line block ×21, first 2 shown]
	v_dual_mov_b32 v47, 0 :: v_dual_mov_b32 v46, 0
	v_dual_mov_b32 v45, 0 :: v_dual_mov_b32 v44, 0
	v_dual_mov_b32 v43, 0 :: v_dual_mov_b32 v40, 0
	v_dual_mov_b32 v42, 0 :: v_dual_mov_b32 v39, 0
	v_dual_mov_b32 v38, 0 :: v_dual_mov_b32 v41, 0
	v_dual_mov_b32 v37, 0 :: v_dual_mov_b32 v30, 0
	v_dual_mov_b32 v34, 0 :: v_dual_mov_b32 v27, 0
	v_dual_mov_b32 v28, 0 :: v_dual_mov_b32 v31, 0
	v_dual_mov_b32 v32, 0 :: v_dual_mov_b32 v33, 0
	v_dual_mov_b32 v36, 0 :: v_dual_mov_b32 v29, 0
	v_mov_b32_e32 v35, 0
	s_waitcnt lgkmcnt(0)
	s_barrier
	buffer_gl0_inv
                                        ; implicit-def: $vgpr49
	s_and_saveexec_b32 s5, vcc_lo
	s_cbranch_execz .LBB52_113
; %bb.72:
	v_mad_u32_u24 v22, v0, 42, v21
	v_cmp_ne_u32_e32 vcc_lo, v23, v17
	v_or_b32_e32 v24, 1, v50
	v_dual_mov_b32 v46, 0 :: v_dual_mov_b32 v45, 0
	ds_load_u16 v22, v22
	v_cndmask_b32_e64 v23, 0, 1, vcc_lo
	v_dual_mov_b32 v43, 0 :: v_dual_mov_b32 v44, 0
	v_dual_mov_b32 v40, 0 :: v_dual_mov_b32 v39, 0
	;; [unrolled: 1-line block ×9, first 2 shown]
	s_waitcnt lgkmcnt(0)
	v_lshl_or_b32 v47, v23, 16, v22
	s_mov_b32 s7, 0
	s_mov_b32 s2, 0
	s_mov_b32 s3, exec_lo
                                        ; implicit-def: $sgpr6
                                        ; implicit-def: $vgpr49
	v_cmpx_gt_u32_e64 s25, v24
	s_cbranch_execz .LBB52_112
; %bb.73:
	v_mul_u32_u24_e32 v22, 42, v0
	v_cmp_ne_u32_e32 vcc_lo, v17, v18
	v_dual_mov_b32 v40, 0 :: v_dual_add_nc_u32 v35, 2, v50
	v_dual_mov_b32 v45, 0 :: v_dual_mov_b32 v42, 0
	s_delay_alu instid0(VALU_DEP_4)
	v_dual_mov_b32 v44, 0 :: v_dual_add_nc_u32 v51, v21, v22
	v_cndmask_b32_e64 v17, 0, 1, vcc_lo
	v_dual_mov_b32 v43, 0 :: v_dual_mov_b32 v38, 0
	ds_load_b128 v[21:24], v51 offset:2
	v_mov_b32_e32 v31, 0
	v_dual_mov_b32 v39, 0 :: v_dual_mov_b32 v30, 0
	v_dual_mov_b32 v41, 0 :: v_dual_mov_b32 v34, 0
	;; [unrolled: 1-line block ×5, first 2 shown]
	v_mov_b32_e32 v29, 0
	v_cmp_gt_u32_e32 vcc_lo, s25, v35
	v_mov_b32_e32 v35, 0
	s_mov_b32 s8, 0
                                        ; implicit-def: $sgpr7
                                        ; implicit-def: $vgpr49
	s_waitcnt lgkmcnt(0)
	v_and_b32_e32 v46, 0xffff, v21
	s_delay_alu instid0(VALU_DEP_1)
	v_lshl_or_b32 v46, v17, 16, v46
	s_and_saveexec_b32 s6, vcc_lo
	s_cbranch_execz .LBB52_111
; %bb.74:
	v_cmp_ne_u32_e32 vcc_lo, v18, v19
	v_dual_mov_b32 v43, 0 :: v_dual_add_nc_u32 v18, 3, v50
	v_dual_mov_b32 v44, 0 :: v_dual_mov_b32 v39, 0
	v_cndmask_b32_e64 v17, 0, 1, vcc_lo
	s_delay_alu instid0(VALU_DEP_3) | instskip(SKIP_2) | instid1(VALU_DEP_4)
	v_cmp_gt_u32_e32 vcc_lo, s25, v18
	v_dual_mov_b32 v40, 0 :: v_dual_mov_b32 v41, 0
	v_dual_mov_b32 v42, 0 :: v_dual_mov_b32 v37, 0
	v_alignbit_b32 v45, v17, v21, 16
	v_dual_mov_b32 v38, 0 :: v_dual_mov_b32 v27, 0
	v_dual_mov_b32 v30, 0 :: v_dual_mov_b32 v31, 0
	v_dual_mov_b32 v34, 0 :: v_dual_mov_b32 v33, 0
	v_dual_mov_b32 v28, 0 :: v_dual_mov_b32 v29, 0
	v_dual_mov_b32 v32, 0 :: v_dual_mov_b32 v35, 0
	v_mov_b32_e32 v36, 0
                                        ; implicit-def: $sgpr9
                                        ; implicit-def: $vgpr49
	s_and_saveexec_b32 s7, vcc_lo
	s_cbranch_execz .LBB52_110
; %bb.75:
	v_cmp_ne_u32_e32 vcc_lo, v19, v20
	v_dual_mov_b32 v44, 0 :: v_dual_and_b32 v17, 0xffff, v22
	v_dual_mov_b32 v40, 0 :: v_dual_add_nc_u32 v19, 4, v50
	v_cndmask_b32_e64 v18, 0, 1, vcc_lo
	v_dual_mov_b32 v42, 0 :: v_dual_mov_b32 v39, 0
	s_delay_alu instid0(VALU_DEP_3) | instskip(SKIP_1) | instid1(VALU_DEP_4)
	v_cmp_gt_u32_e32 vcc_lo, s25, v19
	v_dual_mov_b32 v38, 0 :: v_dual_mov_b32 v41, 0
	v_lshl_or_b32 v43, v18, 16, v17
	v_dual_mov_b32 v37, 0 :: v_dual_mov_b32 v30, 0
	v_dual_mov_b32 v34, 0 :: v_dual_mov_b32 v27, 0
	;; [unrolled: 1-line block ×5, first 2 shown]
	v_mov_b32_e32 v35, 0
	s_mov_b32 s10, 0
                                        ; implicit-def: $sgpr9
                                        ; implicit-def: $vgpr49
	s_and_saveexec_b32 s8, vcc_lo
	s_cbranch_execz .LBB52_109
; %bb.76:
	v_cmp_ne_u32_e32 vcc_lo, v20, v13
	v_dual_mov_b32 v39, 0 :: v_dual_add_nc_u32 v18, 5, v50
	v_dual_mov_b32 v40, 0 :: v_dual_mov_b32 v41, 0
	v_cndmask_b32_e64 v17, 0, 1, vcc_lo
	v_dual_mov_b32 v42, 0 :: v_dual_mov_b32 v37, 0
	v_dual_mov_b32 v38, 0 :: v_dual_mov_b32 v27, 0
	s_delay_alu instid0(VALU_DEP_3)
	v_alignbit_b32 v44, v17, v22, 16
	v_dual_mov_b32 v30, 0 :: v_dual_mov_b32 v31, 0
	v_dual_mov_b32 v34, 0 :: v_dual_mov_b32 v33, 0
	;; [unrolled: 1-line block ×4, first 2 shown]
	v_mov_b32_e32 v36, 0
	s_mov_b32 s9, exec_lo
                                        ; implicit-def: $sgpr11
                                        ; implicit-def: $vgpr49
	v_cmpx_gt_u32_e64 s25, v18
	s_cbranch_execz .LBB52_108
; %bb.77:
	v_cmp_ne_u32_e32 vcc_lo, v13, v14
	v_dual_mov_b32 v42, 0 :: v_dual_and_b32 v17, 0xffff, v23
	v_dual_mov_b32 v39, 0 :: v_dual_add_nc_u32 v18, 6, v50
	v_cndmask_b32_e64 v13, 0, 1, vcc_lo
	v_dual_mov_b32 v38, 0 :: v_dual_mov_b32 v41, 0
	v_dual_mov_b32 v37, 0 :: v_dual_mov_b32 v30, 0
	s_delay_alu instid0(VALU_DEP_3)
	v_lshl_or_b32 v40, v13, 16, v17
	v_dual_mov_b32 v34, 0 :: v_dual_mov_b32 v27, 0
	v_dual_mov_b32 v28, 0 :: v_dual_mov_b32 v31, 0
	;; [unrolled: 1-line block ×4, first 2 shown]
	v_mov_b32_e32 v35, 0
	s_mov_b32 s12, 0
	s_mov_b32 s10, exec_lo
                                        ; implicit-def: $sgpr11
                                        ; implicit-def: $vgpr49
	v_cmpx_gt_u32_e64 s25, v18
	s_cbranch_execz .LBB52_107
; %bb.78:
	v_cmp_ne_u32_e32 vcc_lo, v14, v15
	v_dual_mov_b32 v39, 0 :: v_dual_add_nc_u32 v14, 7, v50
	v_dual_mov_b32 v38, 0 :: v_dual_mov_b32 v41, 0
	v_cndmask_b32_e64 v13, 0, 1, vcc_lo
	v_dual_mov_b32 v37, 0 :: v_dual_mov_b32 v30, 0
	v_dual_mov_b32 v34, 0 :: v_dual_mov_b32 v27, 0
	s_delay_alu instid0(VALU_DEP_3)
	v_alignbit_b32 v42, v13, v23, 16
	v_dual_mov_b32 v28, 0 :: v_dual_mov_b32 v31, 0
	v_dual_mov_b32 v32, 0 :: v_dual_mov_b32 v33, 0
	v_dual_mov_b32 v36, 0 :: v_dual_mov_b32 v29, 0
	v_mov_b32_e32 v35, 0
	s_mov_b32 s11, exec_lo
                                        ; implicit-def: $sgpr13
                                        ; implicit-def: $vgpr49
	v_cmpx_gt_u32_e64 s25, v14
	s_cbranch_execz .LBB52_106
; %bb.79:
	v_cmp_ne_u32_e32 vcc_lo, v15, v16
	v_dual_mov_b32 v30, 0 :: v_dual_and_b32 v13, 0xffff, v24
	v_dual_mov_b32 v34, 0 :: v_dual_add_nc_u32 v15, 8, v50
	v_cndmask_b32_e64 v14, 0, 1, vcc_lo
	v_dual_mov_b32 v39, 0 :: v_dual_mov_b32 v28, 0
	v_dual_mov_b32 v41, 0 :: v_dual_mov_b32 v32, 0
	s_delay_alu instid0(VALU_DEP_3)
	v_lshl_or_b32 v38, v14, 16, v13
	v_dual_mov_b32 v37, 0 :: v_dual_mov_b32 v36, 0
	v_mov_b32_e32 v27, 0
	v_mov_b32_e32 v31, 0
	;; [unrolled: 1-line block ×5, first 2 shown]
	s_mov_b32 s14, 0
	s_mov_b32 s12, exec_lo
                                        ; implicit-def: $sgpr13
                                        ; implicit-def: $vgpr49
	v_cmpx_gt_u32_e64 s25, v15
	s_cbranch_execz .LBB52_105
; %bb.80:
	v_cmp_ne_u32_e32 vcc_lo, v16, v9
	v_dual_mov_b32 v41, 0 :: v_dual_add_nc_u32 v14, 9, v50
	v_dual_mov_b32 v37, 0 :: v_dual_mov_b32 v30, 0
	v_cndmask_b32_e64 v13, 0, 1, vcc_lo
	v_dual_mov_b32 v34, 0 :: v_dual_mov_b32 v27, 0
	v_dual_mov_b32 v28, 0 :: v_dual_mov_b32 v31, 0
	s_delay_alu instid0(VALU_DEP_3)
	v_alignbit_b32 v39, v13, v24, 16
	v_dual_mov_b32 v32, 0 :: v_dual_mov_b32 v33, 0
	v_dual_mov_b32 v36, 0 :: v_dual_mov_b32 v29, 0
	v_mov_b32_e32 v35, 0
	s_mov_b32 s13, exec_lo
                                        ; implicit-def: $sgpr16
                                        ; implicit-def: $vgpr49
	v_cmpx_gt_u32_e64 s25, v14
	s_cbranch_execz .LBB52_104
; %bb.81:
	ds_load_b128 v[13:16], v51 offset:18
	v_cmp_ne_u32_e32 vcc_lo, v9, v10
	v_dual_mov_b32 v30, 0 :: v_dual_add_nc_u32 v17, 10, v50
	v_dual_mov_b32 v37, 0 :: v_dual_mov_b32 v34, 0
	v_cndmask_b32_e64 v9, 0, 1, vcc_lo
	v_dual_mov_b32 v28, 0 :: v_dual_mov_b32 v27, 0
	v_dual_mov_b32 v32, 0 :: v_dual_mov_b32 v31, 0
	;; [unrolled: 1-line block ×3, first 2 shown]
	v_mov_b32_e32 v35, 0
	s_mov_b32 s17, 0
	s_mov_b32 s14, exec_lo
                                        ; implicit-def: $sgpr16
                                        ; implicit-def: $vgpr49
	s_waitcnt lgkmcnt(0)
	v_dual_mov_b32 v33, 0 :: v_dual_and_b32 v18, 0xffff, v13
	s_delay_alu instid0(VALU_DEP_1)
	v_lshl_or_b32 v41, v9, 16, v18
	v_cmpx_gt_u32_e64 s25, v17
	s_cbranch_execz .LBB52_103
; %bb.82:
	v_cmp_ne_u32_e32 vcc_lo, v10, v11
	v_dual_mov_b32 v27, 0 :: v_dual_add_nc_u32 v10, 11, v50
	v_dual_mov_b32 v30, 0 :: v_dual_mov_b32 v31, 0
	v_cndmask_b32_e64 v9, 0, 1, vcc_lo
	v_dual_mov_b32 v34, 0 :: v_dual_mov_b32 v33, 0
	v_dual_mov_b32 v28, 0 :: v_dual_mov_b32 v29, 0
	s_delay_alu instid0(VALU_DEP_3)
	v_alignbit_b32 v37, v9, v13, 16
	v_dual_mov_b32 v32, 0 :: v_dual_mov_b32 v35, 0
	v_mov_b32_e32 v36, 0
	s_mov_b32 s16, exec_lo
                                        ; implicit-def: $sgpr18
                                        ; implicit-def: $vgpr49
	v_cmpx_gt_u32_e64 s25, v10
	s_cbranch_execz .LBB52_102
; %bb.83:
	v_cmp_ne_u32_e32 vcc_lo, v11, v12
	v_dual_mov_b32 v34, 0 :: v_dual_and_b32 v9, 0xffff, v14
	v_dual_mov_b32 v28, 0 :: v_dual_add_nc_u32 v11, 12, v50
	v_cndmask_b32_e64 v10, 0, 1, vcc_lo
	v_dual_mov_b32 v32, 0 :: v_dual_mov_b32 v27, 0
	v_dual_mov_b32 v31, 0 :: v_dual_mov_b32 v36, 0
	s_delay_alu instid0(VALU_DEP_3)
	v_lshl_or_b32 v30, v10, 16, v9
	v_mov_b32_e32 v33, 0
	v_mov_b32_e32 v29, 0
	;; [unrolled: 1-line block ×3, first 2 shown]
	s_mov_b32 s19, 0
	s_mov_b32 s17, exec_lo
                                        ; implicit-def: $sgpr18
                                        ; implicit-def: $vgpr49
	v_cmpx_gt_u32_e64 s25, v11
	s_cbranch_execz .LBB52_101
; %bb.84:
	v_cmp_ne_u32_e32 vcc_lo, v12, v5
	v_dual_mov_b32 v27, 0 :: v_dual_add_nc_u32 v10, 13, v50
	v_dual_mov_b32 v28, 0 :: v_dual_mov_b32 v31, 0
	v_cndmask_b32_e64 v9, 0, 1, vcc_lo
	v_dual_mov_b32 v32, 0 :: v_dual_mov_b32 v33, 0
	v_dual_mov_b32 v36, 0 :: v_dual_mov_b32 v29, 0
	s_delay_alu instid0(VALU_DEP_3)
	v_alignbit_b32 v34, v9, v14, 16
	v_mov_b32_e32 v35, 0
	s_mov_b32 s18, exec_lo
                                        ; implicit-def: $sgpr20
                                        ; implicit-def: $vgpr49
	v_cmpx_gt_u32_e64 s25, v10
	s_cbranch_execz .LBB52_100
; %bb.85:
	v_cmp_ne_u32_e32 vcc_lo, v5, v6
	v_dual_mov_b32 v32, 0 :: v_dual_and_b32 v9, 0xffff, v15
	v_dual_mov_b32 v27, 0 :: v_dual_add_nc_u32 v10, 14, v50
	v_cndmask_b32_e64 v5, 0, 1, vcc_lo
	v_dual_mov_b32 v31, 0 :: v_dual_mov_b32 v36, 0
	v_mov_b32_e32 v33, 0
	v_mov_b32_e32 v29, 0
	s_delay_alu instid0(VALU_DEP_4)
	v_lshl_or_b32 v28, v5, 16, v9
	v_mov_b32_e32 v35, 0
	s_mov_b32 s21, 0
	s_mov_b32 s19, exec_lo
                                        ; implicit-def: $sgpr20
                                        ; implicit-def: $vgpr49
	v_cmpx_gt_u32_e64 s25, v10
	s_cbranch_execz .LBB52_99
; %bb.86:
	v_cmp_ne_u32_e32 vcc_lo, v6, v7
	v_dual_mov_b32 v27, 0 :: v_dual_add_nc_u32 v6, 15, v50
	v_dual_mov_b32 v31, 0 :: v_dual_mov_b32 v36, 0
	v_cndmask_b32_e64 v5, 0, 1, vcc_lo
	v_mov_b32_e32 v33, 0
	v_mov_b32_e32 v29, 0
	;; [unrolled: 1-line block ×3, first 2 shown]
	s_mov_b32 s20, exec_lo
	v_alignbit_b32 v32, v5, v15, 16
                                        ; implicit-def: $sgpr22
                                        ; implicit-def: $vgpr49
	v_cmpx_gt_u32_e64 s25, v6
	s_cbranch_execz .LBB52_98
; %bb.87:
	v_cmp_ne_u32_e32 vcc_lo, v7, v8
	v_dual_mov_b32 v36, 0 :: v_dual_and_b32 v5, 0xffff, v16
	v_add_nc_u32_e32 v7, 16, v50
	v_mov_b32_e32 v31, 0
	v_cndmask_b32_e64 v6, 0, 1, vcc_lo
	v_mov_b32_e32 v33, 0
	v_mov_b32_e32 v29, 0
	;; [unrolled: 1-line block ×3, first 2 shown]
	s_mov_b32 s23, 0
	v_lshl_or_b32 v27, v6, 16, v5
	s_mov_b32 s21, exec_lo
                                        ; implicit-def: $sgpr22
                                        ; implicit-def: $vgpr49
	v_cmpx_gt_u32_e64 s25, v7
	s_cbranch_execz .LBB52_97
; %bb.88:
	v_cmp_ne_u32_e32 vcc_lo, v8, v1
	v_dual_mov_b32 v33, 0 :: v_dual_add_nc_u32 v6, 17, v50
	v_dual_mov_b32 v36, 0 :: v_dual_mov_b32 v29, 0
	v_cndmask_b32_e64 v5, 0, 1, vcc_lo
	v_mov_b32_e32 v35, 0
	s_mov_b32 s22, exec_lo
                                        ; implicit-def: $sgpr24
                                        ; implicit-def: $vgpr49
	s_delay_alu instid0(VALU_DEP_2)
	v_alignbit_b32 v31, v5, v16, 16
	v_cmpx_gt_u32_e64 s25, v6
	s_cbranch_execz .LBB52_96
; %bb.89:
	ds_load_b64 v[5:6], v51 offset:34
	v_cmp_ne_u32_e32 vcc_lo, v1, v2
	v_add_nc_u32_e32 v7, 18, v50
	v_mov_b32_e32 v29, 0
	v_mov_b32_e32 v35, 0
	s_mov_b32 s42, 0
	v_cndmask_b32_e64 v1, 0, 1, vcc_lo
	s_mov_b32 s23, exec_lo
                                        ; implicit-def: $sgpr24
                                        ; implicit-def: $vgpr49
	s_waitcnt lgkmcnt(0)
	v_dual_mov_b32 v33, 0 :: v_dual_and_b32 v8, 0xffff, v5
	s_delay_alu instid0(VALU_DEP_1)
	v_lshl_or_b32 v36, v1, 16, v8
	v_cmpx_gt_u32_e64 s25, v7
	s_cbranch_execz .LBB52_95
; %bb.90:
	v_cmp_ne_u32_e32 vcc_lo, v2, v3
	v_dual_mov_b32 v29, 0 :: v_dual_add_nc_u32 v2, 19, v50
	v_mov_b32_e32 v35, 0
	s_mov_b32 s24, exec_lo
	v_cndmask_b32_e64 v1, 0, 1, vcc_lo
                                        ; implicit-def: $sgpr43
                                        ; implicit-def: $vgpr49
	s_delay_alu instid0(VALU_DEP_1)
	v_alignbit_b32 v33, v1, v5, 16
	v_cmpx_gt_u32_e64 s25, v2
	s_cbranch_execz .LBB52_94
; %bb.91:
	v_cmp_ne_u32_e32 vcc_lo, v3, v4
	v_and_b32_e32 v1, 0xffff, v6
	v_add_nc_u32_e32 v3, 20, v50
	v_mov_b32_e32 v35, 0
	s_mov_b32 s43, exec_lo
	v_cndmask_b32_e64 v2, 0, 1, vcc_lo
                                        ; implicit-def: $sgpr42
                                        ; implicit-def: $vgpr49
	s_delay_alu instid0(VALU_DEP_1)
	v_lshl_or_b32 v29, v2, 16, v1
	v_cmpx_gt_u32_e64 s25, v3
	s_xor_b32 s43, exec_lo, s43
	s_cbranch_execz .LBB52_93
; %bb.92:
	ds_load_u16 v49, v51 offset:42
	v_cmp_ne_u32_e32 vcc_lo, v4, v25
	v_add_nc_u32_e32 v1, 21, v50
	v_cndmask_b32_e64 v2, 0, 1, vcc_lo
	v_cmp_ne_u32_e32 vcc_lo, v25, v26
	s_delay_alu instid0(VALU_DEP_3) | instskip(NEXT) | instid1(VALU_DEP_3)
	v_cmp_gt_u32_e64 s2, s25, v1
	v_alignbit_b32 v35, v2, v6, 16
	s_and_b32 s42, vcc_lo, exec_lo
	s_delay_alu instid0(VALU_DEP_2)
	s_and_b32 s2, s2, exec_lo
.LBB52_93:
	s_or_b32 exec_lo, exec_lo, s43
	s_delay_alu instid0(SALU_CYCLE_1)
	s_and_b32 s43, s42, exec_lo
	s_and_b32 s42, s2, exec_lo
.LBB52_94:
	s_or_b32 exec_lo, exec_lo, s24
	s_delay_alu instid0(SALU_CYCLE_1)
	s_and_b32 s24, s43, exec_lo
	s_and_b32 s2, s42, exec_lo
.LBB52_95:
	s_or_b32 exec_lo, exec_lo, s23
	s_delay_alu instid0(SALU_CYCLE_1)
	s_and_b32 s24, s24, exec_lo
	s_and_b32 s23, s2, exec_lo
.LBB52_96:
	s_or_b32 exec_lo, exec_lo, s22
	s_delay_alu instid0(SALU_CYCLE_1)
	s_and_b32 s22, s24, exec_lo
	s_and_b32 s2, s23, exec_lo
.LBB52_97:
	s_or_b32 exec_lo, exec_lo, s21
	s_delay_alu instid0(SALU_CYCLE_1)
	s_and_b32 s22, s22, exec_lo
	s_and_b32 s21, s2, exec_lo
.LBB52_98:
	s_or_b32 exec_lo, exec_lo, s20
	s_delay_alu instid0(SALU_CYCLE_1)
	s_and_b32 s20, s22, exec_lo
	s_and_b32 s2, s21, exec_lo
.LBB52_99:
	s_or_b32 exec_lo, exec_lo, s19
	s_delay_alu instid0(SALU_CYCLE_1)
	s_and_b32 s20, s20, exec_lo
	s_and_b32 s19, s2, exec_lo
.LBB52_100:
	s_or_b32 exec_lo, exec_lo, s18
	s_delay_alu instid0(SALU_CYCLE_1)
	s_and_b32 s18, s20, exec_lo
	s_and_b32 s2, s19, exec_lo
.LBB52_101:
	s_or_b32 exec_lo, exec_lo, s17
	s_delay_alu instid0(SALU_CYCLE_1)
	s_and_b32 s18, s18, exec_lo
	s_and_b32 s17, s2, exec_lo
.LBB52_102:
	s_or_b32 exec_lo, exec_lo, s16
	s_delay_alu instid0(SALU_CYCLE_1)
	s_and_b32 s16, s18, exec_lo
	s_and_b32 s2, s17, exec_lo
.LBB52_103:
	s_or_b32 exec_lo, exec_lo, s14
	s_delay_alu instid0(SALU_CYCLE_1)
	s_and_b32 s16, s16, exec_lo
	s_and_b32 s14, s2, exec_lo
.LBB52_104:
	s_or_b32 exec_lo, exec_lo, s13
	s_delay_alu instid0(SALU_CYCLE_1)
	s_and_b32 s13, s16, exec_lo
	s_and_b32 s2, s14, exec_lo
.LBB52_105:
	s_or_b32 exec_lo, exec_lo, s12
	s_delay_alu instid0(SALU_CYCLE_1)
	s_and_b32 s13, s13, exec_lo
	s_and_b32 s12, s2, exec_lo
.LBB52_106:
	s_or_b32 exec_lo, exec_lo, s11
	s_delay_alu instid0(SALU_CYCLE_1)
	s_and_b32 s11, s13, exec_lo
	s_and_b32 s2, s12, exec_lo
.LBB52_107:
	s_or_b32 exec_lo, exec_lo, s10
	s_delay_alu instid0(SALU_CYCLE_1)
	s_and_b32 s11, s11, exec_lo
	s_and_b32 s10, s2, exec_lo
.LBB52_108:
	s_or_b32 exec_lo, exec_lo, s9
	s_delay_alu instid0(SALU_CYCLE_1)
	s_and_b32 s9, s11, exec_lo
	s_and_b32 s2, s10, exec_lo
.LBB52_109:
	s_or_b32 exec_lo, exec_lo, s8
	s_delay_alu instid0(SALU_CYCLE_1)
	s_and_b32 s9, s9, exec_lo
	s_and_b32 s8, s2, exec_lo
.LBB52_110:
	s_or_b32 exec_lo, exec_lo, s7
	s_delay_alu instid0(SALU_CYCLE_1)
	s_and_b32 s7, s9, exec_lo
	s_and_b32 s2, s8, exec_lo
.LBB52_111:
	s_or_b32 exec_lo, exec_lo, s6
	s_delay_alu instid0(SALU_CYCLE_1)
	s_and_b32 s6, s7, exec_lo
	s_and_b32 s7, s2, exec_lo
.LBB52_112:
	s_or_b32 exec_lo, exec_lo, s3
	s_delay_alu instid0(SALU_CYCLE_1)
	s_and_b32 s6, s6, exec_lo
	s_and_b32 s3, s7, exec_lo
.LBB52_113:
	s_or_b32 exec_lo, exec_lo, s5
	s_mov_b32 s5, 0
	v_cmp_ne_u32_e64 s2, 0, v0
	s_and_b32 vcc_lo, exec_lo, s4
	s_cbranch_vccnz .LBB52_115
	s_branch .LBB52_118
.LBB52_114:
                                        ; implicit-def: $sgpr6
                                        ; implicit-def: $vgpr49
                                        ; implicit-def: $vgpr47
                                        ; implicit-def: $vgpr46
                                        ; implicit-def: $vgpr45
                                        ; implicit-def: $vgpr43
                                        ; implicit-def: $vgpr44
                                        ; implicit-def: $vgpr40
                                        ; implicit-def: $vgpr42
                                        ; implicit-def: $vgpr38
                                        ; implicit-def: $vgpr39
                                        ; implicit-def: $vgpr41
                                        ; implicit-def: $vgpr37
                                        ; implicit-def: $vgpr30
                                        ; implicit-def: $vgpr34
                                        ; implicit-def: $vgpr28
                                        ; implicit-def: $vgpr32
                                        ; implicit-def: $vgpr27
                                        ; implicit-def: $vgpr31
                                        ; implicit-def: $vgpr36
                                        ; implicit-def: $vgpr33
                                        ; implicit-def: $vgpr29
                                        ; implicit-def: $vgpr35
                                        ; implicit-def: $sgpr5
	v_cmp_ne_u32_e64 s2, 0, v0
	s_cbranch_execz .LBB52_118
.LBB52_115:
	v_add_co_u32 v1, s3, s34, v48
	s_delay_alu instid0(VALU_DEP_1)
	v_add_co_ci_u32_e64 v2, null, s35, 0, s3
	s_clause 0x9
	global_load_b32 v3, v48, s[34:35]
	global_load_b32 v4, v48, s[34:35] offset:256
	global_load_b32 v5, v48, s[34:35] offset:512
	;; [unrolled: 1-line block ×9, first 2 shown]
	v_add_co_u32 v1, vcc_lo, 0x1000, v1
	v_add_co_ci_u32_e32 v2, vcc_lo, 0, v2, vcc_lo
	s_clause 0xb
	global_load_b32 v13, v48, s[34:35] offset:2560
	global_load_b32 v14, v48, s[34:35] offset:2816
	;; [unrolled: 1-line block ×6, first 2 shown]
	global_load_b32 v19, v[1:2], off
	global_load_b32 v20, v[1:2], off offset:256
	global_load_b32 v21, v[1:2], off offset:512
	;; [unrolled: 1-line block ×5, first 2 shown]
	s_sub_u32 s4, 0, s15
	s_subb_u32 s5, 0, 0
	v_mad_u32_u24 v24, 0x54, v0, v48
	s_cmp_eq_u64 s[4:5], s[40:41]
	s_waitcnt vmcnt(20)
	ds_store_2addr_stride64_b32 v48, v3, v4 offset1:1
	s_waitcnt vmcnt(18)
	ds_store_2addr_stride64_b32 v48, v5, v6 offset0:2 offset1:3
	s_waitcnt vmcnt(16)
	ds_store_2addr_stride64_b32 v48, v7, v8 offset0:4 offset1:5
	;; [unrolled: 2-line block ×10, first 2 shown]
	s_cselect_b32 s3, 0, -4
	s_cselect_b32 s5, 0, -1
	s_add_u32 s4, s34, s3
	s_addc_u32 s5, s35, s5
	s_waitcnt lgkmcnt(0)
	s_barrier
	buffer_gl0_inv
	s_load_b32 s4, s[4:5], 0x0
	ds_load_2addr_b64 v[1:4], v24 offset0:8 offset1:9
	ds_load_b64 v[21:22], v24 offset:80
	ds_load_2addr_b64 v[17:20], v24 offset1:1
	ds_load_2addr_b64 v[13:16], v24 offset0:2 offset1:3
	ds_load_2addr_b64 v[9:12], v24 offset0:4 offset1:5
	;; [unrolled: 1-line block ×3, first 2 shown]
	v_mad_i32_i24 v23, 0xffffffac, v0, v24
	s_mov_b32 s3, -1
	s_waitcnt lgkmcnt(0)
	ds_store_b32 v23, v22 offset:5632
	s_waitcnt lgkmcnt(0)
	s_barrier
	v_mov_b32_e32 v24, s4
	buffer_gl0_inv
	s_and_saveexec_b32 s4, s2
	s_cbranch_execz .LBB52_117
; %bb.116:
	ds_load_b32 v24, v23 offset:5628
.LBB52_117:
	s_or_b32 exec_lo, exec_lo, s4
	v_lshlrev_b32_e32 v25, 1, v0
	s_waitcnt lgkmcnt(0)
	s_barrier
	buffer_gl0_inv
	v_cmp_ne_u32_e32 vcc_lo, v24, v17
	s_clause 0x15
	global_load_u16 v26, v25, s[26:27]
	global_load_u16 v27, v25, s[26:27] offset:128
	global_load_u16 v28, v25, s[26:27] offset:256
	;; [unrolled: 1-line block ×21, first 2 shown]
	v_cmp_ne_u32_e64 s6, v21, v22
                                        ; implicit-def: $sgpr5
	v_cndmask_b32_e64 v22, 0, 1, vcc_lo
	v_cmp_ne_u32_e32 vcc_lo, v17, v18
	v_cndmask_b32_e64 v17, 0, 1, vcc_lo
	v_cmp_ne_u32_e32 vcc_lo, v18, v19
	;; [unrolled: 2-line block ×9, first 2 shown]
	v_sub_nc_u32_e32 v9, v23, v25
	s_waitcnt vmcnt(21)
	ds_store_b16 v9, v26
	s_waitcnt vmcnt(20)
	ds_store_b16 v9, v27 offset:128
	s_waitcnt vmcnt(19)
	ds_store_b16 v9, v28 offset:256
	;; [unrolled: 2-line block ×21, first 2 shown]
	v_cndmask_b32_e64 v50, 0, 1, vcc_lo
	v_cmp_ne_u32_e32 vcc_lo, v10, v11
	v_mad_u32_u24 v49, v0, 42, v9
	s_waitcnt lgkmcnt(0)
	s_barrier
	buffer_gl0_inv
	v_cndmask_b32_e64 v51, 0, 1, vcc_lo
	v_cmp_ne_u32_e32 vcc_lo, v11, v12
	v_cndmask_b32_e64 v23, 0, 1, vcc_lo
	v_cmp_ne_u32_e32 vcc_lo, v12, v5
	ds_load_2addr_b32 v[9:10], v49 offset1:1
	ds_load_2addr_b32 v[11:12], v49 offset0:8 offset1:9
	ds_load_b32 v26, v49 offset:40
	ds_load_2addr_b32 v[13:14], v49 offset0:4 offset1:5
	v_cndmask_b32_e64 v25, 0, 1, vcc_lo
	v_cmp_ne_u32_e32 vcc_lo, v5, v6
	v_cndmask_b32_e64 v27, 0, 1, vcc_lo
	v_cmp_ne_u32_e32 vcc_lo, v6, v7
	ds_load_2addr_b32 v[5:6], v49 offset0:2 offset1:3
	v_cndmask_b32_e64 v31, 0, 1, vcc_lo
	v_cmp_ne_u32_e32 vcc_lo, v7, v8
	s_waitcnt lgkmcnt(4)
	v_alignbit_b32 v46, v17, v9, 16
	v_alignbit_b32 v43, v19, v10, 16
	v_cndmask_b32_e64 v29, 0, 1, vcc_lo
	v_cmp_ne_u32_e32 vcc_lo, v8, v1
	ds_load_2addr_b32 v[7:8], v49 offset0:6 offset1:7
	s_waitcnt lgkmcnt(2)
	v_alignbit_b32 v41, v50, v13, 16
	v_alignbit_b32 v30, v23, v14, 16
	v_lshrrev_b32_e32 v49, 16, v26
	v_cndmask_b32_e64 v33, 0, 1, vcc_lo
	v_cmp_ne_u32_e32 vcc_lo, v1, v2
	s_waitcnt lgkmcnt(1)
	v_alignbit_b32 v40, v24, v5, 16
	v_alignbit_b32 v38, v15, v6, 16
	v_cndmask_b32_e64 v1, 0, 1, vcc_lo
	v_cmp_ne_u32_e32 vcc_lo, v2, v3
	s_delay_alu instid0(VALU_DEP_2)
	v_alignbit_b32 v36, v1, v11, 16
	v_cndmask_b32_e64 v2, 0, 1, vcc_lo
	v_cmp_ne_u32_e32 vcc_lo, v3, v4
	v_and_b32_e32 v1, 0xffff, v12
	s_waitcnt lgkmcnt(0)
	v_alignbit_b32 v28, v27, v7, 16
	v_alignbit_b32 v27, v29, v8, 16
	v_cndmask_b32_e64 v3, 0, 1, vcc_lo
	v_cmp_ne_u32_e32 vcc_lo, v4, v21
	v_and_b32_e32 v21, 0xffff, v9
	v_and_b32_e32 v9, 0xffff, v10
	;; [unrolled: 1-line block ×4, first 2 shown]
	v_cndmask_b32_e64 v4, 0, 1, vcc_lo
	v_and_b32_e32 v6, 0xffff, v13
	v_and_b32_e32 v13, 0xffff, v14
	;; [unrolled: 1-line block ×5, first 2 shown]
	v_alignbit_b32 v29, v3, v12, 16
	v_and_b32_e32 v3, 0xffff, v26
	v_lshl_or_b32 v47, v22, 16, v21
	v_lshl_or_b32 v45, v18, 16, v9
	;; [unrolled: 1-line block ×11, first 2 shown]
.LBB52_118:
	v_mov_b32_e32 v2, s5
	s_and_saveexec_b32 s2, s3
	s_cbranch_execz .LBB52_120
; %bb.119:
	s_waitcnt lgkmcnt(0)
	v_and_b32_e32 v1, 0xffff, v49
	v_cndmask_b32_e64 v2, 0, 0x10000, s6
	s_delay_alu instid0(VALU_DEP_1)
	v_or_b32_e32 v2, v2, v1
.LBB52_120:
	s_or_b32 exec_lo, exec_lo, s2
	v_cmp_gt_u32_e64 s2, 0x10000, v46
	s_cmp_lg_u32 s15, 0
	s_waitcnt lgkmcnt(0)
	s_barrier
	buffer_gl0_inv
	s_cbranch_scc0 .LBB52_579
; %bb.121:
	v_mov_b32_e32 v1, v46
	s_and_saveexec_b32 s3, s2
	s_cbranch_execz .LBB52_127
; %bb.122:
	v_lshlrev_b32_e32 v1, 16, v47
	v_lshlrev_b32_e32 v3, 16, v46
	s_delay_alu instid0(VALU_DEP_1) | instskip(NEXT) | instid1(VALU_DEP_1)
	v_add_f32_e32 v1, v3, v1
	v_and_b32_e32 v3, 0x7f800000, v1
	s_delay_alu instid0(VALU_DEP_1) | instskip(SKIP_1) | instid1(SALU_CYCLE_1)
	v_cmp_ne_u32_e32 vcc_lo, 0x7f800000, v3
                                        ; implicit-def: $vgpr3
	s_and_saveexec_b32 s4, vcc_lo
	s_xor_b32 s4, exec_lo, s4
; %bb.123:
	v_bfe_u32 v3, v1, 16, 1
	s_delay_alu instid0(VALU_DEP_1)
	v_add3_u32 v3, v1, v3, 0x7fff
                                        ; implicit-def: $vgpr1
; %bb.124:
	s_and_not1_saveexec_b32 s4, s4
; %bb.125:
	v_and_b32_e32 v3, 0xffff, v1
	v_or_b32_e32 v4, 0x10000, v1
	s_delay_alu instid0(VALU_DEP_2) | instskip(NEXT) | instid1(VALU_DEP_2)
	v_cmp_eq_u32_e32 vcc_lo, 0, v3
	v_cndmask_b32_e32 v3, v4, v1, vcc_lo
; %bb.126:
	s_or_b32 exec_lo, exec_lo, s4
	s_delay_alu instid0(VALU_DEP_1)
	v_lshrrev_b32_e32 v1, 16, v3
.LBB52_127:
	s_or_b32 exec_lo, exec_lo, s3
	v_cmp_gt_u32_e64 s4, 0x10000, v45
	v_mov_b32_e32 v3, v45
	s_delay_alu instid0(VALU_DEP_2)
	s_and_saveexec_b32 s3, s4
	s_cbranch_execz .LBB52_133
; %bb.128:
	v_lshlrev_b32_e32 v1, 16, v1
	v_lshlrev_b32_e32 v3, 16, v45
	s_delay_alu instid0(VALU_DEP_1) | instskip(NEXT) | instid1(VALU_DEP_1)
	v_add_f32_e32 v1, v3, v1
	v_and_b32_e32 v3, 0x7f800000, v1
	s_delay_alu instid0(VALU_DEP_1) | instskip(SKIP_1) | instid1(SALU_CYCLE_1)
	v_cmp_ne_u32_e32 vcc_lo, 0x7f800000, v3
                                        ; implicit-def: $vgpr3
	s_and_saveexec_b32 s5, vcc_lo
	s_xor_b32 s5, exec_lo, s5
; %bb.129:
	v_bfe_u32 v3, v1, 16, 1
	s_delay_alu instid0(VALU_DEP_1)
	v_add3_u32 v3, v1, v3, 0x7fff
                                        ; implicit-def: $vgpr1
; %bb.130:
	s_and_not1_saveexec_b32 s5, s5
; %bb.131:
	v_and_b32_e32 v3, 0xffff, v1
	v_or_b32_e32 v4, 0x10000, v1
	s_delay_alu instid0(VALU_DEP_2) | instskip(NEXT) | instid1(VALU_DEP_2)
	v_cmp_eq_u32_e32 vcc_lo, 0, v3
	v_cndmask_b32_e32 v3, v4, v1, vcc_lo
; %bb.132:
	s_or_b32 exec_lo, exec_lo, s5
	s_delay_alu instid0(VALU_DEP_1)
	v_lshrrev_b32_e32 v3, 16, v3
.LBB52_133:
	s_or_b32 exec_lo, exec_lo, s3
	v_cmp_gt_u32_e64 s5, 0x10000, v43
	v_mov_b32_e32 v1, v43
	s_delay_alu instid0(VALU_DEP_2)
	;; [unrolled: 35-line block ×20, first 2 shown]
	s_and_saveexec_b32 s24, s3
	s_cbranch_execz .LBB52_247
; %bb.242:
	v_lshlrev_b32_e32 v1, 16, v3
	v_lshlrev_b32_e32 v3, 16, v2
	s_delay_alu instid0(VALU_DEP_1) | instskip(NEXT) | instid1(VALU_DEP_1)
	v_add_f32_e32 v1, v3, v1
	v_and_b32_e32 v3, 0x7f800000, v1
	s_delay_alu instid0(VALU_DEP_1) | instskip(SKIP_1) | instid1(SALU_CYCLE_1)
	v_cmp_ne_u32_e32 vcc_lo, 0x7f800000, v3
                                        ; implicit-def: $vgpr3
	s_and_saveexec_b32 s25, vcc_lo
	s_xor_b32 s25, exec_lo, s25
; %bb.243:
	v_bfe_u32 v3, v1, 16, 1
	s_delay_alu instid0(VALU_DEP_1)
	v_add3_u32 v3, v1, v3, 0x7fff
                                        ; implicit-def: $vgpr1
; %bb.244:
	s_and_not1_saveexec_b32 s25, s25
; %bb.245:
	v_and_b32_e32 v3, 0xffff, v1
	v_or_b32_e32 v4, 0x10000, v1
	s_delay_alu instid0(VALU_DEP_2) | instskip(NEXT) | instid1(VALU_DEP_2)
	v_cmp_eq_u32_e32 vcc_lo, 0, v3
	v_cndmask_b32_e32 v3, v4, v1, vcc_lo
; %bb.246:
	s_or_b32 exec_lo, exec_lo, s25
	s_delay_alu instid0(VALU_DEP_1)
	v_lshrrev_b32_e32 v11, 16, v3
.LBB52_247:
	s_or_b32 exec_lo, exec_lo, s24
	v_or3_b32 v1, v2, v35, v29
	v_lshrrev_b32_e32 v3, 5, v0
	v_lshrrev_b32_e32 v12, 16, v47
	s_delay_alu instid0(VALU_DEP_3) | instskip(NEXT) | instid1(VALU_DEP_3)
	v_or3_b32 v1, v1, v33, v36
	v_add_lshl_u32 v3, v3, v0, 2
	s_delay_alu instid0(VALU_DEP_2) | instskip(NEXT) | instid1(VALU_DEP_1)
	v_or3_b32 v1, v1, v31, v27
	v_or3_b32 v1, v1, v32, v28
	s_delay_alu instid0(VALU_DEP_1) | instskip(NEXT) | instid1(VALU_DEP_1)
	v_or3_b32 v1, v1, v34, v30
	v_or3_b32 v1, v1, v37, v41
	s_delay_alu instid0(VALU_DEP_1) | instskip(NEXT) | instid1(VALU_DEP_1)
	;; [unrolled: 3-line block ×4, first 2 shown]
	v_and_b32_e32 v1, 0x10000, v1
	v_cmp_ne_u32_e32 vcc_lo, 0, v1
	v_cndmask_b32_e64 v1, v12, 1, vcc_lo
	v_cmp_gt_u32_e32 vcc_lo, 32, v0
	ds_store_b16 v3, v11
	ds_store_b8 v3, v1 offset:2
	s_waitcnt lgkmcnt(0)
	s_barrier
	buffer_gl0_inv
	s_and_saveexec_b32 s24, vcc_lo
	s_delay_alu instid0(SALU_CYCLE_1)
	s_xor_b32 s27, exec_lo, s24
	s_cbranch_execz .LBB52_305
; %bb.248:
	v_lshrrev_b32_e32 v3, 2, v0
	s_delay_alu instid0(VALU_DEP_1) | instskip(NEXT) | instid1(VALU_DEP_1)
	v_and_b32_e32 v3, 12, v3
	v_lshl_or_b32 v3, v0, 3, v3
	ds_load_u8 v8, v3 offset:6
	ds_load_u16 v4, v3 offset:4
	ds_load_b32 v6, v3
	s_waitcnt lgkmcnt(2)
	v_cmp_eq_u16_e64 s24, 0, v8
	s_waitcnt lgkmcnt(1)
	v_dual_mov_b32 v10, v4 :: v_dual_lshlrev_b32 v5, 16, v4
	s_waitcnt lgkmcnt(0)
	v_lshlrev_b32_e32 v7, 16, v6
	s_and_saveexec_b32 s26, s24
	s_cbranch_execz .LBB52_254
; %bb.249:
	s_delay_alu instid0(VALU_DEP_1) | instskip(NEXT) | instid1(VALU_DEP_1)
	v_add_f32_e32 v9, v7, v5
	v_and_b32_e32 v10, 0x7f800000, v9
	s_delay_alu instid0(VALU_DEP_1) | instskip(NEXT) | instid1(VALU_DEP_1)
	v_cmp_ne_u32_e64 s25, 0x7f800000, v10
                                        ; implicit-def: $vgpr10
	s_and_saveexec_b32 s34, s25
	s_delay_alu instid0(SALU_CYCLE_1)
	s_xor_b32 s25, exec_lo, s34
; %bb.250:
	v_bfe_u32 v10, v9, 16, 1
	s_delay_alu instid0(VALU_DEP_1)
	v_add3_u32 v10, v9, v10, 0x7fff
                                        ; implicit-def: $vgpr9
; %bb.251:
	s_and_not1_saveexec_b32 s34, s25
; %bb.252:
	v_and_b32_e32 v10, 0xffff, v9
	v_or_b32_e32 v13, 0x10000, v9
	s_delay_alu instid0(VALU_DEP_2) | instskip(NEXT) | instid1(VALU_DEP_1)
	v_cmp_eq_u32_e64 s25, 0, v10
	v_cndmask_b32_e64 v10, v13, v9, s25
; %bb.253:
	s_or_b32 exec_lo, exec_lo, s34
	s_delay_alu instid0(VALU_DEP_1)
	v_lshrrev_b32_e32 v10, 16, v10
.LBB52_254:
	s_or_b32 exec_lo, exec_lo, s26
	v_and_b32_e32 v13, 1, v8
	s_delay_alu instid0(VALU_DEP_2) | instskip(SKIP_2) | instid1(VALU_DEP_4)
	v_dual_mov_b32 v19, v10 :: v_dual_and_b32 v8, 0x10000, v6
	v_and_b32_e32 v9, 0xff000000, v6
	v_and_b32_e32 v14, 0xffff, v10
	v_cmp_eq_u32_e64 s25, 1, v13
	s_mov_b32 s34, exec_lo
	s_delay_alu instid0(VALU_DEP_1) | instskip(NEXT) | instid1(VALU_DEP_1)
	v_cndmask_b32_e64 v13, v8, 0x10000, s25
	v_or_b32_e32 v16, v13, v9
	s_delay_alu instid0(VALU_DEP_1) | instskip(SKIP_1) | instid1(VALU_DEP_2)
	v_lshrrev_b32_e32 v13, 16, v16
	v_or_b32_e32 v15, v16, v14
	v_and_b32_e32 v17, 1, v13
	s_delay_alu instid0(VALU_DEP_2) | instskip(NEXT) | instid1(VALU_DEP_2)
	v_mov_b32_dpp v18, v15 row_shr:1 row_mask:0xf bank_mask:0xf
	v_cmpx_eq_u16_e32 0, v17
	s_cbranch_execz .LBB52_260
; %bb.255:
	s_delay_alu instid0(VALU_DEP_2) | instskip(SKIP_1) | instid1(VALU_DEP_1)
	v_lshlrev_b32_e32 v17, 16, v18
	v_lshlrev_b32_e32 v14, 16, v14
	v_add_f32_e32 v14, v14, v17
	s_delay_alu instid0(VALU_DEP_1) | instskip(NEXT) | instid1(VALU_DEP_1)
	v_and_b32_e32 v17, 0x7f800000, v14
	v_cmp_ne_u32_e64 s26, 0x7f800000, v17
                                        ; implicit-def: $vgpr17
	s_delay_alu instid0(VALU_DEP_1) | instskip(NEXT) | instid1(SALU_CYCLE_1)
	s_and_saveexec_b32 s35, s26
	s_xor_b32 s26, exec_lo, s35
; %bb.256:
	v_bfe_u32 v17, v14, 16, 1
	s_delay_alu instid0(VALU_DEP_1)
	v_add3_u32 v17, v14, v17, 0x7fff
                                        ; implicit-def: $vgpr14
; %bb.257:
	s_and_not1_saveexec_b32 s35, s26
; %bb.258:
	v_and_b32_e32 v17, 0xffff, v14
	v_or_b32_e32 v19, 0x10000, v14
	s_delay_alu instid0(VALU_DEP_2) | instskip(NEXT) | instid1(VALU_DEP_1)
	v_cmp_eq_u32_e64 s26, 0, v17
	v_cndmask_b32_e64 v17, v19, v14, s26
; %bb.259:
	s_or_b32 exec_lo, exec_lo, s35
	s_delay_alu instid0(VALU_DEP_1)
	v_lshrrev_b32_e32 v19, 16, v17
.LBB52_260:
	s_or_b32 exec_lo, exec_lo, s34
	v_mbcnt_lo_u32_b32 v14, -1, 0
	s_mov_b32 s34, exec_lo
	s_delay_alu instid0(VALU_DEP_1) | instskip(NEXT) | instid1(VALU_DEP_1)
	v_and_b32_e32 v17, 15, v14
	v_cmpx_ne_u32_e32 0, v17
; %bb.261:
	v_lshrrev_b32_e32 v10, 16, v18
	v_and_b32_e32 v13, 0x10000, v16
	s_delay_alu instid0(VALU_DEP_2) | instskip(NEXT) | instid1(VALU_DEP_2)
	v_and_b32_e32 v10, 1, v10
	v_cmp_ne_u32_e64 s26, 0, v13
	s_delay_alu instid0(VALU_DEP_1) | instskip(SKIP_1) | instid1(VALU_DEP_2)
	v_cndmask_b32_e64 v13, v10, 1, s26
	v_and_b32_e32 v10, 0xffff, v19
	v_lshlrev_b32_e32 v15, 16, v13
	s_delay_alu instid0(VALU_DEP_1)
	v_or3_b32 v15, v15, v10, v9
	v_mov_b32_e32 v10, v19
; %bb.262:
	s_or_b32 exec_lo, exec_lo, s34
	s_delay_alu instid0(VALU_DEP_2) | instskip(SKIP_3) | instid1(VALU_DEP_3)
	v_lshrrev_b32_e32 v16, 16, v15
	v_mov_b32_dpp v19, v15 row_shr:2 row_mask:0xf bank_mask:0xf
	v_mov_b32_e32 v20, v15
	s_mov_b32 s34, exec_lo
	v_and_b32_e32 v18, 0xff, v16
	s_delay_alu instid0(VALU_DEP_1)
	v_cmpx_eq_u16_e32 0, v18
	s_cbranch_execz .LBB52_268
; %bb.263:
	v_lshlrev_b32_e32 v18, 16, v19
	v_lshlrev_b32_e32 v20, 16, v15
	s_delay_alu instid0(VALU_DEP_1) | instskip(NEXT) | instid1(VALU_DEP_1)
	v_add_f32_e32 v18, v20, v18
	v_and_b32_e32 v20, 0x7f800000, v18
	s_delay_alu instid0(VALU_DEP_1) | instskip(NEXT) | instid1(VALU_DEP_1)
	v_cmp_ne_u32_e64 s26, 0x7f800000, v20
                                        ; implicit-def: $vgpr20
	s_and_saveexec_b32 s35, s26
	s_delay_alu instid0(SALU_CYCLE_1)
	s_xor_b32 s26, exec_lo, s35
; %bb.264:
	v_bfe_u32 v20, v18, 16, 1
	s_delay_alu instid0(VALU_DEP_1)
	v_add3_u32 v20, v18, v20, 0x7fff
                                        ; implicit-def: $vgpr18
; %bb.265:
	s_and_not1_saveexec_b32 s35, s26
; %bb.266:
	v_and_b32_e32 v20, 0xffff, v18
	v_or_b32_e32 v21, 0x10000, v18
	s_delay_alu instid0(VALU_DEP_2) | instskip(NEXT) | instid1(VALU_DEP_1)
	v_cmp_eq_u32_e64 s26, 0, v20
	v_cndmask_b32_e64 v20, v21, v18, s26
; %bb.267:
	s_or_b32 exec_lo, exec_lo, s35
	s_delay_alu instid0(VALU_DEP_1)
	v_lshrrev_b32_e32 v20, 16, v20
.LBB52_268:
	s_or_b32 exec_lo, exec_lo, s34
	v_mov_b32_e32 v18, v15
	s_mov_b32 s34, exec_lo
	v_cmpx_lt_u32_e32 1, v17
; %bb.269:
	v_lshrrev_b32_e32 v10, 16, v19
	v_and_b32_e32 v13, 0x10000, v15
	s_delay_alu instid0(VALU_DEP_2) | instskip(NEXT) | instid1(VALU_DEP_2)
	v_and_b32_e32 v10, 1, v10
	v_cmp_ne_u32_e64 s26, 0, v13
	s_delay_alu instid0(VALU_DEP_1) | instskip(SKIP_1) | instid1(VALU_DEP_2)
	v_cndmask_b32_e64 v13, v10, 1, s26
	v_dual_mov_b32 v10, v20 :: v_dual_and_b32 v15, 0xffff, v20
	v_mov_b32_e32 v16, v13
	v_lshlrev_b32_e32 v18, 16, v13
	s_delay_alu instid0(VALU_DEP_1)
	v_or3_b32 v18, v18, v15, v9
	v_mov_b32_e32 v15, v20
; %bb.270:
	s_or_b32 exec_lo, exec_lo, s34
	v_and_b32_e32 v20, 0xff, v16
	s_delay_alu instid0(VALU_DEP_3) | instskip(NEXT) | instid1(VALU_DEP_2)
	v_mov_b32_dpp v19, v18 row_shr:4 row_mask:0xf bank_mask:0xf
	v_cmp_eq_u16_e64 s26, 0, v20
	v_mov_b32_e32 v20, v15
	s_delay_alu instid0(VALU_DEP_2)
	s_and_saveexec_b32 s34, s26
	s_cbranch_execz .LBB52_276
; %bb.271:
	v_lshlrev_b32_e32 v20, 16, v19
	v_lshlrev_b32_e32 v21, 16, v15
	s_delay_alu instid0(VALU_DEP_1) | instskip(NEXT) | instid1(VALU_DEP_1)
	v_add_f32_e32 v20, v21, v20
	v_and_b32_e32 v21, 0x7f800000, v20
	s_delay_alu instid0(VALU_DEP_1) | instskip(NEXT) | instid1(VALU_DEP_1)
	v_cmp_ne_u32_e64 s26, 0x7f800000, v21
                                        ; implicit-def: $vgpr21
	s_and_saveexec_b32 s35, s26
	s_delay_alu instid0(SALU_CYCLE_1)
	s_xor_b32 s26, exec_lo, s35
; %bb.272:
	v_bfe_u32 v21, v20, 16, 1
	s_delay_alu instid0(VALU_DEP_1)
	v_add3_u32 v21, v20, v21, 0x7fff
                                        ; implicit-def: $vgpr20
; %bb.273:
	s_and_not1_saveexec_b32 s35, s26
; %bb.274:
	v_and_b32_e32 v21, 0xffff, v20
	v_or_b32_e32 v22, 0x10000, v20
	s_delay_alu instid0(VALU_DEP_2) | instskip(NEXT) | instid1(VALU_DEP_1)
	v_cmp_eq_u32_e64 s26, 0, v21
	v_cndmask_b32_e64 v21, v22, v20, s26
; %bb.275:
	s_or_b32 exec_lo, exec_lo, s35
	s_delay_alu instid0(VALU_DEP_1)
	v_lshrrev_b32_e32 v20, 16, v21
.LBB52_276:
	s_or_b32 exec_lo, exec_lo, s34
	s_delay_alu instid0(SALU_CYCLE_1)
	s_mov_b32 s34, exec_lo
	v_cmpx_lt_u32_e32 3, v17
; %bb.277:
	v_lshrrev_b32_e32 v10, 16, v19
	v_and_b32_e32 v13, 1, v16
	s_delay_alu instid0(VALU_DEP_2) | instskip(NEXT) | instid1(VALU_DEP_2)
	v_and_b32_e32 v10, 1, v10
	v_cmp_eq_u32_e64 s26, 1, v13
	s_delay_alu instid0(VALU_DEP_1) | instskip(SKIP_1) | instid1(VALU_DEP_2)
	v_cndmask_b32_e64 v13, v10, 1, s26
	v_dual_mov_b32 v10, v20 :: v_dual_and_b32 v15, 0xffff, v20
	v_mov_b32_e32 v16, v13
	v_lshlrev_b32_e32 v18, 16, v13
	s_delay_alu instid0(VALU_DEP_1)
	v_or3_b32 v18, v18, v15, v9
	v_mov_b32_e32 v15, v20
; %bb.278:
	s_or_b32 exec_lo, exec_lo, s34
	v_and_b32_e32 v20, 0xff, v16
	s_delay_alu instid0(VALU_DEP_3) | instskip(NEXT) | instid1(VALU_DEP_2)
	v_mov_b32_dpp v19, v18 row_shr:8 row_mask:0xf bank_mask:0xf
	v_cmp_eq_u16_e64 s26, 0, v20
	v_mov_b32_e32 v20, v15
	s_delay_alu instid0(VALU_DEP_2)
	s_and_saveexec_b32 s34, s26
	s_cbranch_execz .LBB52_284
; %bb.279:
	v_lshlrev_b32_e32 v20, 16, v19
	v_lshlrev_b32_e32 v21, 16, v15
	s_delay_alu instid0(VALU_DEP_1) | instskip(NEXT) | instid1(VALU_DEP_1)
	v_add_f32_e32 v20, v21, v20
	v_and_b32_e32 v21, 0x7f800000, v20
	s_delay_alu instid0(VALU_DEP_1) | instskip(NEXT) | instid1(VALU_DEP_1)
	v_cmp_ne_u32_e64 s26, 0x7f800000, v21
                                        ; implicit-def: $vgpr21
	s_and_saveexec_b32 s35, s26
	s_delay_alu instid0(SALU_CYCLE_1)
	s_xor_b32 s26, exec_lo, s35
; %bb.280:
	v_bfe_u32 v21, v20, 16, 1
	s_delay_alu instid0(VALU_DEP_1)
	v_add3_u32 v21, v20, v21, 0x7fff
                                        ; implicit-def: $vgpr20
; %bb.281:
	s_and_not1_saveexec_b32 s35, s26
; %bb.282:
	v_and_b32_e32 v21, 0xffff, v20
	v_or_b32_e32 v22, 0x10000, v20
	s_delay_alu instid0(VALU_DEP_2) | instskip(NEXT) | instid1(VALU_DEP_1)
	v_cmp_eq_u32_e64 s26, 0, v21
	v_cndmask_b32_e64 v21, v22, v20, s26
; %bb.283:
	s_or_b32 exec_lo, exec_lo, s35
	s_delay_alu instid0(VALU_DEP_1)
	v_lshrrev_b32_e32 v20, 16, v21
.LBB52_284:
	s_or_b32 exec_lo, exec_lo, s34
	s_delay_alu instid0(SALU_CYCLE_1)
	s_mov_b32 s34, exec_lo
	v_cmpx_lt_u32_e32 7, v17
; %bb.285:
	v_lshrrev_b32_e32 v10, 16, v19
	v_and_b32_e32 v13, 1, v16
	s_delay_alu instid0(VALU_DEP_2) | instskip(NEXT) | instid1(VALU_DEP_2)
	v_and_b32_e32 v10, 1, v10
	v_cmp_eq_u32_e64 s26, 1, v13
	s_delay_alu instid0(VALU_DEP_1) | instskip(SKIP_1) | instid1(VALU_DEP_2)
	v_cndmask_b32_e64 v13, v10, 1, s26
	v_dual_mov_b32 v10, v20 :: v_dual_and_b32 v15, 0xffff, v20
	v_dual_mov_b32 v16, v13 :: v_dual_lshlrev_b32 v17, 16, v13
	s_delay_alu instid0(VALU_DEP_1)
	v_or3_b32 v18, v17, v15, v9
	v_mov_b32_e32 v15, v20
; %bb.286:
	s_or_b32 exec_lo, exec_lo, s34
	ds_swizzle_b32 v17, v18 offset:swizzle(BROADCAST,32,15)
	v_and_b32_e32 v18, 0xff, v16
	s_mov_b32 s34, exec_lo
	s_delay_alu instid0(VALU_DEP_1)
	v_cmpx_eq_u16_e32 0, v18
	s_cbranch_execz .LBB52_292
; %bb.287:
	s_waitcnt lgkmcnt(0)
	v_lshlrev_b32_e32 v18, 16, v17
	v_lshlrev_b32_e32 v15, 16, v15
	s_delay_alu instid0(VALU_DEP_1) | instskip(NEXT) | instid1(VALU_DEP_1)
	v_add_f32_e32 v15, v15, v18
	v_and_b32_e32 v18, 0x7f800000, v15
	s_delay_alu instid0(VALU_DEP_1) | instskip(NEXT) | instid1(VALU_DEP_1)
	v_cmp_ne_u32_e64 s26, 0x7f800000, v18
                                        ; implicit-def: $vgpr18
	s_and_saveexec_b32 s35, s26
	s_delay_alu instid0(SALU_CYCLE_1)
	s_xor_b32 s26, exec_lo, s35
; %bb.288:
	v_bfe_u32 v18, v15, 16, 1
	s_delay_alu instid0(VALU_DEP_1)
	v_add3_u32 v18, v15, v18, 0x7fff
                                        ; implicit-def: $vgpr15
; %bb.289:
	s_and_not1_saveexec_b32 s35, s26
; %bb.290:
	v_and_b32_e32 v18, 0xffff, v15
	v_or_b32_e32 v19, 0x10000, v15
	s_delay_alu instid0(VALU_DEP_2) | instskip(NEXT) | instid1(VALU_DEP_1)
	v_cmp_eq_u32_e64 s26, 0, v18
	v_cndmask_b32_e64 v18, v19, v15, s26
; %bb.291:
	s_or_b32 exec_lo, exec_lo, s35
	s_delay_alu instid0(VALU_DEP_1)
	v_lshrrev_b32_e32 v15, 16, v18
.LBB52_292:
	s_or_b32 exec_lo, exec_lo, s34
	s_waitcnt lgkmcnt(0)
	v_lshrrev_b32_e32 v17, 16, v17
	v_and_b32_e32 v16, 1, v16
	v_and_b32_e32 v18, 16, v14
	s_mov_b32 s34, exec_lo
	s_delay_alu instid0(VALU_DEP_3) | instskip(NEXT) | instid1(VALU_DEP_3)
	v_and_b32_e32 v17, 1, v17
	v_cmp_eq_u32_e64 s26, 1, v16
	s_delay_alu instid0(VALU_DEP_1) | instskip(SKIP_1) | instid1(VALU_DEP_1)
	v_cndmask_b32_e64 v16, v17, 1, s26
	v_cmp_eq_u32_e64 s26, 0, v18
	v_cndmask_b32_e64 v10, v15, v10, s26
	s_delay_alu instid0(VALU_DEP_3) | instskip(SKIP_1) | instid1(VALU_DEP_3)
	v_cndmask_b32_e64 v13, v16, v13, s26
	v_add_nc_u32_e32 v15, -1, v14
	v_and_b32_e32 v10, 0xffff, v10
	s_delay_alu instid0(VALU_DEP_3) | instskip(NEXT) | instid1(VALU_DEP_3)
	v_and_b32_e32 v13, 0xff, v13
	v_cmp_gt_i32_e64 s26, 0, v15
	s_delay_alu instid0(VALU_DEP_2) | instskip(NEXT) | instid1(VALU_DEP_2)
	v_lshlrev_b32_e32 v13, 16, v13
	v_cndmask_b32_e64 v14, v15, v14, s26
	s_delay_alu instid0(VALU_DEP_2) | instskip(NEXT) | instid1(VALU_DEP_2)
	v_or3_b32 v9, v13, v10, v9
	v_lshlrev_b32_e32 v10, 2, v14
	ds_bpermute_b32 v9, v10, v9
	v_and_b32_e32 v10, 0xff0000, v6
	s_delay_alu instid0(VALU_DEP_1)
	v_cmpx_eq_u32_e32 0, v10
	s_cbranch_execz .LBB52_298
; %bb.293:
	s_waitcnt lgkmcnt(0)
	v_lshlrev_b32_e32 v6, 16, v9
	s_delay_alu instid0(VALU_DEP_1) | instskip(NEXT) | instid1(VALU_DEP_1)
	v_add_f32_e32 v6, v7, v6
	v_and_b32_e32 v7, 0x7f800000, v6
	s_delay_alu instid0(VALU_DEP_1) | instskip(NEXT) | instid1(VALU_DEP_1)
	v_cmp_ne_u32_e64 s26, 0x7f800000, v7
                                        ; implicit-def: $vgpr7
	s_and_saveexec_b32 s35, s26
	s_delay_alu instid0(SALU_CYCLE_1)
	s_xor_b32 s26, exec_lo, s35
; %bb.294:
	v_bfe_u32 v7, v6, 16, 1
	s_delay_alu instid0(VALU_DEP_1)
	v_add3_u32 v7, v6, v7, 0x7fff
                                        ; implicit-def: $vgpr6
; %bb.295:
	s_and_not1_saveexec_b32 s35, s26
; %bb.296:
	v_and_b32_e32 v7, 0xffff, v6
	v_or_b32_e32 v10, 0x10000, v6
	s_delay_alu instid0(VALU_DEP_2) | instskip(NEXT) | instid1(VALU_DEP_1)
	v_cmp_eq_u32_e64 s26, 0, v7
	v_cndmask_b32_e64 v7, v10, v6, s26
; %bb.297:
	s_or_b32 exec_lo, exec_lo, s35
	s_delay_alu instid0(VALU_DEP_1)
	v_lshrrev_b32_e32 v6, 16, v7
.LBB52_298:
	s_or_b32 exec_lo, exec_lo, s34
	s_waitcnt lgkmcnt(0)
	v_lshrrev_b32_e32 v7, 16, v9
	v_cmp_eq_u32_e64 s26, 0, v8
	s_delay_alu instid0(VALU_DEP_2) | instskip(NEXT) | instid1(VALU_DEP_1)
	v_and_b32_e32 v7, 1, v7
	v_cndmask_b32_e64 v8, 1, v7, s26
	v_cmp_eq_u32_e64 s26, 0, v0
	s_delay_alu instid0(VALU_DEP_1) | instskip(NEXT) | instid1(VALU_DEP_3)
	v_cndmask_b32_e64 v7, v6, v11, s26
	v_cndmask_b32_e64 v6, v8, v1, s26
	ds_store_b16 v3, v7
	ds_store_b8 v3, v6 offset:2
	s_and_saveexec_b32 s26, s24
	s_cbranch_execz .LBB52_304
; %bb.299:
	v_lshlrev_b32_e32 v4, 16, v7
	s_delay_alu instid0(VALU_DEP_1) | instskip(NEXT) | instid1(VALU_DEP_1)
	v_add_f32_e32 v4, v5, v4
	v_and_b32_e32 v5, 0x7f800000, v4
	s_delay_alu instid0(VALU_DEP_1) | instskip(NEXT) | instid1(VALU_DEP_1)
	v_cmp_ne_u32_e64 s24, 0x7f800000, v5
                                        ; implicit-def: $vgpr5
	s_and_saveexec_b32 s34, s24
	s_delay_alu instid0(SALU_CYCLE_1)
	s_xor_b32 s24, exec_lo, s34
; %bb.300:
	v_bfe_u32 v5, v4, 16, 1
	s_delay_alu instid0(VALU_DEP_1)
	v_add3_u32 v5, v4, v5, 0x7fff
                                        ; implicit-def: $vgpr4
; %bb.301:
	s_and_not1_saveexec_b32 s34, s24
; %bb.302:
	v_and_b32_e32 v5, 0xffff, v4
	v_or_b32_e32 v7, 0x10000, v4
	s_delay_alu instid0(VALU_DEP_2) | instskip(NEXT) | instid1(VALU_DEP_1)
	v_cmp_eq_u32_e64 s24, 0, v5
	v_cndmask_b32_e64 v5, v7, v4, s24
; %bb.303:
	s_or_b32 exec_lo, exec_lo, s34
	s_delay_alu instid0(VALU_DEP_1)
	v_lshrrev_b32_e32 v4, 16, v5
.LBB52_304:
	s_or_b32 exec_lo, exec_lo, s26
	v_cndmask_b32_e64 v5, v6, 1, s25
	ds_store_b16 v3, v4 offset:4
	ds_store_b8 v3, v5 offset:6
.LBB52_305:
	s_or_b32 exec_lo, exec_lo, s27
	v_cmp_eq_u32_e64 s25, 0, v0
	v_cmp_ne_u32_e64 s24, 0, v0
	s_waitcnt lgkmcnt(0)
	s_barrier
	buffer_gl0_inv
	s_and_saveexec_b32 s26, s24
	s_cbranch_execz .LBB52_307
; %bb.306:
	v_add_nc_u32_e32 v1, -1, v0
	s_delay_alu instid0(VALU_DEP_1) | instskip(NEXT) | instid1(VALU_DEP_1)
	v_lshrrev_b32_e32 v3, 5, v1
	v_add_lshl_u32 v1, v3, v1, 2
	ds_load_u16 v11, v1
	ds_load_u8 v1, v1 offset:2
.LBB52_307:
	s_or_b32 exec_lo, exec_lo, s26
	s_and_saveexec_b32 s27, vcc_lo
	s_cbranch_execz .LBB52_418
; %bb.308:
	v_mov_b32_e32 v5, 0
	v_mbcnt_lo_u32_b32 v20, -1, 0
	s_mov_b32 s35, 0
	ds_load_b32 v3, v5 offset:256
	v_cmp_eq_u32_e64 s26, 0, v20
	s_waitcnt lgkmcnt(0)
	v_readfirstlane_b32 s40, v3
	s_delay_alu instid0(VALU_DEP_2)
	s_and_saveexec_b32 s41, s26
	s_cbranch_execz .LBB52_310
; %bb.309:
	s_add_i32 s34, s15, 32
	s_delay_alu instid0(VALU_DEP_1) | instskip(SKIP_1) | instid1(SALU_CYCLE_1)
	v_dual_mov_b32 v3, s40 :: v_dual_mov_b32 v4, 1
	s_lshl_b64 s[34:35], s[34:35], 3
	s_add_u32 s34, s36, s34
	s_addc_u32 s35, s37, s35
	global_store_b64 v5, v[3:4], s[34:35]
.LBB52_310:
	s_or_b32 exec_lo, exec_lo, s41
	v_xad_u32 v3, v20, -1, s15
	s_mov_b32 s34, exec_lo
	s_delay_alu instid0(VALU_DEP_1) | instskip(NEXT) | instid1(VALU_DEP_1)
	v_add_nc_u32_e32 v4, 32, v3
	v_lshlrev_b64 v[4:5], 3, v[4:5]
	s_delay_alu instid0(VALU_DEP_1) | instskip(NEXT) | instid1(VALU_DEP_2)
	v_add_co_u32 v9, vcc_lo, s36, v4
	v_add_co_ci_u32_e32 v10, vcc_lo, s37, v5, vcc_lo
	global_load_b64 v[5:6], v[9:10], off glc
	s_waitcnt vmcnt(0)
	v_dual_mov_b32 v8, v6 :: v_dual_mov_b32 v7, v5
	v_and_b32_e32 v4, 0xff, v6
	s_delay_alu instid0(VALU_DEP_1)
	v_cmpx_eq_u16_e32 0, v4
	s_cbranch_execz .LBB52_314
; %bb.311:
	s_mov_b32 s35, 0
.LBB52_312:                             ; =>This Inner Loop Header: Depth=1
	global_load_b64 v[5:6], v[9:10], off glc
	s_waitcnt vmcnt(0)
	v_and_b32_e32 v4, 0xff, v6
	s_delay_alu instid0(VALU_DEP_1) | instskip(SKIP_1) | instid1(SALU_CYCLE_1)
	v_cmp_ne_u16_e32 vcc_lo, 0, v4
	s_or_b32 s35, vcc_lo, s35
	s_and_not1_b32 exec_lo, exec_lo, s35
	s_cbranch_execnz .LBB52_312
; %bb.313:
	s_or_b32 exec_lo, exec_lo, s35
	v_dual_mov_b32 v8, v6 :: v_dual_mov_b32 v7, v5
.LBB52_314:
	s_or_b32 exec_lo, exec_lo, s34
	v_cmp_ne_u32_e32 vcc_lo, 31, v20
	s_delay_alu instid0(VALU_DEP_2) | instskip(SKIP_4) | instid1(VALU_DEP_4)
	v_and_b32_e32 v22, 0xffffff, v7
	v_and_b32_e32 v5, 0xff, v6
	v_lshlrev_b32_e64 v10, v20, -1
	v_add_nc_u32_e32 v13, 1, v20
	v_add_co_ci_u32_e32 v4, vcc_lo, 0, v20, vcc_lo
	v_cmp_eq_u16_e32 vcc_lo, 2, v5
	v_lshrrev_b32_e32 v8, 16, v7
	v_bfe_u32 v5, v7, 16, 8
	s_delay_alu instid0(VALU_DEP_4) | instskip(SKIP_4) | instid1(VALU_DEP_1)
	v_lshlrev_b32_e32 v9, 2, v4
	s_mov_b32 s34, exec_lo
	v_and_or_b32 v4, vcc_lo, v10, 0x80000000
	ds_bpermute_b32 v14, v9, v22
	v_ctz_i32_b32_e32 v4, v4
	v_cmpx_le_u32_e64 v13, v4
	s_cbranch_execz .LBB52_322
; %bb.315:
	v_and_b32_e32 v5, 0xff0000, v7
	s_mov_b32 s35, exec_lo
	s_delay_alu instid0(VALU_DEP_1)
	v_cmpx_eq_u32_e32 0, v5
	s_cbranch_execz .LBB52_321
; %bb.316:
	s_waitcnt lgkmcnt(0)
	v_lshlrev_b32_e32 v8, 16, v14
	v_lshlrev_b32_e32 v7, 16, v7
	s_delay_alu instid0(VALU_DEP_1) | instskip(NEXT) | instid1(VALU_DEP_1)
	v_add_f32_e32 v7, v7, v8
	v_and_b32_e32 v8, 0x7f800000, v7
	s_delay_alu instid0(VALU_DEP_1) | instskip(SKIP_1) | instid1(SALU_CYCLE_1)
	v_cmp_ne_u32_e32 vcc_lo, 0x7f800000, v8
                                        ; implicit-def: $vgpr8
	s_and_saveexec_b32 s41, vcc_lo
	s_xor_b32 s41, exec_lo, s41
; %bb.317:
	v_bfe_u32 v8, v7, 16, 1
	s_delay_alu instid0(VALU_DEP_1)
	v_add3_u32 v8, v7, v8, 0x7fff
                                        ; implicit-def: $vgpr7
; %bb.318:
	s_and_not1_saveexec_b32 s41, s41
; %bb.319:
	v_and_b32_e32 v8, 0xffff, v7
	v_or_b32_e32 v15, 0x10000, v7
	s_delay_alu instid0(VALU_DEP_2) | instskip(NEXT) | instid1(VALU_DEP_2)
	v_cmp_eq_u32_e32 vcc_lo, 0, v8
	v_cndmask_b32_e32 v8, v15, v7, vcc_lo
; %bb.320:
	s_or_b32 exec_lo, exec_lo, s41
	s_delay_alu instid0(VALU_DEP_1)
	v_lshrrev_b32_e32 v7, 16, v8
.LBB52_321:
	s_or_b32 exec_lo, exec_lo, s35
	s_waitcnt lgkmcnt(0)
	v_lshrrev_b32_e32 v8, 16, v14
	v_and_b32_e32 v5, 0x10000, v5
	s_delay_alu instid0(VALU_DEP_2) | instskip(NEXT) | instid1(VALU_DEP_2)
	v_and_b32_e32 v8, 1, v8
	v_cmp_ne_u32_e32 vcc_lo, 0, v5
	s_delay_alu instid0(VALU_DEP_2) | instskip(SKIP_1) | instid1(VALU_DEP_2)
	v_cndmask_b32_e64 v5, v8, 1, vcc_lo
	v_and_b32_e32 v8, 0xffff, v7
	v_lshlrev_b32_e32 v14, 16, v5
	s_delay_alu instid0(VALU_DEP_1)
	v_or_b32_e32 v22, v14, v8
	v_mov_b32_e32 v8, v5
.LBB52_322:
	s_or_b32 exec_lo, exec_lo, s34
	v_cmp_gt_u32_e32 vcc_lo, 30, v20
	v_add_nc_u32_e32 v15, 2, v20
	s_mov_b32 s34, exec_lo
	s_waitcnt lgkmcnt(0)
	v_cndmask_b32_e64 v14, 0, 1, vcc_lo
	s_delay_alu instid0(VALU_DEP_1) | instskip(NEXT) | instid1(VALU_DEP_1)
	v_lshlrev_b32_e32 v14, 1, v14
	v_add_lshl_u32 v14, v14, v20, 2
	ds_bpermute_b32 v16, v14, v22
	v_cmpx_le_u32_e64 v15, v4
	s_cbranch_execz .LBB52_330
; %bb.323:
	s_mov_b32 s35, exec_lo
	v_cmpx_eq_u16_e32 0, v5
	s_cbranch_execz .LBB52_329
; %bb.324:
	s_waitcnt lgkmcnt(0)
	v_lshlrev_b32_e32 v8, 16, v16
	v_lshlrev_b32_e32 v7, 16, v7
	s_delay_alu instid0(VALU_DEP_1) | instskip(NEXT) | instid1(VALU_DEP_1)
	v_add_f32_e32 v7, v7, v8
	v_and_b32_e32 v8, 0x7f800000, v7
	s_delay_alu instid0(VALU_DEP_1) | instskip(SKIP_1) | instid1(SALU_CYCLE_1)
	v_cmp_ne_u32_e32 vcc_lo, 0x7f800000, v8
                                        ; implicit-def: $vgpr8
	s_and_saveexec_b32 s41, vcc_lo
	s_xor_b32 s41, exec_lo, s41
; %bb.325:
	v_bfe_u32 v8, v7, 16, 1
	s_delay_alu instid0(VALU_DEP_1)
	v_add3_u32 v8, v7, v8, 0x7fff
                                        ; implicit-def: $vgpr7
; %bb.326:
	s_and_not1_saveexec_b32 s41, s41
; %bb.327:
	v_and_b32_e32 v8, 0xffff, v7
	v_or_b32_e32 v17, 0x10000, v7
	s_delay_alu instid0(VALU_DEP_2) | instskip(NEXT) | instid1(VALU_DEP_2)
	v_cmp_eq_u32_e32 vcc_lo, 0, v8
	v_cndmask_b32_e32 v8, v17, v7, vcc_lo
; %bb.328:
	s_or_b32 exec_lo, exec_lo, s41
	s_delay_alu instid0(VALU_DEP_1)
	v_lshrrev_b32_e32 v7, 16, v8
.LBB52_329:
	s_or_b32 exec_lo, exec_lo, s35
	s_waitcnt lgkmcnt(0)
	v_lshrrev_b32_e32 v8, 16, v16
	v_and_b32_e32 v5, 1, v5
	s_delay_alu instid0(VALU_DEP_2) | instskip(NEXT) | instid1(VALU_DEP_2)
	v_and_b32_e32 v8, 1, v8
	v_cmp_eq_u32_e32 vcc_lo, 1, v5
	s_delay_alu instid0(VALU_DEP_2) | instskip(SKIP_1) | instid1(VALU_DEP_2)
	v_cndmask_b32_e64 v5, v8, 1, vcc_lo
	v_and_b32_e32 v8, 0xffff, v7
	v_lshlrev_b32_e32 v16, 16, v5
	s_delay_alu instid0(VALU_DEP_1)
	v_or_b32_e32 v22, v16, v8
	v_mov_b32_e32 v8, v5
.LBB52_330:
	s_or_b32 exec_lo, exec_lo, s34
	v_cmp_gt_u32_e32 vcc_lo, 28, v20
	v_add_nc_u32_e32 v17, 4, v20
	s_mov_b32 s34, exec_lo
	s_waitcnt lgkmcnt(0)
	v_cndmask_b32_e64 v16, 0, 1, vcc_lo
	s_delay_alu instid0(VALU_DEP_1) | instskip(NEXT) | instid1(VALU_DEP_1)
	v_lshlrev_b32_e32 v16, 2, v16
	v_add_lshl_u32 v16, v16, v20, 2
	ds_bpermute_b32 v18, v16, v22
	v_cmpx_le_u32_e64 v17, v4
	s_cbranch_execz .LBB52_338
; %bb.331:
	s_mov_b32 s35, exec_lo
	v_cmpx_eq_u16_e32 0, v5
	s_cbranch_execz .LBB52_337
; %bb.332:
	s_waitcnt lgkmcnt(0)
	v_lshlrev_b32_e32 v8, 16, v18
	v_lshlrev_b32_e32 v7, 16, v7
	s_delay_alu instid0(VALU_DEP_1) | instskip(NEXT) | instid1(VALU_DEP_1)
	v_add_f32_e32 v7, v7, v8
	v_and_b32_e32 v8, 0x7f800000, v7
	s_delay_alu instid0(VALU_DEP_1) | instskip(SKIP_1) | instid1(SALU_CYCLE_1)
	v_cmp_ne_u32_e32 vcc_lo, 0x7f800000, v8
                                        ; implicit-def: $vgpr8
	s_and_saveexec_b32 s41, vcc_lo
	s_xor_b32 s41, exec_lo, s41
; %bb.333:
	v_bfe_u32 v8, v7, 16, 1
	s_delay_alu instid0(VALU_DEP_1)
	v_add3_u32 v8, v7, v8, 0x7fff
                                        ; implicit-def: $vgpr7
; %bb.334:
	s_and_not1_saveexec_b32 s41, s41
; %bb.335:
	v_and_b32_e32 v8, 0xffff, v7
	v_or_b32_e32 v19, 0x10000, v7
	s_delay_alu instid0(VALU_DEP_2) | instskip(NEXT) | instid1(VALU_DEP_2)
	v_cmp_eq_u32_e32 vcc_lo, 0, v8
	v_cndmask_b32_e32 v8, v19, v7, vcc_lo
; %bb.336:
	s_or_b32 exec_lo, exec_lo, s41
	s_delay_alu instid0(VALU_DEP_1)
	v_lshrrev_b32_e32 v7, 16, v8
.LBB52_337:
	s_or_b32 exec_lo, exec_lo, s35
	s_waitcnt lgkmcnt(0)
	v_lshrrev_b32_e32 v8, 16, v18
	v_and_b32_e32 v5, 1, v5
	s_delay_alu instid0(VALU_DEP_2) | instskip(NEXT) | instid1(VALU_DEP_2)
	v_and_b32_e32 v8, 1, v8
	v_cmp_eq_u32_e32 vcc_lo, 1, v5
	s_delay_alu instid0(VALU_DEP_2) | instskip(SKIP_1) | instid1(VALU_DEP_2)
	v_cndmask_b32_e64 v5, v8, 1, vcc_lo
	v_and_b32_e32 v8, 0xffff, v7
	v_lshlrev_b32_e32 v18, 16, v5
	s_delay_alu instid0(VALU_DEP_1)
	v_or_b32_e32 v22, v18, v8
	v_mov_b32_e32 v8, v5
.LBB52_338:
	;; [unrolled: 61-line block ×3, first 2 shown]
	s_or_b32 exec_lo, exec_lo, s34
	v_cmp_gt_u32_e32 vcc_lo, 16, v20
	v_add_nc_u32_e32 v23, 16, v20
	s_mov_b32 s34, exec_lo
	s_waitcnt lgkmcnt(0)
	v_cndmask_b32_e64 v21, 0, 1, vcc_lo
	s_delay_alu instid0(VALU_DEP_1) | instskip(NEXT) | instid1(VALU_DEP_1)
	v_lshlrev_b32_e32 v21, 4, v21
	v_add_lshl_u32 v21, v21, v20, 2
	ds_bpermute_b32 v22, v21, v22
	v_cmpx_le_u32_e64 v23, v4
	s_cbranch_execz .LBB52_354
; %bb.347:
	s_mov_b32 s35, exec_lo
	v_cmpx_eq_u16_e32 0, v5
	s_cbranch_execz .LBB52_353
; %bb.348:
	s_waitcnt lgkmcnt(0)
	v_lshlrev_b32_e32 v4, 16, v22
	v_lshlrev_b32_e32 v7, 16, v7
	s_delay_alu instid0(VALU_DEP_1) | instskip(NEXT) | instid1(VALU_DEP_1)
	v_add_f32_e32 v4, v7, v4
	v_and_b32_e32 v7, 0x7f800000, v4
	s_delay_alu instid0(VALU_DEP_1) | instskip(SKIP_1) | instid1(SALU_CYCLE_1)
	v_cmp_ne_u32_e32 vcc_lo, 0x7f800000, v7
                                        ; implicit-def: $vgpr7
	s_and_saveexec_b32 s41, vcc_lo
	s_xor_b32 s41, exec_lo, s41
; %bb.349:
	v_bfe_u32 v7, v4, 16, 1
	s_delay_alu instid0(VALU_DEP_1)
	v_add3_u32 v7, v4, v7, 0x7fff
                                        ; implicit-def: $vgpr4
; %bb.350:
	s_and_not1_saveexec_b32 s41, s41
; %bb.351:
	v_and_b32_e32 v7, 0xffff, v4
	v_or_b32_e32 v8, 0x10000, v4
	s_delay_alu instid0(VALU_DEP_2) | instskip(NEXT) | instid1(VALU_DEP_2)
	v_cmp_eq_u32_e32 vcc_lo, 0, v7
	v_cndmask_b32_e32 v7, v8, v4, vcc_lo
; %bb.352:
	s_or_b32 exec_lo, exec_lo, s41
	s_delay_alu instid0(VALU_DEP_1)
	v_lshrrev_b32_e32 v7, 16, v7
.LBB52_353:
	s_or_b32 exec_lo, exec_lo, s35
	s_waitcnt lgkmcnt(0)
	v_lshrrev_b32_e32 v4, 16, v22
	v_and_b32_e32 v5, 1, v5
	s_delay_alu instid0(VALU_DEP_2) | instskip(NEXT) | instid1(VALU_DEP_2)
	v_and_b32_e32 v4, 1, v4
	v_cmp_eq_u32_e32 vcc_lo, 1, v5
	s_delay_alu instid0(VALU_DEP_2)
	v_cndmask_b32_e64 v8, v4, 1, vcc_lo
.LBB52_354:
	s_or_b32 exec_lo, exec_lo, s34
	v_mov_b32_e32 v4, 0
	s_branch .LBB52_356
.LBB52_355:                             ;   in Loop: Header=BB52_356 Depth=1
                                        ; implicit-def: $vgpr8
                                        ; implicit-def: $vgpr7
                                        ; implicit-def: $vgpr6
	s_cbranch_execnz .LBB52_408
.LBB52_356:                             ; =>This Loop Header: Depth=1
                                        ;     Child Loop BB52_359 Depth 2
	s_delay_alu instid0(VALU_DEP_1) | instskip(SKIP_2) | instid1(VALU_DEP_2)
	v_dual_mov_b32 v20, v8 :: v_dual_and_b32 v5, 0xff, v6
	s_waitcnt lgkmcnt(0)
	v_mov_b32_e32 v22, v7
	v_cmp_ne_u16_e32 vcc_lo, 2, v5
	v_cndmask_b32_e64 v5, 0, 1, vcc_lo
	;;#ASMSTART
	;;#ASMEND
	s_delay_alu instid0(VALU_DEP_1)
	v_cmp_ne_u32_e32 vcc_lo, 0, v5
	s_cmp_lg_u32 vcc_lo, exec_lo
	s_cbranch_scc1 .LBB52_355
; %bb.357:                              ;   in Loop: Header=BB52_356 Depth=1
	v_lshlrev_b64 v[5:6], 3, v[3:4]
	s_mov_b32 s34, exec_lo
	s_delay_alu instid0(VALU_DEP_1) | instskip(NEXT) | instid1(VALU_DEP_2)
	v_add_co_u32 v7, vcc_lo, s36, v5
	v_add_co_ci_u32_e32 v8, vcc_lo, s37, v6, vcc_lo
	global_load_b64 v[5:6], v[7:8], off glc
	s_waitcnt vmcnt(0)
	v_and_b32_e32 v24, 0xff, v6
	s_delay_alu instid0(VALU_DEP_1)
	v_cmpx_eq_u16_e32 0, v24
	s_cbranch_execz .LBB52_361
; %bb.358:                              ;   in Loop: Header=BB52_356 Depth=1
	s_mov_b32 s35, 0
.LBB52_359:                             ;   Parent Loop BB52_356 Depth=1
                                        ; =>  This Inner Loop Header: Depth=2
	global_load_b64 v[5:6], v[7:8], off glc
	s_waitcnt vmcnt(0)
	v_and_b32_e32 v24, 0xff, v6
	s_delay_alu instid0(VALU_DEP_1) | instskip(SKIP_1) | instid1(SALU_CYCLE_1)
	v_cmp_ne_u16_e32 vcc_lo, 0, v24
	s_or_b32 s35, vcc_lo, s35
	s_and_not1_b32 exec_lo, exec_lo, s35
	s_cbranch_execnz .LBB52_359
; %bb.360:                              ;   in Loop: Header=BB52_356 Depth=1
	s_or_b32 exec_lo, exec_lo, s35
.LBB52_361:                             ;   in Loop: Header=BB52_356 Depth=1
	s_delay_alu instid0(SALU_CYCLE_1)
	s_or_b32 exec_lo, exec_lo, s34
	v_and_b32_e32 v25, 0xffffff, v5
	v_and_b32_e32 v7, 0xff, v6
	v_lshrrev_b32_e32 v24, 16, v5
	v_bfe_u32 v8, v5, 16, 8
	s_mov_b32 s34, exec_lo
	ds_bpermute_b32 v26, v9, v25
	v_cmp_eq_u16_e32 vcc_lo, 2, v7
	v_and_or_b32 v7, vcc_lo, v10, 0x80000000
	s_delay_alu instid0(VALU_DEP_1) | instskip(NEXT) | instid1(VALU_DEP_1)
	v_ctz_i32_b32_e32 v7, v7
	v_cmpx_le_u32_e64 v13, v7
	s_cbranch_execz .LBB52_369
; %bb.362:                              ;   in Loop: Header=BB52_356 Depth=1
	v_and_b32_e32 v8, 0xff0000, v5
	s_mov_b32 s35, exec_lo
	s_delay_alu instid0(VALU_DEP_1)
	v_cmpx_eq_u32_e32 0, v8
	s_cbranch_execz .LBB52_368
; %bb.363:                              ;   in Loop: Header=BB52_356 Depth=1
	s_waitcnt lgkmcnt(0)
	v_lshlrev_b32_e32 v24, 16, v26
	v_lshlrev_b32_e32 v5, 16, v5
	s_delay_alu instid0(VALU_DEP_1) | instskip(NEXT) | instid1(VALU_DEP_1)
	v_add_f32_e32 v5, v5, v24
	v_and_b32_e32 v24, 0x7f800000, v5
	s_delay_alu instid0(VALU_DEP_1) | instskip(SKIP_1) | instid1(SALU_CYCLE_1)
	v_cmp_ne_u32_e32 vcc_lo, 0x7f800000, v24
                                        ; implicit-def: $vgpr24
	s_and_saveexec_b32 s41, vcc_lo
	s_xor_b32 s41, exec_lo, s41
; %bb.364:                              ;   in Loop: Header=BB52_356 Depth=1
	v_bfe_u32 v24, v5, 16, 1
	s_delay_alu instid0(VALU_DEP_1)
	v_add3_u32 v24, v5, v24, 0x7fff
                                        ; implicit-def: $vgpr5
; %bb.365:                              ;   in Loop: Header=BB52_356 Depth=1
	s_and_not1_saveexec_b32 s41, s41
; %bb.366:                              ;   in Loop: Header=BB52_356 Depth=1
	v_and_b32_e32 v24, 0xffff, v5
	v_or_b32_e32 v25, 0x10000, v5
	s_delay_alu instid0(VALU_DEP_2) | instskip(NEXT) | instid1(VALU_DEP_2)
	v_cmp_eq_u32_e32 vcc_lo, 0, v24
	v_cndmask_b32_e32 v24, v25, v5, vcc_lo
; %bb.367:                              ;   in Loop: Header=BB52_356 Depth=1
	s_or_b32 exec_lo, exec_lo, s41
	s_delay_alu instid0(VALU_DEP_1)
	v_lshrrev_b32_e32 v5, 16, v24
.LBB52_368:                             ;   in Loop: Header=BB52_356 Depth=1
	s_or_b32 exec_lo, exec_lo, s35
	s_waitcnt lgkmcnt(0)
	v_lshrrev_b32_e32 v24, 16, v26
	v_and_b32_e32 v8, 0x10000, v8
	s_delay_alu instid0(VALU_DEP_2) | instskip(NEXT) | instid1(VALU_DEP_2)
	v_and_b32_e32 v24, 1, v24
	v_cmp_ne_u32_e32 vcc_lo, 0, v8
	s_delay_alu instid0(VALU_DEP_2) | instskip(SKIP_1) | instid1(VALU_DEP_2)
	v_cndmask_b32_e64 v8, v24, 1, vcc_lo
	v_and_b32_e32 v24, 0xffff, v5
	v_lshlrev_b32_e32 v25, 16, v8
	s_delay_alu instid0(VALU_DEP_1)
	v_or_b32_e32 v25, v25, v24
	v_mov_b32_e32 v24, v8
.LBB52_369:                             ;   in Loop: Header=BB52_356 Depth=1
	s_or_b32 exec_lo, exec_lo, s34
	s_waitcnt lgkmcnt(0)
	ds_bpermute_b32 v26, v14, v25
	s_mov_b32 s34, exec_lo
	v_cmpx_le_u32_e64 v15, v7
	s_cbranch_execz .LBB52_377
; %bb.370:                              ;   in Loop: Header=BB52_356 Depth=1
	s_mov_b32 s35, exec_lo
	v_cmpx_eq_u16_e32 0, v8
	s_cbranch_execz .LBB52_376
; %bb.371:                              ;   in Loop: Header=BB52_356 Depth=1
	s_waitcnt lgkmcnt(0)
	v_lshlrev_b32_e32 v24, 16, v26
	v_lshlrev_b32_e32 v5, 16, v5
	s_delay_alu instid0(VALU_DEP_1) | instskip(NEXT) | instid1(VALU_DEP_1)
	v_add_f32_e32 v5, v5, v24
	v_and_b32_e32 v24, 0x7f800000, v5
	s_delay_alu instid0(VALU_DEP_1) | instskip(SKIP_1) | instid1(SALU_CYCLE_1)
	v_cmp_ne_u32_e32 vcc_lo, 0x7f800000, v24
                                        ; implicit-def: $vgpr24
	s_and_saveexec_b32 s41, vcc_lo
	s_xor_b32 s41, exec_lo, s41
; %bb.372:                              ;   in Loop: Header=BB52_356 Depth=1
	v_bfe_u32 v24, v5, 16, 1
	s_delay_alu instid0(VALU_DEP_1)
	v_add3_u32 v24, v5, v24, 0x7fff
                                        ; implicit-def: $vgpr5
; %bb.373:                              ;   in Loop: Header=BB52_356 Depth=1
	s_and_not1_saveexec_b32 s41, s41
; %bb.374:                              ;   in Loop: Header=BB52_356 Depth=1
	v_and_b32_e32 v24, 0xffff, v5
	v_or_b32_e32 v25, 0x10000, v5
	s_delay_alu instid0(VALU_DEP_2) | instskip(NEXT) | instid1(VALU_DEP_2)
	v_cmp_eq_u32_e32 vcc_lo, 0, v24
	v_cndmask_b32_e32 v24, v25, v5, vcc_lo
; %bb.375:                              ;   in Loop: Header=BB52_356 Depth=1
	s_or_b32 exec_lo, exec_lo, s41
	s_delay_alu instid0(VALU_DEP_1)
	v_lshrrev_b32_e32 v5, 16, v24
.LBB52_376:                             ;   in Loop: Header=BB52_356 Depth=1
	s_or_b32 exec_lo, exec_lo, s35
	s_waitcnt lgkmcnt(0)
	v_lshrrev_b32_e32 v24, 16, v26
	v_and_b32_e32 v8, 1, v8
	s_delay_alu instid0(VALU_DEP_2) | instskip(NEXT) | instid1(VALU_DEP_2)
	v_and_b32_e32 v24, 1, v24
	v_cmp_eq_u32_e32 vcc_lo, 1, v8
	s_delay_alu instid0(VALU_DEP_2) | instskip(SKIP_1) | instid1(VALU_DEP_2)
	v_cndmask_b32_e64 v8, v24, 1, vcc_lo
	v_and_b32_e32 v24, 0xffff, v5
	v_lshlrev_b32_e32 v25, 16, v8
	s_delay_alu instid0(VALU_DEP_1)
	v_or_b32_e32 v25, v25, v24
	v_mov_b32_e32 v24, v8
.LBB52_377:                             ;   in Loop: Header=BB52_356 Depth=1
	s_or_b32 exec_lo, exec_lo, s34
	s_waitcnt lgkmcnt(0)
	ds_bpermute_b32 v26, v16, v25
	s_mov_b32 s34, exec_lo
	v_cmpx_le_u32_e64 v17, v7
	s_cbranch_execz .LBB52_385
; %bb.378:                              ;   in Loop: Header=BB52_356 Depth=1
	s_mov_b32 s35, exec_lo
	v_cmpx_eq_u16_e32 0, v8
	s_cbranch_execz .LBB52_384
; %bb.379:                              ;   in Loop: Header=BB52_356 Depth=1
	s_waitcnt lgkmcnt(0)
	v_lshlrev_b32_e32 v24, 16, v26
	v_lshlrev_b32_e32 v5, 16, v5
	s_delay_alu instid0(VALU_DEP_1) | instskip(NEXT) | instid1(VALU_DEP_1)
	v_add_f32_e32 v5, v5, v24
	v_and_b32_e32 v24, 0x7f800000, v5
	s_delay_alu instid0(VALU_DEP_1) | instskip(SKIP_1) | instid1(SALU_CYCLE_1)
	v_cmp_ne_u32_e32 vcc_lo, 0x7f800000, v24
                                        ; implicit-def: $vgpr24
	s_and_saveexec_b32 s41, vcc_lo
	s_xor_b32 s41, exec_lo, s41
; %bb.380:                              ;   in Loop: Header=BB52_356 Depth=1
	v_bfe_u32 v24, v5, 16, 1
	s_delay_alu instid0(VALU_DEP_1)
	v_add3_u32 v24, v5, v24, 0x7fff
                                        ; implicit-def: $vgpr5
; %bb.381:                              ;   in Loop: Header=BB52_356 Depth=1
	s_and_not1_saveexec_b32 s41, s41
; %bb.382:                              ;   in Loop: Header=BB52_356 Depth=1
	v_and_b32_e32 v24, 0xffff, v5
	v_or_b32_e32 v25, 0x10000, v5
	s_delay_alu instid0(VALU_DEP_2) | instskip(NEXT) | instid1(VALU_DEP_2)
	v_cmp_eq_u32_e32 vcc_lo, 0, v24
	v_cndmask_b32_e32 v24, v25, v5, vcc_lo
; %bb.383:                              ;   in Loop: Header=BB52_356 Depth=1
	s_or_b32 exec_lo, exec_lo, s41
	s_delay_alu instid0(VALU_DEP_1)
	v_lshrrev_b32_e32 v5, 16, v24
.LBB52_384:                             ;   in Loop: Header=BB52_356 Depth=1
	s_or_b32 exec_lo, exec_lo, s35
	s_waitcnt lgkmcnt(0)
	v_lshrrev_b32_e32 v24, 16, v26
	v_and_b32_e32 v8, 1, v8
	s_delay_alu instid0(VALU_DEP_2) | instskip(NEXT) | instid1(VALU_DEP_2)
	v_and_b32_e32 v24, 1, v24
	v_cmp_eq_u32_e32 vcc_lo, 1, v8
	s_delay_alu instid0(VALU_DEP_2) | instskip(SKIP_1) | instid1(VALU_DEP_2)
	v_cndmask_b32_e64 v8, v24, 1, vcc_lo
	v_and_b32_e32 v24, 0xffff, v5
	v_lshlrev_b32_e32 v25, 16, v8
	s_delay_alu instid0(VALU_DEP_1)
	v_or_b32_e32 v25, v25, v24
	v_mov_b32_e32 v24, v8
.LBB52_385:                             ;   in Loop: Header=BB52_356 Depth=1
	s_or_b32 exec_lo, exec_lo, s34
	s_waitcnt lgkmcnt(0)
	ds_bpermute_b32 v26, v18, v25
	s_mov_b32 s34, exec_lo
	v_cmpx_le_u32_e64 v19, v7
	s_cbranch_execz .LBB52_393
; %bb.386:                              ;   in Loop: Header=BB52_356 Depth=1
	s_mov_b32 s35, exec_lo
	v_cmpx_eq_u16_e32 0, v8
	s_cbranch_execz .LBB52_392
; %bb.387:                              ;   in Loop: Header=BB52_356 Depth=1
	s_waitcnt lgkmcnt(0)
	v_lshlrev_b32_e32 v24, 16, v26
	v_lshlrev_b32_e32 v5, 16, v5
	s_delay_alu instid0(VALU_DEP_1) | instskip(NEXT) | instid1(VALU_DEP_1)
	v_add_f32_e32 v5, v5, v24
	v_and_b32_e32 v24, 0x7f800000, v5
	s_delay_alu instid0(VALU_DEP_1) | instskip(SKIP_1) | instid1(SALU_CYCLE_1)
	v_cmp_ne_u32_e32 vcc_lo, 0x7f800000, v24
                                        ; implicit-def: $vgpr24
	s_and_saveexec_b32 s41, vcc_lo
	s_xor_b32 s41, exec_lo, s41
; %bb.388:                              ;   in Loop: Header=BB52_356 Depth=1
	v_bfe_u32 v24, v5, 16, 1
	s_delay_alu instid0(VALU_DEP_1)
	v_add3_u32 v24, v5, v24, 0x7fff
                                        ; implicit-def: $vgpr5
; %bb.389:                              ;   in Loop: Header=BB52_356 Depth=1
	s_and_not1_saveexec_b32 s41, s41
; %bb.390:                              ;   in Loop: Header=BB52_356 Depth=1
	v_and_b32_e32 v24, 0xffff, v5
	v_or_b32_e32 v25, 0x10000, v5
	s_delay_alu instid0(VALU_DEP_2) | instskip(NEXT) | instid1(VALU_DEP_2)
	v_cmp_eq_u32_e32 vcc_lo, 0, v24
	v_cndmask_b32_e32 v24, v25, v5, vcc_lo
; %bb.391:                              ;   in Loop: Header=BB52_356 Depth=1
	s_or_b32 exec_lo, exec_lo, s41
	s_delay_alu instid0(VALU_DEP_1)
	v_lshrrev_b32_e32 v5, 16, v24
.LBB52_392:                             ;   in Loop: Header=BB52_356 Depth=1
	s_or_b32 exec_lo, exec_lo, s35
	s_waitcnt lgkmcnt(0)
	v_lshrrev_b32_e32 v24, 16, v26
	v_and_b32_e32 v8, 1, v8
	s_delay_alu instid0(VALU_DEP_2) | instskip(NEXT) | instid1(VALU_DEP_2)
	v_and_b32_e32 v24, 1, v24
	v_cmp_eq_u32_e32 vcc_lo, 1, v8
	s_delay_alu instid0(VALU_DEP_2) | instskip(SKIP_1) | instid1(VALU_DEP_2)
	v_cndmask_b32_e64 v8, v24, 1, vcc_lo
	v_and_b32_e32 v24, 0xffff, v5
	v_lshlrev_b32_e32 v25, 16, v8
	s_delay_alu instid0(VALU_DEP_1)
	v_or_b32_e32 v25, v25, v24
	v_mov_b32_e32 v24, v8
.LBB52_393:                             ;   in Loop: Header=BB52_356 Depth=1
	s_or_b32 exec_lo, exec_lo, s34
	ds_bpermute_b32 v25, v21, v25
	s_mov_b32 s34, exec_lo
	v_cmpx_le_u32_e64 v23, v7
	s_cbranch_execz .LBB52_401
; %bb.394:                              ;   in Loop: Header=BB52_356 Depth=1
	s_mov_b32 s35, exec_lo
	v_cmpx_eq_u16_e32 0, v8
	s_cbranch_execz .LBB52_400
; %bb.395:                              ;   in Loop: Header=BB52_356 Depth=1
	s_waitcnt lgkmcnt(0)
	v_lshlrev_b32_e32 v7, 16, v25
	v_lshlrev_b32_e32 v5, 16, v5
	s_delay_alu instid0(VALU_DEP_1) | instskip(NEXT) | instid1(VALU_DEP_1)
	v_add_f32_e32 v5, v5, v7
	v_and_b32_e32 v7, 0x7f800000, v5
	s_delay_alu instid0(VALU_DEP_1) | instskip(SKIP_1) | instid1(SALU_CYCLE_1)
	v_cmp_ne_u32_e32 vcc_lo, 0x7f800000, v7
                                        ; implicit-def: $vgpr7
	s_and_saveexec_b32 s41, vcc_lo
	s_xor_b32 s41, exec_lo, s41
; %bb.396:                              ;   in Loop: Header=BB52_356 Depth=1
	v_bfe_u32 v7, v5, 16, 1
	s_delay_alu instid0(VALU_DEP_1)
	v_add3_u32 v7, v5, v7, 0x7fff
                                        ; implicit-def: $vgpr5
; %bb.397:                              ;   in Loop: Header=BB52_356 Depth=1
	s_and_not1_saveexec_b32 s41, s41
; %bb.398:                              ;   in Loop: Header=BB52_356 Depth=1
	v_and_b32_e32 v7, 0xffff, v5
	v_or_b32_e32 v24, 0x10000, v5
	s_delay_alu instid0(VALU_DEP_2) | instskip(NEXT) | instid1(VALU_DEP_2)
	v_cmp_eq_u32_e32 vcc_lo, 0, v7
	v_cndmask_b32_e32 v7, v24, v5, vcc_lo
; %bb.399:                              ;   in Loop: Header=BB52_356 Depth=1
	s_or_b32 exec_lo, exec_lo, s41
	s_delay_alu instid0(VALU_DEP_1)
	v_lshrrev_b32_e32 v5, 16, v7
.LBB52_400:                             ;   in Loop: Header=BB52_356 Depth=1
	s_or_b32 exec_lo, exec_lo, s35
	v_and_b32_e32 v7, 1, v8
	s_waitcnt lgkmcnt(0)
	v_lshrrev_b32_e32 v8, 16, v25
	s_delay_alu instid0(VALU_DEP_2) | instskip(NEXT) | instid1(VALU_DEP_2)
	v_cmp_eq_u32_e32 vcc_lo, 1, v7
	v_cndmask_b32_e64 v24, v8, 1, vcc_lo
.LBB52_401:                             ;   in Loop: Header=BB52_356 Depth=1
	s_or_b32 exec_lo, exec_lo, s34
	v_and_b32_e32 v7, 0xff, v20
	s_delay_alu instid0(VALU_DEP_1)
	v_cmp_eq_u16_e32 vcc_lo, 0, v7
	v_mov_b32_e32 v7, v22
	s_and_saveexec_b32 s34, vcc_lo
	s_cbranch_execz .LBB52_407
; %bb.402:                              ;   in Loop: Header=BB52_356 Depth=1
	v_lshlrev_b32_e32 v5, 16, v5
	v_lshlrev_b32_e32 v7, 16, v22
	s_delay_alu instid0(VALU_DEP_1) | instskip(NEXT) | instid1(VALU_DEP_1)
	v_add_f32_e32 v5, v7, v5
	v_and_b32_e32 v7, 0x7f800000, v5
	s_delay_alu instid0(VALU_DEP_1) | instskip(SKIP_1) | instid1(SALU_CYCLE_1)
	v_cmp_ne_u32_e32 vcc_lo, 0x7f800000, v7
                                        ; implicit-def: $vgpr7
	s_and_saveexec_b32 s35, vcc_lo
	s_xor_b32 s35, exec_lo, s35
; %bb.403:                              ;   in Loop: Header=BB52_356 Depth=1
	v_bfe_u32 v7, v5, 16, 1
	s_delay_alu instid0(VALU_DEP_1)
	v_add3_u32 v7, v5, v7, 0x7fff
                                        ; implicit-def: $vgpr5
; %bb.404:                              ;   in Loop: Header=BB52_356 Depth=1
	s_and_not1_saveexec_b32 s35, s35
; %bb.405:                              ;   in Loop: Header=BB52_356 Depth=1
	v_and_b32_e32 v7, 0xffff, v5
	v_or_b32_e32 v8, 0x10000, v5
	s_delay_alu instid0(VALU_DEP_2) | instskip(NEXT) | instid1(VALU_DEP_2)
	v_cmp_eq_u32_e32 vcc_lo, 0, v7
	v_cndmask_b32_e32 v7, v8, v5, vcc_lo
; %bb.406:                              ;   in Loop: Header=BB52_356 Depth=1
	s_or_b32 exec_lo, exec_lo, s35
	s_delay_alu instid0(VALU_DEP_1)
	v_lshrrev_b32_e32 v7, 16, v7
.LBB52_407:                             ;   in Loop: Header=BB52_356 Depth=1
	s_or_b32 exec_lo, exec_lo, s34
	v_and_b32_e32 v5, 1, v20
	v_and_b32_e32 v8, 1, v24
	v_subrev_nc_u32_e32 v3, 32, v3
	s_delay_alu instid0(VALU_DEP_3) | instskip(NEXT) | instid1(VALU_DEP_3)
	v_cmp_eq_u32_e32 vcc_lo, 1, v5
	v_cndmask_b32_e64 v8, v8, 1, vcc_lo
	s_branch .LBB52_356
.LBB52_408:
	s_and_saveexec_b32 s34, s26
	s_cbranch_execz .LBB52_416
; %bb.409:
	v_mov_b32_e32 v3, s40
	s_and_b32 s26, s40, 0xff0000
	s_delay_alu instid0(SALU_CYCLE_1)
	s_cmp_lg_u32 s26, 0
	s_cbranch_scc1 .LBB52_415
; %bb.410:
	v_lshlrev_b32_e32 v3, 16, v22
	s_lshl_b32 s26, s40, 16
	s_delay_alu instid0(VALU_DEP_1) | instid1(SALU_CYCLE_1)
	v_add_f32_e32 v3, s26, v3
	s_delay_alu instid0(VALU_DEP_1) | instskip(NEXT) | instid1(VALU_DEP_1)
	v_and_b32_e32 v4, 0x7f800000, v3
	v_cmp_ne_u32_e32 vcc_lo, 0x7f800000, v4
                                        ; implicit-def: $vgpr4
	s_and_saveexec_b32 s26, vcc_lo
	s_delay_alu instid0(SALU_CYCLE_1)
	s_xor_b32 s26, exec_lo, s26
; %bb.411:
	v_bfe_u32 v4, v3, 16, 1
	s_delay_alu instid0(VALU_DEP_1)
	v_add3_u32 v4, v3, v4, 0x7fff
                                        ; implicit-def: $vgpr3
; %bb.412:
	s_and_not1_saveexec_b32 s26, s26
; %bb.413:
	v_and_b32_e32 v4, 0xffff, v3
	v_or_b32_e32 v5, 0x10000, v3
	s_delay_alu instid0(VALU_DEP_2) | instskip(NEXT) | instid1(VALU_DEP_2)
	v_cmp_eq_u32_e32 vcc_lo, 0, v4
	v_cndmask_b32_e32 v4, v5, v3, vcc_lo
; %bb.414:
	s_or_b32 exec_lo, exec_lo, s26
	s_delay_alu instid0(VALU_DEP_1)
	v_lshrrev_b32_e32 v3, 16, v4
.LBB52_415:
	v_dual_mov_b32 v5, 0 :: v_dual_and_b32 v4, 1, v20
	s_bitcmp0_b32 s40, 16
	s_mov_b32 s41, 0
	s_cselect_b32 vcc_lo, -1, 0
	s_delay_alu instid0(VALU_DEP_1) | instskip(SKIP_1) | instid1(SALU_CYCLE_1)
	v_lshlrev_b32_e32 v4, 16, v4
	s_add_i32 s40, s15, 32
	s_lshl_b64 s[40:41], s[40:41], 3
	s_delay_alu instid0(SALU_CYCLE_1) | instskip(NEXT) | instid1(VALU_DEP_1)
	s_add_u32 s40, s36, s40
	v_cndmask_b32_e32 v4, 0x10000, v4, vcc_lo
	s_addc_u32 s41, s37, s41
	s_delay_alu instid0(VALU_DEP_1)
	v_and_or_b32 v3, 0xffff, v3, v4
	v_mov_b32_e32 v4, 2
	global_store_b64 v5, v[3:4], s[40:41]
.LBB52_416:
	s_or_b32 exec_lo, exec_lo, s34
	s_delay_alu instid0(SALU_CYCLE_1)
	s_and_b32 exec_lo, exec_lo, s25
	s_cbranch_execz .LBB52_418
; %bb.417:
	v_mov_b32_e32 v3, 0
	ds_store_b16 v3, v22
	ds_store_b8 v3, v20 offset:2
.LBB52_418:
	s_or_b32 exec_lo, exec_lo, s27
	v_dual_mov_b32 v3, 0 :: v_dual_mov_b32 v4, v47
	s_waitcnt lgkmcnt(0)
	s_waitcnt_vscnt null, 0x0
	s_barrier
	buffer_gl0_inv
	ds_load_b32 v3, v3
	s_and_saveexec_b32 s15, s24
	s_cbranch_execz .LBB52_426
; %bb.419:
	v_mov_b32_e32 v4, v47
	s_mov_b32 s24, exec_lo
	v_cmpx_gt_u32_e32 0x10000, v47
	s_cbranch_execz .LBB52_425
; %bb.420:
	v_lshlrev_b32_e32 v4, 16, v11
	v_lshlrev_b32_e32 v5, 16, v47
	s_delay_alu instid0(VALU_DEP_1) | instskip(NEXT) | instid1(VALU_DEP_1)
	v_add_f32_e32 v4, v5, v4
	v_and_b32_e32 v5, 0x7f800000, v4
	s_delay_alu instid0(VALU_DEP_1) | instskip(SKIP_1) | instid1(SALU_CYCLE_1)
	v_cmp_ne_u32_e32 vcc_lo, 0x7f800000, v5
                                        ; implicit-def: $vgpr5
	s_and_saveexec_b32 s25, vcc_lo
	s_xor_b32 s25, exec_lo, s25
; %bb.421:
	v_bfe_u32 v5, v4, 16, 1
	s_delay_alu instid0(VALU_DEP_1)
	v_add3_u32 v5, v4, v5, 0x7fff
                                        ; implicit-def: $vgpr4
; %bb.422:
	s_and_not1_saveexec_b32 s25, s25
; %bb.423:
	v_and_b32_e32 v5, 0xffff, v4
	v_or_b32_e32 v6, 0x10000, v4
	s_delay_alu instid0(VALU_DEP_2) | instskip(NEXT) | instid1(VALU_DEP_2)
	v_cmp_eq_u32_e32 vcc_lo, 0, v5
	v_cndmask_b32_e32 v5, v6, v4, vcc_lo
; %bb.424:
	s_or_b32 exec_lo, exec_lo, s25
	s_delay_alu instid0(VALU_DEP_1)
	v_lshrrev_b32_e32 v4, 16, v5
.LBB52_425:
	s_or_b32 exec_lo, exec_lo, s24
	v_and_b32_e32 v5, 0x10000, v47
	v_and_b32_e32 v1, 1, v1
	s_delay_alu instid0(VALU_DEP_2) | instskip(NEXT) | instid1(VALU_DEP_2)
	v_cmp_ne_u32_e32 vcc_lo, 0, v5
	v_cndmask_b32_e64 v12, v1, 1, vcc_lo
.LBB52_426:
	s_or_b32 exec_lo, exec_lo, s15
	s_delay_alu instid0(VALU_DEP_1) | instskip(SKIP_1) | instid1(VALU_DEP_1)
	v_and_b32_e32 v1, 0xff, v12
	s_mov_b32 s15, exec_lo
	v_cmpx_eq_u16_e32 0, v1
	s_cbranch_execz .LBB52_432
; %bb.427:
	s_waitcnt lgkmcnt(0)
	v_lshlrev_b32_e32 v1, 16, v3
	v_lshlrev_b32_e32 v3, 16, v4
	s_delay_alu instid0(VALU_DEP_1) | instskip(NEXT) | instid1(VALU_DEP_1)
	v_add_f32_e32 v1, v1, v3
	v_and_b32_e32 v3, 0x7f800000, v1
	s_delay_alu instid0(VALU_DEP_1) | instskip(SKIP_1) | instid1(SALU_CYCLE_1)
	v_cmp_ne_u32_e32 vcc_lo, 0x7f800000, v3
                                        ; implicit-def: $vgpr3
	s_and_saveexec_b32 s24, vcc_lo
	s_xor_b32 s24, exec_lo, s24
; %bb.428:
	v_bfe_u32 v3, v1, 16, 1
	s_delay_alu instid0(VALU_DEP_1)
	v_add3_u32 v3, v1, v3, 0x7fff
                                        ; implicit-def: $vgpr1
; %bb.429:
	s_and_not1_saveexec_b32 s24, s24
; %bb.430:
	v_and_b32_e32 v3, 0xffff, v1
	v_or_b32_e32 v4, 0x10000, v1
	s_delay_alu instid0(VALU_DEP_2) | instskip(NEXT) | instid1(VALU_DEP_2)
	v_cmp_eq_u32_e32 vcc_lo, 0, v3
	v_cndmask_b32_e32 v3, v4, v1, vcc_lo
; %bb.431:
	s_or_b32 exec_lo, exec_lo, s24
	s_delay_alu instid0(VALU_DEP_1)
	v_lshrrev_b32_e32 v4, 16, v3
.LBB52_432:
	s_or_b32 exec_lo, exec_lo, s15
	s_waitcnt lgkmcnt(0)
	s_delay_alu instid0(VALU_DEP_1)
	v_and_b32_e32 v3, 0xffff, v4
	v_mov_b32_e32 v1, v46
	s_and_saveexec_b32 s15, s2
	s_cbranch_execz .LBB52_438
; %bb.433:
	s_delay_alu instid0(VALU_DEP_2) | instskip(SKIP_1) | instid1(VALU_DEP_1)
	v_lshlrev_b32_e32 v1, 16, v3
	v_lshlrev_b32_e32 v4, 16, v46
	v_add_f32_e32 v1, v4, v1
	s_delay_alu instid0(VALU_DEP_1) | instskip(NEXT) | instid1(VALU_DEP_1)
	v_and_b32_e32 v4, 0x7f800000, v1
	v_cmp_ne_u32_e32 vcc_lo, 0x7f800000, v4
                                        ; implicit-def: $vgpr4
	s_and_saveexec_b32 s2, vcc_lo
	s_delay_alu instid0(SALU_CYCLE_1)
	s_xor_b32 s2, exec_lo, s2
; %bb.434:
	v_bfe_u32 v4, v1, 16, 1
	s_delay_alu instid0(VALU_DEP_1)
	v_add3_u32 v4, v1, v4, 0x7fff
                                        ; implicit-def: $vgpr1
; %bb.435:
	s_and_not1_saveexec_b32 s2, s2
; %bb.436:
	v_and_b32_e32 v4, 0xffff, v1
	v_or_b32_e32 v5, 0x10000, v1
	s_delay_alu instid0(VALU_DEP_2) | instskip(NEXT) | instid1(VALU_DEP_2)
	v_cmp_eq_u32_e32 vcc_lo, 0, v4
	v_cndmask_b32_e32 v4, v5, v1, vcc_lo
; %bb.437:
	s_or_b32 exec_lo, exec_lo, s2
	s_delay_alu instid0(VALU_DEP_1)
	v_lshrrev_b32_e32 v1, 16, v4
.LBB52_438:
	s_or_b32 exec_lo, exec_lo, s15
	s_delay_alu instid0(VALU_DEP_1)
	v_dual_mov_b32 v1, v45 :: v_dual_and_b32 v4, 0xffff, v1
	s_and_saveexec_b32 s2, s4
	s_cbranch_execz .LBB52_444
; %bb.439:
	s_delay_alu instid0(VALU_DEP_1) | instskip(SKIP_1) | instid1(VALU_DEP_1)
	v_lshlrev_b32_e32 v1, 16, v4
	v_lshlrev_b32_e32 v5, 16, v45
	v_add_f32_e32 v1, v5, v1
	s_delay_alu instid0(VALU_DEP_1) | instskip(NEXT) | instid1(VALU_DEP_1)
	v_and_b32_e32 v5, 0x7f800000, v1
	v_cmp_ne_u32_e32 vcc_lo, 0x7f800000, v5
                                        ; implicit-def: $vgpr5
	s_and_saveexec_b32 s4, vcc_lo
	s_delay_alu instid0(SALU_CYCLE_1)
	s_xor_b32 s4, exec_lo, s4
; %bb.440:
	v_bfe_u32 v5, v1, 16, 1
	s_delay_alu instid0(VALU_DEP_1)
	v_add3_u32 v5, v1, v5, 0x7fff
                                        ; implicit-def: $vgpr1
; %bb.441:
	s_and_not1_saveexec_b32 s4, s4
; %bb.442:
	v_and_b32_e32 v5, 0xffff, v1
	v_or_b32_e32 v6, 0x10000, v1
	s_delay_alu instid0(VALU_DEP_2) | instskip(NEXT) | instid1(VALU_DEP_2)
	v_cmp_eq_u32_e32 vcc_lo, 0, v5
	v_cndmask_b32_e32 v5, v6, v1, vcc_lo
; %bb.443:
	s_or_b32 exec_lo, exec_lo, s4
	s_delay_alu instid0(VALU_DEP_1)
	v_lshrrev_b32_e32 v1, 16, v5
.LBB52_444:
	s_or_b32 exec_lo, exec_lo, s2
	s_delay_alu instid0(VALU_DEP_1)
	v_and_b32_e32 v5, 0xffff, v1
	v_mov_b32_e32 v1, v43
	s_and_saveexec_b32 s2, s5
	s_cbranch_execz .LBB52_450
; %bb.445:
	s_delay_alu instid0(VALU_DEP_2) | instskip(SKIP_1) | instid1(VALU_DEP_1)
	v_lshlrev_b32_e32 v1, 16, v5
	v_lshlrev_b32_e32 v6, 16, v43
	v_add_f32_e32 v1, v6, v1
	s_delay_alu instid0(VALU_DEP_1) | instskip(NEXT) | instid1(VALU_DEP_1)
	v_and_b32_e32 v6, 0x7f800000, v1
	v_cmp_ne_u32_e32 vcc_lo, 0x7f800000, v6
                                        ; implicit-def: $vgpr6
	s_and_saveexec_b32 s4, vcc_lo
	s_delay_alu instid0(SALU_CYCLE_1)
	s_xor_b32 s4, exec_lo, s4
; %bb.446:
	v_bfe_u32 v6, v1, 16, 1
	s_delay_alu instid0(VALU_DEP_1)
	v_add3_u32 v6, v1, v6, 0x7fff
                                        ; implicit-def: $vgpr1
; %bb.447:
	s_and_not1_saveexec_b32 s4, s4
; %bb.448:
	v_and_b32_e32 v6, 0xffff, v1
	v_or_b32_e32 v7, 0x10000, v1
	s_delay_alu instid0(VALU_DEP_2) | instskip(NEXT) | instid1(VALU_DEP_2)
	v_cmp_eq_u32_e32 vcc_lo, 0, v6
	v_cndmask_b32_e32 v6, v7, v1, vcc_lo
; %bb.449:
	s_or_b32 exec_lo, exec_lo, s4
	s_delay_alu instid0(VALU_DEP_1)
	v_lshrrev_b32_e32 v1, 16, v6
.LBB52_450:
	s_or_b32 exec_lo, exec_lo, s2
	s_delay_alu instid0(VALU_DEP_1)
	v_dual_mov_b32 v1, v44 :: v_dual_and_b32 v6, 0xffff, v1
	s_and_saveexec_b32 s2, s6
	s_cbranch_execz .LBB52_456
; %bb.451:
	s_delay_alu instid0(VALU_DEP_1) | instskip(SKIP_1) | instid1(VALU_DEP_1)
	v_lshlrev_b32_e32 v1, 16, v6
	v_lshlrev_b32_e32 v7, 16, v44
	v_add_f32_e32 v1, v7, v1
	s_delay_alu instid0(VALU_DEP_1) | instskip(NEXT) | instid1(VALU_DEP_1)
	v_and_b32_e32 v7, 0x7f800000, v1
	v_cmp_ne_u32_e32 vcc_lo, 0x7f800000, v7
                                        ; implicit-def: $vgpr7
	s_and_saveexec_b32 s4, vcc_lo
	s_delay_alu instid0(SALU_CYCLE_1)
	s_xor_b32 s4, exec_lo, s4
; %bb.452:
	v_bfe_u32 v7, v1, 16, 1
	s_delay_alu instid0(VALU_DEP_1)
	v_add3_u32 v7, v1, v7, 0x7fff
                                        ; implicit-def: $vgpr1
; %bb.453:
	s_and_not1_saveexec_b32 s4, s4
; %bb.454:
	v_and_b32_e32 v7, 0xffff, v1
	v_or_b32_e32 v8, 0x10000, v1
	s_delay_alu instid0(VALU_DEP_2) | instskip(NEXT) | instid1(VALU_DEP_2)
	v_cmp_eq_u32_e32 vcc_lo, 0, v7
	v_cndmask_b32_e32 v7, v8, v1, vcc_lo
; %bb.455:
	s_or_b32 exec_lo, exec_lo, s4
	s_delay_alu instid0(VALU_DEP_1)
	v_lshrrev_b32_e32 v1, 16, v7
.LBB52_456:
	s_or_b32 exec_lo, exec_lo, s2
	s_delay_alu instid0(VALU_DEP_1)
	v_and_b32_e32 v7, 0xffff, v1
	v_mov_b32_e32 v1, v40
	s_and_saveexec_b32 s2, s7
	s_cbranch_execz .LBB52_462
; %bb.457:
	s_delay_alu instid0(VALU_DEP_2) | instskip(SKIP_1) | instid1(VALU_DEP_1)
	v_lshlrev_b32_e32 v1, 16, v7
	v_lshlrev_b32_e32 v8, 16, v40
	v_add_f32_e32 v1, v8, v1
	s_delay_alu instid0(VALU_DEP_1) | instskip(NEXT) | instid1(VALU_DEP_1)
	v_and_b32_e32 v8, 0x7f800000, v1
	v_cmp_ne_u32_e32 vcc_lo, 0x7f800000, v8
                                        ; implicit-def: $vgpr8
	s_and_saveexec_b32 s4, vcc_lo
	s_delay_alu instid0(SALU_CYCLE_1)
	s_xor_b32 s4, exec_lo, s4
; %bb.458:
	v_bfe_u32 v8, v1, 16, 1
	s_delay_alu instid0(VALU_DEP_1)
	v_add3_u32 v8, v1, v8, 0x7fff
                                        ; implicit-def: $vgpr1
; %bb.459:
	s_and_not1_saveexec_b32 s4, s4
; %bb.460:
	v_and_b32_e32 v8, 0xffff, v1
	v_or_b32_e32 v9, 0x10000, v1
	s_delay_alu instid0(VALU_DEP_2) | instskip(NEXT) | instid1(VALU_DEP_2)
	v_cmp_eq_u32_e32 vcc_lo, 0, v8
	v_cndmask_b32_e32 v8, v9, v1, vcc_lo
; %bb.461:
	s_or_b32 exec_lo, exec_lo, s4
	s_delay_alu instid0(VALU_DEP_1)
	v_lshrrev_b32_e32 v1, 16, v8
.LBB52_462:
	s_or_b32 exec_lo, exec_lo, s2
	s_delay_alu instid0(VALU_DEP_1)
	v_dual_mov_b32 v1, v42 :: v_dual_and_b32 v8, 0xffff, v1
	s_and_saveexec_b32 s2, s8
	s_cbranch_execz .LBB52_468
; %bb.463:
	s_delay_alu instid0(VALU_DEP_1) | instskip(SKIP_1) | instid1(VALU_DEP_1)
	v_lshlrev_b32_e32 v1, 16, v8
	v_lshlrev_b32_e32 v9, 16, v42
	v_add_f32_e32 v1, v9, v1
	s_delay_alu instid0(VALU_DEP_1) | instskip(NEXT) | instid1(VALU_DEP_1)
	v_and_b32_e32 v9, 0x7f800000, v1
	v_cmp_ne_u32_e32 vcc_lo, 0x7f800000, v9
                                        ; implicit-def: $vgpr9
	s_and_saveexec_b32 s4, vcc_lo
	s_delay_alu instid0(SALU_CYCLE_1)
	s_xor_b32 s4, exec_lo, s4
; %bb.464:
	v_bfe_u32 v9, v1, 16, 1
	s_delay_alu instid0(VALU_DEP_1)
	v_add3_u32 v9, v1, v9, 0x7fff
                                        ; implicit-def: $vgpr1
; %bb.465:
	s_and_not1_saveexec_b32 s4, s4
; %bb.466:
	v_and_b32_e32 v9, 0xffff, v1
	v_or_b32_e32 v10, 0x10000, v1
	s_delay_alu instid0(VALU_DEP_2) | instskip(NEXT) | instid1(VALU_DEP_2)
	v_cmp_eq_u32_e32 vcc_lo, 0, v9
	v_cndmask_b32_e32 v9, v10, v1, vcc_lo
; %bb.467:
	s_or_b32 exec_lo, exec_lo, s4
	s_delay_alu instid0(VALU_DEP_1)
	v_lshrrev_b32_e32 v1, 16, v9
.LBB52_468:
	s_or_b32 exec_lo, exec_lo, s2
	s_delay_alu instid0(VALU_DEP_1)
	v_and_b32_e32 v9, 0xffff, v1
	v_mov_b32_e32 v1, v38
	s_and_saveexec_b32 s2, s9
	s_cbranch_execz .LBB52_474
; %bb.469:
	s_delay_alu instid0(VALU_DEP_2) | instskip(SKIP_1) | instid1(VALU_DEP_1)
	v_lshlrev_b32_e32 v1, 16, v9
	v_lshlrev_b32_e32 v10, 16, v38
	v_add_f32_e32 v1, v10, v1
	s_delay_alu instid0(VALU_DEP_1) | instskip(NEXT) | instid1(VALU_DEP_1)
	v_and_b32_e32 v10, 0x7f800000, v1
	v_cmp_ne_u32_e32 vcc_lo, 0x7f800000, v10
                                        ; implicit-def: $vgpr10
	s_and_saveexec_b32 s4, vcc_lo
	s_delay_alu instid0(SALU_CYCLE_1)
	s_xor_b32 s4, exec_lo, s4
; %bb.470:
	v_bfe_u32 v10, v1, 16, 1
	s_delay_alu instid0(VALU_DEP_1)
	v_add3_u32 v10, v1, v10, 0x7fff
                                        ; implicit-def: $vgpr1
; %bb.471:
	s_and_not1_saveexec_b32 s4, s4
; %bb.472:
	v_and_b32_e32 v10, 0xffff, v1
	v_or_b32_e32 v11, 0x10000, v1
	s_delay_alu instid0(VALU_DEP_2) | instskip(NEXT) | instid1(VALU_DEP_2)
	v_cmp_eq_u32_e32 vcc_lo, 0, v10
	v_cndmask_b32_e32 v10, v11, v1, vcc_lo
; %bb.473:
	s_or_b32 exec_lo, exec_lo, s4
	s_delay_alu instid0(VALU_DEP_1)
	v_lshrrev_b32_e32 v1, 16, v10
.LBB52_474:
	s_or_b32 exec_lo, exec_lo, s2
	s_delay_alu instid0(VALU_DEP_1)
	v_dual_mov_b32 v1, v39 :: v_dual_and_b32 v10, 0xffff, v1
	s_and_saveexec_b32 s2, s10
	s_cbranch_execz .LBB52_480
; %bb.475:
	s_delay_alu instid0(VALU_DEP_1) | instskip(SKIP_1) | instid1(VALU_DEP_1)
	v_lshlrev_b32_e32 v1, 16, v10
	v_lshlrev_b32_e32 v11, 16, v39
	v_add_f32_e32 v1, v11, v1
	s_delay_alu instid0(VALU_DEP_1) | instskip(NEXT) | instid1(VALU_DEP_1)
	v_and_b32_e32 v11, 0x7f800000, v1
	v_cmp_ne_u32_e32 vcc_lo, 0x7f800000, v11
                                        ; implicit-def: $vgpr11
	s_and_saveexec_b32 s4, vcc_lo
	s_delay_alu instid0(SALU_CYCLE_1)
	s_xor_b32 s4, exec_lo, s4
; %bb.476:
	v_bfe_u32 v11, v1, 16, 1
	s_delay_alu instid0(VALU_DEP_1)
	v_add3_u32 v11, v1, v11, 0x7fff
                                        ; implicit-def: $vgpr1
; %bb.477:
	s_and_not1_saveexec_b32 s4, s4
; %bb.478:
	v_and_b32_e32 v11, 0xffff, v1
	v_or_b32_e32 v12, 0x10000, v1
	s_delay_alu instid0(VALU_DEP_2) | instskip(NEXT) | instid1(VALU_DEP_2)
	v_cmp_eq_u32_e32 vcc_lo, 0, v11
	v_cndmask_b32_e32 v11, v12, v1, vcc_lo
; %bb.479:
	s_or_b32 exec_lo, exec_lo, s4
	s_delay_alu instid0(VALU_DEP_1)
	v_lshrrev_b32_e32 v1, 16, v11
.LBB52_480:
	s_or_b32 exec_lo, exec_lo, s2
	s_delay_alu instid0(VALU_DEP_1)
	v_and_b32_e32 v11, 0xffff, v1
	v_mov_b32_e32 v1, v41
	s_and_saveexec_b32 s2, s11
	s_cbranch_execz .LBB52_486
; %bb.481:
	s_delay_alu instid0(VALU_DEP_2) | instskip(SKIP_1) | instid1(VALU_DEP_1)
	v_lshlrev_b32_e32 v1, 16, v11
	v_lshlrev_b32_e32 v12, 16, v41
	v_add_f32_e32 v1, v12, v1
	s_delay_alu instid0(VALU_DEP_1) | instskip(NEXT) | instid1(VALU_DEP_1)
	v_and_b32_e32 v12, 0x7f800000, v1
	v_cmp_ne_u32_e32 vcc_lo, 0x7f800000, v12
                                        ; implicit-def: $vgpr12
	s_and_saveexec_b32 s4, vcc_lo
	s_delay_alu instid0(SALU_CYCLE_1)
	s_xor_b32 s4, exec_lo, s4
; %bb.482:
	v_bfe_u32 v12, v1, 16, 1
	s_delay_alu instid0(VALU_DEP_1)
	v_add3_u32 v12, v1, v12, 0x7fff
                                        ; implicit-def: $vgpr1
; %bb.483:
	s_and_not1_saveexec_b32 s4, s4
; %bb.484:
	v_and_b32_e32 v12, 0xffff, v1
	v_or_b32_e32 v13, 0x10000, v1
	s_delay_alu instid0(VALU_DEP_2) | instskip(NEXT) | instid1(VALU_DEP_2)
	v_cmp_eq_u32_e32 vcc_lo, 0, v12
	v_cndmask_b32_e32 v12, v13, v1, vcc_lo
; %bb.485:
	s_or_b32 exec_lo, exec_lo, s4
	s_delay_alu instid0(VALU_DEP_1)
	v_lshrrev_b32_e32 v1, 16, v12
.LBB52_486:
	s_or_b32 exec_lo, exec_lo, s2
	s_delay_alu instid0(VALU_DEP_1)
	v_dual_mov_b32 v1, v37 :: v_dual_and_b32 v12, 0xffff, v1
	s_and_saveexec_b32 s2, s12
	s_cbranch_execz .LBB52_492
; %bb.487:
	s_delay_alu instid0(VALU_DEP_1) | instskip(SKIP_1) | instid1(VALU_DEP_1)
	v_lshlrev_b32_e32 v1, 16, v12
	v_lshlrev_b32_e32 v13, 16, v37
	v_add_f32_e32 v1, v13, v1
	s_delay_alu instid0(VALU_DEP_1) | instskip(NEXT) | instid1(VALU_DEP_1)
	v_and_b32_e32 v13, 0x7f800000, v1
	v_cmp_ne_u32_e32 vcc_lo, 0x7f800000, v13
                                        ; implicit-def: $vgpr13
	s_and_saveexec_b32 s4, vcc_lo
	s_delay_alu instid0(SALU_CYCLE_1)
	s_xor_b32 s4, exec_lo, s4
; %bb.488:
	v_bfe_u32 v13, v1, 16, 1
	s_delay_alu instid0(VALU_DEP_1)
	v_add3_u32 v13, v1, v13, 0x7fff
                                        ; implicit-def: $vgpr1
; %bb.489:
	s_and_not1_saveexec_b32 s4, s4
; %bb.490:
	v_and_b32_e32 v13, 0xffff, v1
	v_or_b32_e32 v14, 0x10000, v1
	s_delay_alu instid0(VALU_DEP_2) | instskip(NEXT) | instid1(VALU_DEP_2)
	v_cmp_eq_u32_e32 vcc_lo, 0, v13
	v_cndmask_b32_e32 v13, v14, v1, vcc_lo
; %bb.491:
	s_or_b32 exec_lo, exec_lo, s4
	s_delay_alu instid0(VALU_DEP_1)
	v_lshrrev_b32_e32 v1, 16, v13
.LBB52_492:
	s_or_b32 exec_lo, exec_lo, s2
	s_delay_alu instid0(VALU_DEP_1)
	v_and_b32_e32 v13, 0xffff, v1
	v_mov_b32_e32 v1, v30
	s_and_saveexec_b32 s2, s13
	s_cbranch_execz .LBB52_498
; %bb.493:
	s_delay_alu instid0(VALU_DEP_2) | instskip(SKIP_1) | instid1(VALU_DEP_1)
	v_lshlrev_b32_e32 v1, 16, v13
	v_lshlrev_b32_e32 v14, 16, v30
	v_add_f32_e32 v1, v14, v1
	s_delay_alu instid0(VALU_DEP_1) | instskip(NEXT) | instid1(VALU_DEP_1)
	v_and_b32_e32 v14, 0x7f800000, v1
	v_cmp_ne_u32_e32 vcc_lo, 0x7f800000, v14
                                        ; implicit-def: $vgpr14
	s_and_saveexec_b32 s4, vcc_lo
	s_delay_alu instid0(SALU_CYCLE_1)
	s_xor_b32 s4, exec_lo, s4
; %bb.494:
	v_bfe_u32 v14, v1, 16, 1
	s_delay_alu instid0(VALU_DEP_1)
	v_add3_u32 v14, v1, v14, 0x7fff
                                        ; implicit-def: $vgpr1
; %bb.495:
	s_and_not1_saveexec_b32 s4, s4
; %bb.496:
	v_and_b32_e32 v14, 0xffff, v1
	v_or_b32_e32 v15, 0x10000, v1
	s_delay_alu instid0(VALU_DEP_2) | instskip(NEXT) | instid1(VALU_DEP_2)
	v_cmp_eq_u32_e32 vcc_lo, 0, v14
	v_cndmask_b32_e32 v14, v15, v1, vcc_lo
; %bb.497:
	s_or_b32 exec_lo, exec_lo, s4
	s_delay_alu instid0(VALU_DEP_1)
	v_lshrrev_b32_e32 v1, 16, v14
.LBB52_498:
	s_or_b32 exec_lo, exec_lo, s2
	s_delay_alu instid0(VALU_DEP_1)
	v_dual_mov_b32 v1, v34 :: v_dual_and_b32 v14, 0xffff, v1
	s_and_saveexec_b32 s2, s14
	s_cbranch_execz .LBB52_504
; %bb.499:
	s_delay_alu instid0(VALU_DEP_1) | instskip(SKIP_1) | instid1(VALU_DEP_1)
	v_lshlrev_b32_e32 v1, 16, v14
	v_lshlrev_b32_e32 v15, 16, v34
	v_add_f32_e32 v1, v15, v1
	s_delay_alu instid0(VALU_DEP_1) | instskip(NEXT) | instid1(VALU_DEP_1)
	v_and_b32_e32 v15, 0x7f800000, v1
	v_cmp_ne_u32_e32 vcc_lo, 0x7f800000, v15
                                        ; implicit-def: $vgpr15
	s_and_saveexec_b32 s4, vcc_lo
	s_delay_alu instid0(SALU_CYCLE_1)
	s_xor_b32 s4, exec_lo, s4
; %bb.500:
	v_bfe_u32 v15, v1, 16, 1
	s_delay_alu instid0(VALU_DEP_1)
	v_add3_u32 v15, v1, v15, 0x7fff
                                        ; implicit-def: $vgpr1
; %bb.501:
	s_and_not1_saveexec_b32 s4, s4
; %bb.502:
	v_and_b32_e32 v15, 0xffff, v1
	v_or_b32_e32 v16, 0x10000, v1
	s_delay_alu instid0(VALU_DEP_2) | instskip(NEXT) | instid1(VALU_DEP_2)
	v_cmp_eq_u32_e32 vcc_lo, 0, v15
	v_cndmask_b32_e32 v15, v16, v1, vcc_lo
; %bb.503:
	s_or_b32 exec_lo, exec_lo, s4
	s_delay_alu instid0(VALU_DEP_1)
	v_lshrrev_b32_e32 v1, 16, v15
.LBB52_504:
	s_or_b32 exec_lo, exec_lo, s2
	s_delay_alu instid0(VALU_DEP_1)
	v_and_b32_e32 v15, 0xffff, v1
	v_mov_b32_e32 v1, v28
	s_and_saveexec_b32 s2, s16
	s_cbranch_execz .LBB52_510
; %bb.505:
	s_delay_alu instid0(VALU_DEP_2) | instskip(SKIP_1) | instid1(VALU_DEP_1)
	v_lshlrev_b32_e32 v1, 16, v15
	v_lshlrev_b32_e32 v16, 16, v28
	v_add_f32_e32 v1, v16, v1
	s_delay_alu instid0(VALU_DEP_1) | instskip(NEXT) | instid1(VALU_DEP_1)
	v_and_b32_e32 v16, 0x7f800000, v1
	v_cmp_ne_u32_e32 vcc_lo, 0x7f800000, v16
                                        ; implicit-def: $vgpr16
	s_and_saveexec_b32 s4, vcc_lo
	s_delay_alu instid0(SALU_CYCLE_1)
	s_xor_b32 s4, exec_lo, s4
; %bb.506:
	v_bfe_u32 v16, v1, 16, 1
	s_delay_alu instid0(VALU_DEP_1)
	v_add3_u32 v16, v1, v16, 0x7fff
                                        ; implicit-def: $vgpr1
; %bb.507:
	s_and_not1_saveexec_b32 s4, s4
; %bb.508:
	v_and_b32_e32 v16, 0xffff, v1
	v_or_b32_e32 v17, 0x10000, v1
	s_delay_alu instid0(VALU_DEP_2) | instskip(NEXT) | instid1(VALU_DEP_2)
	v_cmp_eq_u32_e32 vcc_lo, 0, v16
	v_cndmask_b32_e32 v16, v17, v1, vcc_lo
; %bb.509:
	s_or_b32 exec_lo, exec_lo, s4
	s_delay_alu instid0(VALU_DEP_1)
	v_lshrrev_b32_e32 v1, 16, v16
.LBB52_510:
	s_or_b32 exec_lo, exec_lo, s2
	s_delay_alu instid0(VALU_DEP_1)
	v_dual_mov_b32 v1, v32 :: v_dual_and_b32 v16, 0xffff, v1
	s_and_saveexec_b32 s2, s17
	s_cbranch_execz .LBB52_516
; %bb.511:
	s_delay_alu instid0(VALU_DEP_1) | instskip(SKIP_1) | instid1(VALU_DEP_1)
	v_lshlrev_b32_e32 v1, 16, v16
	v_lshlrev_b32_e32 v17, 16, v32
	v_add_f32_e32 v1, v17, v1
	s_delay_alu instid0(VALU_DEP_1) | instskip(NEXT) | instid1(VALU_DEP_1)
	v_and_b32_e32 v17, 0x7f800000, v1
	v_cmp_ne_u32_e32 vcc_lo, 0x7f800000, v17
                                        ; implicit-def: $vgpr17
	s_and_saveexec_b32 s4, vcc_lo
	s_delay_alu instid0(SALU_CYCLE_1)
	s_xor_b32 s4, exec_lo, s4
; %bb.512:
	v_bfe_u32 v17, v1, 16, 1
	s_delay_alu instid0(VALU_DEP_1)
	v_add3_u32 v17, v1, v17, 0x7fff
                                        ; implicit-def: $vgpr1
; %bb.513:
	s_and_not1_saveexec_b32 s4, s4
; %bb.514:
	v_and_b32_e32 v17, 0xffff, v1
	v_or_b32_e32 v18, 0x10000, v1
	s_delay_alu instid0(VALU_DEP_2) | instskip(NEXT) | instid1(VALU_DEP_2)
	v_cmp_eq_u32_e32 vcc_lo, 0, v17
	v_cndmask_b32_e32 v17, v18, v1, vcc_lo
; %bb.515:
	s_or_b32 exec_lo, exec_lo, s4
	s_delay_alu instid0(VALU_DEP_1)
	v_lshrrev_b32_e32 v1, 16, v17
.LBB52_516:
	s_or_b32 exec_lo, exec_lo, s2
	s_delay_alu instid0(VALU_DEP_1)
	v_and_b32_e32 v17, 0xffff, v1
	v_mov_b32_e32 v1, v27
	s_and_saveexec_b32 s2, s18
	s_cbranch_execz .LBB52_522
; %bb.517:
	s_delay_alu instid0(VALU_DEP_2) | instskip(SKIP_1) | instid1(VALU_DEP_1)
	v_lshlrev_b32_e32 v1, 16, v17
	v_lshlrev_b32_e32 v18, 16, v27
	v_add_f32_e32 v1, v18, v1
	s_delay_alu instid0(VALU_DEP_1) | instskip(NEXT) | instid1(VALU_DEP_1)
	v_and_b32_e32 v18, 0x7f800000, v1
	v_cmp_ne_u32_e32 vcc_lo, 0x7f800000, v18
                                        ; implicit-def: $vgpr18
	s_and_saveexec_b32 s4, vcc_lo
	s_delay_alu instid0(SALU_CYCLE_1)
	s_xor_b32 s4, exec_lo, s4
; %bb.518:
	v_bfe_u32 v18, v1, 16, 1
	s_delay_alu instid0(VALU_DEP_1)
	v_add3_u32 v18, v1, v18, 0x7fff
                                        ; implicit-def: $vgpr1
; %bb.519:
	s_and_not1_saveexec_b32 s4, s4
; %bb.520:
	v_and_b32_e32 v18, 0xffff, v1
	v_or_b32_e32 v19, 0x10000, v1
	s_delay_alu instid0(VALU_DEP_2) | instskip(NEXT) | instid1(VALU_DEP_2)
	v_cmp_eq_u32_e32 vcc_lo, 0, v18
	v_cndmask_b32_e32 v18, v19, v1, vcc_lo
; %bb.521:
	s_or_b32 exec_lo, exec_lo, s4
	s_delay_alu instid0(VALU_DEP_1)
	v_lshrrev_b32_e32 v1, 16, v18
.LBB52_522:
	s_or_b32 exec_lo, exec_lo, s2
	s_delay_alu instid0(VALU_DEP_1)
	v_dual_mov_b32 v1, v31 :: v_dual_and_b32 v18, 0xffff, v1
	s_and_saveexec_b32 s2, s19
	s_cbranch_execz .LBB52_528
; %bb.523:
	s_delay_alu instid0(VALU_DEP_1) | instskip(SKIP_1) | instid1(VALU_DEP_1)
	v_lshlrev_b32_e32 v1, 16, v18
	v_lshlrev_b32_e32 v19, 16, v31
	v_add_f32_e32 v1, v19, v1
	s_delay_alu instid0(VALU_DEP_1) | instskip(NEXT) | instid1(VALU_DEP_1)
	v_and_b32_e32 v19, 0x7f800000, v1
	v_cmp_ne_u32_e32 vcc_lo, 0x7f800000, v19
                                        ; implicit-def: $vgpr19
	s_and_saveexec_b32 s4, vcc_lo
	s_delay_alu instid0(SALU_CYCLE_1)
	s_xor_b32 s4, exec_lo, s4
; %bb.524:
	v_bfe_u32 v19, v1, 16, 1
	s_delay_alu instid0(VALU_DEP_1)
	v_add3_u32 v19, v1, v19, 0x7fff
                                        ; implicit-def: $vgpr1
; %bb.525:
	s_and_not1_saveexec_b32 s4, s4
; %bb.526:
	v_and_b32_e32 v19, 0xffff, v1
	v_or_b32_e32 v20, 0x10000, v1
	s_delay_alu instid0(VALU_DEP_2) | instskip(NEXT) | instid1(VALU_DEP_2)
	v_cmp_eq_u32_e32 vcc_lo, 0, v19
	v_cndmask_b32_e32 v19, v20, v1, vcc_lo
; %bb.527:
	s_or_b32 exec_lo, exec_lo, s4
	s_delay_alu instid0(VALU_DEP_1)
	v_lshrrev_b32_e32 v1, 16, v19
.LBB52_528:
	s_or_b32 exec_lo, exec_lo, s2
	s_delay_alu instid0(VALU_DEP_1)
	v_and_b32_e32 v19, 0xffff, v1
	v_mov_b32_e32 v1, v36
	s_and_saveexec_b32 s2, s20
	s_cbranch_execz .LBB52_534
; %bb.529:
	s_delay_alu instid0(VALU_DEP_2) | instskip(SKIP_1) | instid1(VALU_DEP_1)
	v_lshlrev_b32_e32 v1, 16, v19
	v_lshlrev_b32_e32 v20, 16, v36
	v_add_f32_e32 v1, v20, v1
	s_delay_alu instid0(VALU_DEP_1) | instskip(NEXT) | instid1(VALU_DEP_1)
	v_and_b32_e32 v20, 0x7f800000, v1
	v_cmp_ne_u32_e32 vcc_lo, 0x7f800000, v20
                                        ; implicit-def: $vgpr20
	s_and_saveexec_b32 s4, vcc_lo
	s_delay_alu instid0(SALU_CYCLE_1)
	s_xor_b32 s4, exec_lo, s4
; %bb.530:
	v_bfe_u32 v20, v1, 16, 1
	s_delay_alu instid0(VALU_DEP_1)
	v_add3_u32 v20, v1, v20, 0x7fff
                                        ; implicit-def: $vgpr1
; %bb.531:
	s_and_not1_saveexec_b32 s4, s4
; %bb.532:
	v_and_b32_e32 v20, 0xffff, v1
	v_or_b32_e32 v21, 0x10000, v1
	s_delay_alu instid0(VALU_DEP_2) | instskip(NEXT) | instid1(VALU_DEP_2)
	v_cmp_eq_u32_e32 vcc_lo, 0, v20
	v_cndmask_b32_e32 v20, v21, v1, vcc_lo
; %bb.533:
	s_or_b32 exec_lo, exec_lo, s4
	s_delay_alu instid0(VALU_DEP_1)
	v_lshrrev_b32_e32 v1, 16, v20
.LBB52_534:
	s_or_b32 exec_lo, exec_lo, s2
	s_delay_alu instid0(VALU_DEP_1)
	v_dual_mov_b32 v1, v33 :: v_dual_and_b32 v20, 0xffff, v1
	s_and_saveexec_b32 s2, s21
	s_cbranch_execz .LBB52_540
; %bb.535:
	s_delay_alu instid0(VALU_DEP_1) | instskip(SKIP_1) | instid1(VALU_DEP_1)
	v_lshlrev_b32_e32 v1, 16, v20
	v_lshlrev_b32_e32 v21, 16, v33
	v_add_f32_e32 v1, v21, v1
	s_delay_alu instid0(VALU_DEP_1) | instskip(NEXT) | instid1(VALU_DEP_1)
	v_and_b32_e32 v21, 0x7f800000, v1
	v_cmp_ne_u32_e32 vcc_lo, 0x7f800000, v21
                                        ; implicit-def: $vgpr21
	s_and_saveexec_b32 s4, vcc_lo
	s_delay_alu instid0(SALU_CYCLE_1)
	s_xor_b32 s4, exec_lo, s4
; %bb.536:
	v_bfe_u32 v21, v1, 16, 1
	s_delay_alu instid0(VALU_DEP_1)
	v_add3_u32 v21, v1, v21, 0x7fff
                                        ; implicit-def: $vgpr1
; %bb.537:
	s_and_not1_saveexec_b32 s4, s4
; %bb.538:
	v_and_b32_e32 v21, 0xffff, v1
	v_or_b32_e32 v22, 0x10000, v1
	s_delay_alu instid0(VALU_DEP_2) | instskip(NEXT) | instid1(VALU_DEP_2)
	v_cmp_eq_u32_e32 vcc_lo, 0, v21
	v_cndmask_b32_e32 v21, v22, v1, vcc_lo
; %bb.539:
	s_or_b32 exec_lo, exec_lo, s4
	s_delay_alu instid0(VALU_DEP_1)
	v_lshrrev_b32_e32 v1, 16, v21
.LBB52_540:
	s_or_b32 exec_lo, exec_lo, s2
	s_delay_alu instid0(VALU_DEP_1)
	v_and_b32_e32 v21, 0xffff, v1
	v_mov_b32_e32 v1, v29
	s_and_saveexec_b32 s2, s22
	s_cbranch_execz .LBB52_546
; %bb.541:
	s_delay_alu instid0(VALU_DEP_2) | instskip(SKIP_1) | instid1(VALU_DEP_1)
	v_lshlrev_b32_e32 v1, 16, v21
	v_lshlrev_b32_e32 v22, 16, v29
	v_add_f32_e32 v1, v22, v1
	s_delay_alu instid0(VALU_DEP_1) | instskip(NEXT) | instid1(VALU_DEP_1)
	v_and_b32_e32 v22, 0x7f800000, v1
	v_cmp_ne_u32_e32 vcc_lo, 0x7f800000, v22
                                        ; implicit-def: $vgpr22
	s_and_saveexec_b32 s4, vcc_lo
	s_delay_alu instid0(SALU_CYCLE_1)
	s_xor_b32 s4, exec_lo, s4
; %bb.542:
	v_bfe_u32 v22, v1, 16, 1
	s_delay_alu instid0(VALU_DEP_1)
	v_add3_u32 v22, v1, v22, 0x7fff
                                        ; implicit-def: $vgpr1
; %bb.543:
	s_and_not1_saveexec_b32 s4, s4
; %bb.544:
	v_and_b32_e32 v22, 0xffff, v1
	v_or_b32_e32 v23, 0x10000, v1
	s_delay_alu instid0(VALU_DEP_2) | instskip(NEXT) | instid1(VALU_DEP_2)
	v_cmp_eq_u32_e32 vcc_lo, 0, v22
	v_cndmask_b32_e32 v22, v23, v1, vcc_lo
; %bb.545:
	s_or_b32 exec_lo, exec_lo, s4
	s_delay_alu instid0(VALU_DEP_1)
	v_lshrrev_b32_e32 v1, 16, v22
.LBB52_546:
	s_or_b32 exec_lo, exec_lo, s2
	s_delay_alu instid0(VALU_DEP_1)
	v_dual_mov_b32 v1, v35 :: v_dual_and_b32 v22, 0xffff, v1
	s_and_saveexec_b32 s2, s23
	s_cbranch_execz .LBB52_552
; %bb.547:
	s_delay_alu instid0(VALU_DEP_1) | instskip(SKIP_1) | instid1(VALU_DEP_1)
	v_lshlrev_b32_e32 v1, 16, v22
	v_lshlrev_b32_e32 v23, 16, v35
	v_add_f32_e32 v1, v23, v1
	s_delay_alu instid0(VALU_DEP_1) | instskip(NEXT) | instid1(VALU_DEP_1)
	v_and_b32_e32 v23, 0x7f800000, v1
	v_cmp_ne_u32_e32 vcc_lo, 0x7f800000, v23
                                        ; implicit-def: $vgpr23
	s_and_saveexec_b32 s4, vcc_lo
	s_delay_alu instid0(SALU_CYCLE_1)
	s_xor_b32 s4, exec_lo, s4
; %bb.548:
	v_bfe_u32 v23, v1, 16, 1
	s_delay_alu instid0(VALU_DEP_1)
	v_add3_u32 v23, v1, v23, 0x7fff
                                        ; implicit-def: $vgpr1
; %bb.549:
	s_and_not1_saveexec_b32 s4, s4
; %bb.550:
	v_and_b32_e32 v23, 0xffff, v1
	v_or_b32_e32 v24, 0x10000, v1
	s_delay_alu instid0(VALU_DEP_2) | instskip(NEXT) | instid1(VALU_DEP_2)
	v_cmp_eq_u32_e32 vcc_lo, 0, v23
	v_cndmask_b32_e32 v23, v24, v1, vcc_lo
; %bb.551:
	s_or_b32 exec_lo, exec_lo, s4
	s_delay_alu instid0(VALU_DEP_1)
	v_lshrrev_b32_e32 v1, 16, v23
.LBB52_552:
	s_or_b32 exec_lo, exec_lo, s2
	s_delay_alu instid0(VALU_DEP_1) | instskip(NEXT) | instid1(VALU_DEP_1)
	v_and_b32_e32 v1, 0xffff, v1
	v_dual_mov_b32 v24, v2 :: v_dual_mov_b32 v23, v1
	s_and_saveexec_b32 s2, s3
	s_cbranch_execz .LBB52_558
; %bb.553:
	v_lshlrev_b32_e32 v23, 16, v1
	v_lshlrev_b32_e32 v24, 16, v2
	s_delay_alu instid0(VALU_DEP_1) | instskip(NEXT) | instid1(VALU_DEP_1)
	v_add_f32_e32 v23, v24, v23
	v_and_b32_e32 v24, 0x7f800000, v23
	s_delay_alu instid0(VALU_DEP_1) | instskip(SKIP_1) | instid1(SALU_CYCLE_1)
	v_cmp_ne_u32_e32 vcc_lo, 0x7f800000, v24
                                        ; implicit-def: $vgpr24
	s_and_saveexec_b32 s3, vcc_lo
	s_xor_b32 s3, exec_lo, s3
; %bb.554:
	v_bfe_u32 v24, v23, 16, 1
	s_delay_alu instid0(VALU_DEP_1)
	v_add3_u32 v24, v23, v24, 0x7fff
                                        ; implicit-def: $vgpr23
; %bb.555:
	s_and_not1_saveexec_b32 s3, s3
; %bb.556:
	v_and_b32_e32 v24, 0xffff, v23
	v_or_b32_e32 v25, 0x10000, v23
	s_delay_alu instid0(VALU_DEP_2) | instskip(NEXT) | instid1(VALU_DEP_2)
	v_cmp_eq_u32_e32 vcc_lo, 0, v24
	v_cndmask_b32_e32 v24, v25, v23, vcc_lo
; %bb.557:
	s_or_b32 exec_lo, exec_lo, s3
	s_delay_alu instid0(VALU_DEP_1)
	v_lshrrev_b32_e32 v24, 16, v24
	v_mov_b32_e32 v23, v1
.LBB52_558:
	s_or_b32 exec_lo, exec_lo, s2
	s_branch .LBB52_911
.LBB52_559:
	s_or_b32 exec_lo, exec_lo, s24
                                        ; implicit-def: $vgpr29
	s_and_saveexec_b32 s24, s2
	s_cbranch_execz .LBB52_49
.LBB52_560:
	global_load_u16 v29, v[21:22], off offset:128
	s_or_b32 exec_lo, exec_lo, s24
                                        ; implicit-def: $vgpr30
	s_and_saveexec_b32 s2, s3
	s_cbranch_execnz .LBB52_50
.LBB52_561:
	s_or_b32 exec_lo, exec_lo, s2
                                        ; implicit-def: $vgpr31
	s_and_saveexec_b32 s2, s4
	s_cbranch_execz .LBB52_51
.LBB52_562:
	global_load_u16 v31, v[21:22], off offset:384
	s_or_b32 exec_lo, exec_lo, s2
                                        ; implicit-def: $vgpr32
	s_and_saveexec_b32 s2, s5
	s_cbranch_execnz .LBB52_52
.LBB52_563:
	s_or_b32 exec_lo, exec_lo, s2
                                        ; implicit-def: $vgpr33
	s_and_saveexec_b32 s2, s6
	s_cbranch_execz .LBB52_53
.LBB52_564:
	global_load_u16 v33, v[21:22], off offset:640
	s_or_b32 exec_lo, exec_lo, s2
                                        ; implicit-def: $vgpr34
	s_and_saveexec_b32 s2, s7
	s_cbranch_execnz .LBB52_54
.LBB52_565:
	s_or_b32 exec_lo, exec_lo, s2
                                        ; implicit-def: $vgpr35
	s_and_saveexec_b32 s2, s8
	s_cbranch_execz .LBB52_55
.LBB52_566:
	global_load_u16 v35, v[21:22], off offset:896
	s_or_b32 exec_lo, exec_lo, s2
                                        ; implicit-def: $vgpr36
	s_and_saveexec_b32 s2, s9
	s_cbranch_execnz .LBB52_56
.LBB52_567:
	s_or_b32 exec_lo, exec_lo, s2
                                        ; implicit-def: $vgpr37
	s_and_saveexec_b32 s2, s10
	s_cbranch_execz .LBB52_57
.LBB52_568:
	global_load_u16 v37, v[21:22], off offset:1152
	s_or_b32 exec_lo, exec_lo, s2
                                        ; implicit-def: $vgpr38
	s_and_saveexec_b32 s2, s11
	s_cbranch_execnz .LBB52_58
.LBB52_569:
	s_or_b32 exec_lo, exec_lo, s2
                                        ; implicit-def: $vgpr39
	s_and_saveexec_b32 s2, s12
	s_cbranch_execz .LBB52_59
.LBB52_570:
	global_load_u16 v39, v[21:22], off offset:1408
	s_or_b32 exec_lo, exec_lo, s2
                                        ; implicit-def: $vgpr40
	s_and_saveexec_b32 s2, s13
	s_cbranch_execnz .LBB52_60
.LBB52_571:
	s_or_b32 exec_lo, exec_lo, s2
                                        ; implicit-def: $vgpr41
	s_and_saveexec_b32 s2, s14
	s_cbranch_execz .LBB52_61
.LBB52_572:
	global_load_u16 v41, v[21:22], off offset:1664
	s_or_b32 exec_lo, exec_lo, s2
                                        ; implicit-def: $vgpr42
	s_and_saveexec_b32 s2, s16
	s_cbranch_execnz .LBB52_62
.LBB52_573:
	s_or_b32 exec_lo, exec_lo, s2
                                        ; implicit-def: $vgpr43
	s_and_saveexec_b32 s2, s17
	s_cbranch_execz .LBB52_63
.LBB52_574:
	global_load_u16 v43, v[21:22], off offset:1920
	s_or_b32 exec_lo, exec_lo, s2
                                        ; implicit-def: $vgpr44
	s_and_saveexec_b32 s2, s18
	s_cbranch_execnz .LBB52_64
.LBB52_575:
	s_or_b32 exec_lo, exec_lo, s2
                                        ; implicit-def: $vgpr45
	s_and_saveexec_b32 s2, s19
	s_cbranch_execz .LBB52_65
.LBB52_576:
	global_load_u16 v45, v[21:22], off offset:2176
	s_or_b32 exec_lo, exec_lo, s2
                                        ; implicit-def: $vgpr46
	s_and_saveexec_b32 s2, s20
	s_cbranch_execnz .LBB52_66
.LBB52_577:
	s_or_b32 exec_lo, exec_lo, s2
                                        ; implicit-def: $vgpr47
	s_and_saveexec_b32 s2, s21
	s_cbranch_execz .LBB52_67
.LBB52_578:
	global_load_u16 v47, v[21:22], off offset:2432
	s_or_b32 exec_lo, exec_lo, s2
                                        ; implicit-def: $vgpr49
	s_and_saveexec_b32 s2, s22
	s_cbranch_execz .LBB52_69
	s_branch .LBB52_68
.LBB52_579:
                                        ; implicit-def: $vgpr23_vgpr24
                                        ; implicit-def: $vgpr21_vgpr22
                                        ; implicit-def: $vgpr19_vgpr20
                                        ; implicit-def: $vgpr17_vgpr18
                                        ; implicit-def: $vgpr15_vgpr16
                                        ; implicit-def: $vgpr13_vgpr14
                                        ; implicit-def: $vgpr11_vgpr12
                                        ; implicit-def: $vgpr9_vgpr10
                                        ; implicit-def: $vgpr7_vgpr8
                                        ; implicit-def: $vgpr5_vgpr6
                                        ; implicit-def: $vgpr3_vgpr4
	s_cbranch_execz .LBB52_911
; %bb.580:
	v_cmp_eq_u32_e32 vcc_lo, 0, v0
	s_cmp_lg_u64 s[30:31], 0
	v_cmp_ne_u32_e64 s2, 0, v0
	s_cselect_b32 s3, -1, 0
	s_delay_alu instid0(SALU_CYCLE_1) | instskip(NEXT) | instid1(SALU_CYCLE_1)
	s_and_b32 s3, vcc_lo, s3
	s_and_saveexec_b32 s4, s3
	s_cbranch_execz .LBB52_588
; %bb.581:
	v_dual_mov_b32 v4, 0 :: v_dual_mov_b32 v3, v47
	s_mov_b32 s5, exec_lo
	global_load_u8 v1, v4, s[30:31] offset:2
	v_cmpx_gt_u32_e32 0x10000, v47
	s_cbranch_execz .LBB52_587
; %bb.582:
	global_load_u16 v3, v4, s[30:31]
	v_lshlrev_b32_e32 v4, 16, v47
	s_waitcnt vmcnt(0)
	v_lshlrev_b32_e32 v3, 16, v3
	s_delay_alu instid0(VALU_DEP_1) | instskip(NEXT) | instid1(VALU_DEP_1)
	v_add_f32_e32 v3, v4, v3
	v_and_b32_e32 v4, 0x7f800000, v3
	s_delay_alu instid0(VALU_DEP_1) | instskip(NEXT) | instid1(VALU_DEP_1)
	v_cmp_ne_u32_e64 s3, 0x7f800000, v4
                                        ; implicit-def: $vgpr4
	s_and_saveexec_b32 s6, s3
	s_delay_alu instid0(SALU_CYCLE_1)
	s_xor_b32 s3, exec_lo, s6
; %bb.583:
	v_bfe_u32 v4, v3, 16, 1
	s_delay_alu instid0(VALU_DEP_1)
	v_add3_u32 v4, v3, v4, 0x7fff
                                        ; implicit-def: $vgpr3
; %bb.584:
	s_and_not1_saveexec_b32 s6, s3
; %bb.585:
	v_and_b32_e32 v4, 0xffff, v3
	v_or_b32_e32 v5, 0x10000, v3
	s_delay_alu instid0(VALU_DEP_2) | instskip(NEXT) | instid1(VALU_DEP_1)
	v_cmp_eq_u32_e64 s3, 0, v4
	v_cndmask_b32_e64 v4, v5, v3, s3
; %bb.586:
	s_or_b32 exec_lo, exec_lo, s6
	s_delay_alu instid0(VALU_DEP_1)
	v_lshrrev_b32_e32 v3, 16, v4
.LBB52_587:
	s_or_b32 exec_lo, exec_lo, s5
	s_waitcnt vmcnt(0)
	v_and_b32_e32 v1, 1, v1
	v_and_b32_e32 v4, 0x10000, v47
	s_delay_alu instid0(VALU_DEP_2) | instskip(NEXT) | instid1(VALU_DEP_2)
	v_lshlrev_b32_e32 v1, 16, v1
	v_cmp_eq_u32_e64 s3, 0, v4
	s_delay_alu instid0(VALU_DEP_1) | instskip(NEXT) | instid1(VALU_DEP_1)
	v_cndmask_b32_e64 v1, 0x10000, v1, s3
	v_and_or_b32 v47, 0xffff, v3, v1
.LBB52_588:
	s_or_b32 exec_lo, exec_lo, s4
	v_cmp_gt_u32_e64 s3, 0x10000, v46
	v_lshlrev_b32_e32 v1, 16, v46
	v_mov_b32_e32 v3, v46
	s_delay_alu instid0(VALU_DEP_3)
	s_and_saveexec_b32 s5, s3
	s_cbranch_execz .LBB52_594
; %bb.589:
	v_lshlrev_b32_e32 v3, 16, v47
	s_delay_alu instid0(VALU_DEP_1) | instskip(NEXT) | instid1(VALU_DEP_1)
	v_add_f32_e32 v3, v1, v3
	v_and_b32_e32 v4, 0x7f800000, v3
	s_delay_alu instid0(VALU_DEP_1) | instskip(NEXT) | instid1(VALU_DEP_1)
	v_cmp_ne_u32_e64 s4, 0x7f800000, v4
                                        ; implicit-def: $vgpr4
	s_and_saveexec_b32 s6, s4
	s_delay_alu instid0(SALU_CYCLE_1)
	s_xor_b32 s4, exec_lo, s6
; %bb.590:
	v_bfe_u32 v4, v3, 16, 1
	s_delay_alu instid0(VALU_DEP_1)
	v_add3_u32 v4, v3, v4, 0x7fff
                                        ; implicit-def: $vgpr3
; %bb.591:
	s_and_not1_saveexec_b32 s6, s4
; %bb.592:
	v_and_b32_e32 v4, 0xffff, v3
	v_or_b32_e32 v5, 0x10000, v3
	s_delay_alu instid0(VALU_DEP_2) | instskip(NEXT) | instid1(VALU_DEP_1)
	v_cmp_eq_u32_e64 s4, 0, v4
	v_cndmask_b32_e64 v4, v5, v3, s4
; %bb.593:
	s_or_b32 exec_lo, exec_lo, s6
	s_delay_alu instid0(VALU_DEP_1)
	v_lshrrev_b32_e32 v3, 16, v4
.LBB52_594:
	s_or_b32 exec_lo, exec_lo, s5
	v_cmp_gt_u32_e64 s4, 0x10000, v45
	v_dual_mov_b32 v4, v45 :: v_dual_lshlrev_b32 v5, 16, v45
	s_delay_alu instid0(VALU_DEP_2)
	s_and_saveexec_b32 s6, s4
	s_cbranch_execz .LBB52_600
; %bb.595:
	v_lshlrev_b32_e32 v3, 16, v3
	s_delay_alu instid0(VALU_DEP_1) | instskip(NEXT) | instid1(VALU_DEP_1)
	v_add_f32_e32 v3, v5, v3
	v_and_b32_e32 v4, 0x7f800000, v3
	s_delay_alu instid0(VALU_DEP_1) | instskip(NEXT) | instid1(VALU_DEP_1)
	v_cmp_ne_u32_e64 s5, 0x7f800000, v4
                                        ; implicit-def: $vgpr4
	s_and_saveexec_b32 s7, s5
	s_delay_alu instid0(SALU_CYCLE_1)
	s_xor_b32 s5, exec_lo, s7
; %bb.596:
	v_bfe_u32 v4, v3, 16, 1
	s_delay_alu instid0(VALU_DEP_1)
	v_add3_u32 v4, v3, v4, 0x7fff
                                        ; implicit-def: $vgpr3
; %bb.597:
	s_and_not1_saveexec_b32 s7, s5
; %bb.598:
	v_and_b32_e32 v4, 0xffff, v3
	v_or_b32_e32 v6, 0x10000, v3
	s_delay_alu instid0(VALU_DEP_2) | instskip(NEXT) | instid1(VALU_DEP_1)
	v_cmp_eq_u32_e64 s5, 0, v4
	v_cndmask_b32_e64 v4, v6, v3, s5
; %bb.599:
	s_or_b32 exec_lo, exec_lo, s7
	s_delay_alu instid0(VALU_DEP_1)
	v_lshrrev_b32_e32 v4, 16, v4
.LBB52_600:
	s_or_b32 exec_lo, exec_lo, s6
	v_cmp_gt_u32_e64 s5, 0x10000, v43
	v_dual_mov_b32 v3, v43 :: v_dual_lshlrev_b32 v6, 16, v43
	s_delay_alu instid0(VALU_DEP_2)
	;; [unrolled: 35-line block ×18, first 2 shown]
	s_and_saveexec_b32 s23, s21
	s_cbranch_execz .LBB52_702
; %bb.697:
	v_lshlrev_b32_e32 v3, 16, v4
	s_delay_alu instid0(VALU_DEP_1) | instskip(NEXT) | instid1(VALU_DEP_1)
	v_add_f32_e32 v3, v22, v3
	v_and_b32_e32 v4, 0x7f800000, v3
	s_delay_alu instid0(VALU_DEP_1) | instskip(NEXT) | instid1(VALU_DEP_1)
	v_cmp_ne_u32_e64 s22, 0x7f800000, v4
                                        ; implicit-def: $vgpr4
	s_and_saveexec_b32 s24, s22
	s_delay_alu instid0(SALU_CYCLE_1)
	s_xor_b32 s22, exec_lo, s24
; %bb.698:
	v_bfe_u32 v4, v3, 16, 1
	s_delay_alu instid0(VALU_DEP_1)
	v_add3_u32 v4, v3, v4, 0x7fff
                                        ; implicit-def: $vgpr3
; %bb.699:
	s_and_not1_saveexec_b32 s24, s22
; %bb.700:
	v_and_b32_e32 v4, 0xffff, v3
	v_or_b32_e32 v23, 0x10000, v3
	s_delay_alu instid0(VALU_DEP_2) | instskip(NEXT) | instid1(VALU_DEP_1)
	v_cmp_eq_u32_e64 s22, 0, v4
	v_cndmask_b32_e64 v4, v23, v3, s22
; %bb.701:
	s_or_b32 exec_lo, exec_lo, s24
	s_delay_alu instid0(VALU_DEP_1)
	v_lshrrev_b32_e32 v3, 16, v4
.LBB52_702:
	s_or_b32 exec_lo, exec_lo, s23
	v_cmp_gt_u32_e64 s22, 0x10000, v35
	v_lshlrev_b32_e32 v23, 16, v35
	v_mov_b32_e32 v25, v35
	s_delay_alu instid0(VALU_DEP_3)
	s_and_saveexec_b32 s24, s22
	s_cbranch_execz .LBB52_708
; %bb.703:
	v_lshlrev_b32_e32 v3, 16, v3
	s_delay_alu instid0(VALU_DEP_1) | instskip(NEXT) | instid1(VALU_DEP_1)
	v_add_f32_e32 v3, v23, v3
	v_and_b32_e32 v4, 0x7f800000, v3
	s_delay_alu instid0(VALU_DEP_1) | instskip(NEXT) | instid1(VALU_DEP_1)
	v_cmp_ne_u32_e64 s23, 0x7f800000, v4
                                        ; implicit-def: $vgpr4
	s_and_saveexec_b32 s25, s23
	s_delay_alu instid0(SALU_CYCLE_1)
	s_xor_b32 s23, exec_lo, s25
; %bb.704:
	v_bfe_u32 v4, v3, 16, 1
	s_delay_alu instid0(VALU_DEP_1)
	v_add3_u32 v4, v3, v4, 0x7fff
                                        ; implicit-def: $vgpr3
; %bb.705:
	s_and_not1_saveexec_b32 s25, s23
; %bb.706:
	v_and_b32_e32 v4, 0xffff, v3
	v_or_b32_e32 v24, 0x10000, v3
	s_delay_alu instid0(VALU_DEP_2) | instskip(NEXT) | instid1(VALU_DEP_1)
	v_cmp_eq_u32_e64 s23, 0, v4
	v_cndmask_b32_e64 v4, v24, v3, s23
; %bb.707:
	s_or_b32 exec_lo, exec_lo, s25
	s_delay_alu instid0(VALU_DEP_1)
	v_lshrrev_b32_e32 v25, 16, v4
.LBB52_708:
	s_or_b32 exec_lo, exec_lo, s24
	v_cmp_gt_u32_e64 s23, 0x10000, v2
	v_lshlrev_b32_e32 v24, 16, v2
	v_mov_b32_e32 v4, v2
	s_delay_alu instid0(VALU_DEP_3)
	s_and_saveexec_b32 s25, s23
	s_cbranch_execz .LBB52_714
; %bb.709:
	v_lshlrev_b32_e32 v3, 16, v25
	s_delay_alu instid0(VALU_DEP_1) | instskip(NEXT) | instid1(VALU_DEP_1)
	v_add_f32_e32 v3, v24, v3
	v_and_b32_e32 v4, 0x7f800000, v3
	s_delay_alu instid0(VALU_DEP_1) | instskip(NEXT) | instid1(VALU_DEP_1)
	v_cmp_ne_u32_e64 s24, 0x7f800000, v4
                                        ; implicit-def: $vgpr4
	s_and_saveexec_b32 s26, s24
	s_delay_alu instid0(SALU_CYCLE_1)
	s_xor_b32 s24, exec_lo, s26
; %bb.710:
	v_bfe_u32 v4, v3, 16, 1
	s_delay_alu instid0(VALU_DEP_1)
	v_add3_u32 v4, v3, v4, 0x7fff
                                        ; implicit-def: $vgpr3
; %bb.711:
	s_and_not1_saveexec_b32 s26, s24
; %bb.712:
	v_and_b32_e32 v4, 0xffff, v3
	v_or_b32_e32 v25, 0x10000, v3
	s_delay_alu instid0(VALU_DEP_2) | instskip(NEXT) | instid1(VALU_DEP_1)
	v_cmp_eq_u32_e64 s24, 0, v4
	v_cndmask_b32_e64 v4, v25, v3, s24
; %bb.713:
	s_or_b32 exec_lo, exec_lo, s26
	s_delay_alu instid0(VALU_DEP_1)
	v_lshrrev_b32_e32 v4, 16, v4
.LBB52_714:
	s_or_b32 exec_lo, exec_lo, s25
	v_or3_b32 v3, v2, v35, v29
	v_lshrrev_b32_e32 v25, 5, v0
	v_lshrrev_b32_e32 v26, 16, v47
	s_mov_b32 s25, exec_lo
	s_delay_alu instid0(VALU_DEP_3) | instskip(NEXT) | instid1(VALU_DEP_3)
	v_or3_b32 v3, v3, v33, v36
	v_add_lshl_u32 v48, v25, v0, 2
	s_delay_alu instid0(VALU_DEP_2) | instskip(NEXT) | instid1(VALU_DEP_1)
	v_or3_b32 v3, v3, v31, v27
	v_or3_b32 v3, v3, v32, v28
	s_delay_alu instid0(VALU_DEP_1) | instskip(NEXT) | instid1(VALU_DEP_1)
	v_or3_b32 v3, v3, v34, v30
	v_or3_b32 v3, v3, v37, v41
	s_delay_alu instid0(VALU_DEP_1) | instskip(NEXT) | instid1(VALU_DEP_1)
	v_or3_b32 v3, v3, v39, v38
	v_or3_b32 v3, v3, v42, v40
	s_delay_alu instid0(VALU_DEP_1) | instskip(NEXT) | instid1(VALU_DEP_1)
	v_or3_b32 v3, v3, v44, v43
	v_or3_b32 v3, v3, v45, v46
	s_delay_alu instid0(VALU_DEP_1) | instskip(NEXT) | instid1(VALU_DEP_1)
	v_and_b32_e32 v3, 0x10000, v3
	v_cmp_ne_u32_e64 s24, 0, v3
	s_delay_alu instid0(VALU_DEP_1)
	v_cndmask_b32_e64 v25, v26, 1, s24
	ds_store_b16 v48, v4
	ds_store_b8 v48, v25 offset:2
	s_waitcnt lgkmcnt(0)
	s_barrier
	buffer_gl0_inv
	v_cmpx_gt_u32_e32 32, v0
	s_xor_b32 s27, exec_lo, s25
	s_cbranch_execz .LBB52_772
; %bb.715:
	v_lshrrev_b32_e32 v3, 2, v0
	s_delay_alu instid0(VALU_DEP_1) | instskip(NEXT) | instid1(VALU_DEP_1)
	v_and_b32_e32 v3, 12, v3
	v_lshl_or_b32 v3, v0, 3, v3
	ds_load_u8 v49, v3 offset:6
	ds_load_u16 v26, v3 offset:4
	ds_load_b32 v48, v3
	s_waitcnt lgkmcnt(2)
	v_cmp_eq_u16_e64 s24, 0, v49
	s_waitcnt lgkmcnt(1)
	v_mov_b32_e32 v51, v26
	s_delay_alu instid0(VALU_DEP_2)
	s_and_saveexec_b32 s26, s24
	s_cbranch_execz .LBB52_721
; %bb.716:
	s_waitcnt lgkmcnt(0)
	v_lshlrev_b32_e32 v50, 16, v48
	v_lshlrev_b32_e32 v51, 16, v26
	s_delay_alu instid0(VALU_DEP_1) | instskip(NEXT) | instid1(VALU_DEP_1)
	v_add_f32_e32 v50, v50, v51
	v_and_b32_e32 v51, 0x7f800000, v50
	s_delay_alu instid0(VALU_DEP_1) | instskip(NEXT) | instid1(VALU_DEP_1)
	v_cmp_ne_u32_e64 s25, 0x7f800000, v51
                                        ; implicit-def: $vgpr51
	s_and_saveexec_b32 s30, s25
	s_delay_alu instid0(SALU_CYCLE_1)
	s_xor_b32 s25, exec_lo, s30
; %bb.717:
	v_bfe_u32 v51, v50, 16, 1
	s_delay_alu instid0(VALU_DEP_1)
	v_add3_u32 v51, v50, v51, 0x7fff
                                        ; implicit-def: $vgpr50
; %bb.718:
	s_and_not1_saveexec_b32 s30, s25
; %bb.719:
	v_and_b32_e32 v51, 0xffff, v50
	v_or_b32_e32 v52, 0x10000, v50
	s_delay_alu instid0(VALU_DEP_2) | instskip(NEXT) | instid1(VALU_DEP_1)
	v_cmp_eq_u32_e64 s25, 0, v51
	v_cndmask_b32_e64 v51, v52, v50, s25
; %bb.720:
	s_or_b32 exec_lo, exec_lo, s30
	s_delay_alu instid0(VALU_DEP_1)
	v_lshrrev_b32_e32 v51, 16, v51
.LBB52_721:
	s_or_b32 exec_lo, exec_lo, s26
	v_and_b32_e32 v52, 1, v49
	s_waitcnt lgkmcnt(0)
	s_delay_alu instid0(VALU_DEP_2) | instskip(SKIP_4) | instid1(VALU_DEP_1)
	v_dual_mov_b32 v58, v51 :: v_dual_and_b32 v49, 0x10000, v48
	v_and_b32_e32 v50, 0xff000000, v48
	v_and_b32_e32 v53, 0xffff, v51
	v_cmp_eq_u32_e64 s25, 1, v52
	s_mov_b32 s30, exec_lo
	v_cndmask_b32_e64 v52, v49, 0x10000, s25
	s_delay_alu instid0(VALU_DEP_1) | instskip(NEXT) | instid1(VALU_DEP_1)
	v_or_b32_e32 v55, v52, v50
	v_lshrrev_b32_e32 v52, 16, v55
	v_or_b32_e32 v54, v55, v53
	s_delay_alu instid0(VALU_DEP_2) | instskip(NEXT) | instid1(VALU_DEP_2)
	v_and_b32_e32 v56, 1, v52
	v_mov_b32_dpp v57, v54 row_shr:1 row_mask:0xf bank_mask:0xf
	s_delay_alu instid0(VALU_DEP_2)
	v_cmpx_eq_u16_e32 0, v56
	s_cbranch_execz .LBB52_727
; %bb.722:
	s_delay_alu instid0(VALU_DEP_2) | instskip(SKIP_1) | instid1(VALU_DEP_1)
	v_lshlrev_b32_e32 v56, 16, v57
	v_lshlrev_b32_e32 v53, 16, v53
	v_add_f32_e32 v53, v53, v56
	s_delay_alu instid0(VALU_DEP_1) | instskip(NEXT) | instid1(VALU_DEP_1)
	v_and_b32_e32 v56, 0x7f800000, v53
	v_cmp_ne_u32_e64 s26, 0x7f800000, v56
                                        ; implicit-def: $vgpr56
	s_delay_alu instid0(VALU_DEP_1) | instskip(NEXT) | instid1(SALU_CYCLE_1)
	s_and_saveexec_b32 s31, s26
	s_xor_b32 s26, exec_lo, s31
; %bb.723:
	v_bfe_u32 v56, v53, 16, 1
	s_delay_alu instid0(VALU_DEP_1)
	v_add3_u32 v56, v53, v56, 0x7fff
                                        ; implicit-def: $vgpr53
; %bb.724:
	s_and_not1_saveexec_b32 s31, s26
; %bb.725:
	v_and_b32_e32 v56, 0xffff, v53
	v_or_b32_e32 v58, 0x10000, v53
	s_delay_alu instid0(VALU_DEP_2) | instskip(NEXT) | instid1(VALU_DEP_1)
	v_cmp_eq_u32_e64 s26, 0, v56
	v_cndmask_b32_e64 v56, v58, v53, s26
; %bb.726:
	s_or_b32 exec_lo, exec_lo, s31
	s_delay_alu instid0(VALU_DEP_1)
	v_lshrrev_b32_e32 v58, 16, v56
.LBB52_727:
	s_or_b32 exec_lo, exec_lo, s30
	v_mbcnt_lo_u32_b32 v53, -1, 0
	s_mov_b32 s30, exec_lo
	s_delay_alu instid0(VALU_DEP_1) | instskip(NEXT) | instid1(VALU_DEP_1)
	v_and_b32_e32 v56, 15, v53
	v_cmpx_ne_u32_e32 0, v56
; %bb.728:
	v_lshrrev_b32_e32 v51, 16, v57
	v_and_b32_e32 v52, 0x10000, v55
	s_delay_alu instid0(VALU_DEP_2) | instskip(NEXT) | instid1(VALU_DEP_2)
	v_and_b32_e32 v51, 1, v51
	v_cmp_ne_u32_e64 s26, 0, v52
	s_delay_alu instid0(VALU_DEP_1) | instskip(SKIP_1) | instid1(VALU_DEP_2)
	v_cndmask_b32_e64 v52, v51, 1, s26
	v_and_b32_e32 v51, 0xffff, v58
	v_lshlrev_b32_e32 v54, 16, v52
	s_delay_alu instid0(VALU_DEP_1)
	v_or3_b32 v54, v54, v51, v50
	v_mov_b32_e32 v51, v58
; %bb.729:
	s_or_b32 exec_lo, exec_lo, s30
	s_delay_alu instid0(VALU_DEP_2) | instskip(SKIP_3) | instid1(VALU_DEP_3)
	v_lshrrev_b32_e32 v55, 16, v54
	v_mov_b32_dpp v58, v54 row_shr:2 row_mask:0xf bank_mask:0xf
	v_mov_b32_e32 v59, v54
	s_mov_b32 s30, exec_lo
	v_and_b32_e32 v57, 0xff, v55
	s_delay_alu instid0(VALU_DEP_1)
	v_cmpx_eq_u16_e32 0, v57
	s_cbranch_execz .LBB52_735
; %bb.730:
	v_lshlrev_b32_e32 v57, 16, v58
	v_lshlrev_b32_e32 v59, 16, v54
	s_delay_alu instid0(VALU_DEP_1) | instskip(NEXT) | instid1(VALU_DEP_1)
	v_add_f32_e32 v57, v59, v57
	v_and_b32_e32 v59, 0x7f800000, v57
	s_delay_alu instid0(VALU_DEP_1) | instskip(NEXT) | instid1(VALU_DEP_1)
	v_cmp_ne_u32_e64 s26, 0x7f800000, v59
                                        ; implicit-def: $vgpr59
	s_and_saveexec_b32 s31, s26
	s_delay_alu instid0(SALU_CYCLE_1)
	s_xor_b32 s26, exec_lo, s31
; %bb.731:
	v_bfe_u32 v59, v57, 16, 1
	s_delay_alu instid0(VALU_DEP_1)
	v_add3_u32 v59, v57, v59, 0x7fff
                                        ; implicit-def: $vgpr57
; %bb.732:
	s_and_not1_saveexec_b32 s31, s26
; %bb.733:
	v_and_b32_e32 v59, 0xffff, v57
	v_or_b32_e32 v60, 0x10000, v57
	s_delay_alu instid0(VALU_DEP_2) | instskip(NEXT) | instid1(VALU_DEP_1)
	v_cmp_eq_u32_e64 s26, 0, v59
	v_cndmask_b32_e64 v59, v60, v57, s26
; %bb.734:
	s_or_b32 exec_lo, exec_lo, s31
	s_delay_alu instid0(VALU_DEP_1)
	v_lshrrev_b32_e32 v59, 16, v59
.LBB52_735:
	s_or_b32 exec_lo, exec_lo, s30
	v_mov_b32_e32 v57, v54
	s_mov_b32 s30, exec_lo
	v_cmpx_lt_u32_e32 1, v56
; %bb.736:
	v_lshrrev_b32_e32 v51, 16, v58
	v_and_b32_e32 v52, 0x10000, v54
	s_delay_alu instid0(VALU_DEP_2) | instskip(NEXT) | instid1(VALU_DEP_2)
	v_and_b32_e32 v51, 1, v51
	v_cmp_ne_u32_e64 s26, 0, v52
	s_delay_alu instid0(VALU_DEP_1) | instskip(SKIP_1) | instid1(VALU_DEP_2)
	v_cndmask_b32_e64 v52, v51, 1, s26
	v_dual_mov_b32 v51, v59 :: v_dual_and_b32 v54, 0xffff, v59
	v_mov_b32_e32 v55, v52
	v_lshlrev_b32_e32 v57, 16, v52
	s_delay_alu instid0(VALU_DEP_1)
	v_or3_b32 v57, v57, v54, v50
	v_mov_b32_e32 v54, v59
; %bb.737:
	s_or_b32 exec_lo, exec_lo, s30
	v_and_b32_e32 v59, 0xff, v55
	s_delay_alu instid0(VALU_DEP_3) | instskip(NEXT) | instid1(VALU_DEP_2)
	v_mov_b32_dpp v58, v57 row_shr:4 row_mask:0xf bank_mask:0xf
	v_cmp_eq_u16_e64 s26, 0, v59
	v_mov_b32_e32 v59, v54
	s_delay_alu instid0(VALU_DEP_2)
	s_and_saveexec_b32 s30, s26
	s_cbranch_execz .LBB52_743
; %bb.738:
	v_lshlrev_b32_e32 v59, 16, v58
	v_lshlrev_b32_e32 v60, 16, v54
	s_delay_alu instid0(VALU_DEP_1) | instskip(NEXT) | instid1(VALU_DEP_1)
	v_add_f32_e32 v59, v60, v59
	v_and_b32_e32 v60, 0x7f800000, v59
	s_delay_alu instid0(VALU_DEP_1) | instskip(NEXT) | instid1(VALU_DEP_1)
	v_cmp_ne_u32_e64 s26, 0x7f800000, v60
                                        ; implicit-def: $vgpr60
	s_and_saveexec_b32 s31, s26
	s_delay_alu instid0(SALU_CYCLE_1)
	s_xor_b32 s26, exec_lo, s31
; %bb.739:
	v_bfe_u32 v60, v59, 16, 1
	s_delay_alu instid0(VALU_DEP_1)
	v_add3_u32 v60, v59, v60, 0x7fff
                                        ; implicit-def: $vgpr59
; %bb.740:
	s_and_not1_saveexec_b32 s31, s26
; %bb.741:
	v_and_b32_e32 v60, 0xffff, v59
	v_or_b32_e32 v61, 0x10000, v59
	s_delay_alu instid0(VALU_DEP_2) | instskip(NEXT) | instid1(VALU_DEP_1)
	v_cmp_eq_u32_e64 s26, 0, v60
	v_cndmask_b32_e64 v60, v61, v59, s26
; %bb.742:
	s_or_b32 exec_lo, exec_lo, s31
	s_delay_alu instid0(VALU_DEP_1)
	v_lshrrev_b32_e32 v59, 16, v60
.LBB52_743:
	s_or_b32 exec_lo, exec_lo, s30
	s_delay_alu instid0(SALU_CYCLE_1)
	s_mov_b32 s30, exec_lo
	v_cmpx_lt_u32_e32 3, v56
; %bb.744:
	v_lshrrev_b32_e32 v51, 16, v58
	v_and_b32_e32 v52, 1, v55
	s_delay_alu instid0(VALU_DEP_2) | instskip(NEXT) | instid1(VALU_DEP_2)
	v_and_b32_e32 v51, 1, v51
	v_cmp_eq_u32_e64 s26, 1, v52
	s_delay_alu instid0(VALU_DEP_1) | instskip(SKIP_1) | instid1(VALU_DEP_2)
	v_cndmask_b32_e64 v52, v51, 1, s26
	v_dual_mov_b32 v51, v59 :: v_dual_and_b32 v54, 0xffff, v59
	v_mov_b32_e32 v55, v52
	v_lshlrev_b32_e32 v57, 16, v52
	s_delay_alu instid0(VALU_DEP_1)
	v_or3_b32 v57, v57, v54, v50
	v_mov_b32_e32 v54, v59
; %bb.745:
	s_or_b32 exec_lo, exec_lo, s30
	v_and_b32_e32 v59, 0xff, v55
	s_delay_alu instid0(VALU_DEP_3) | instskip(NEXT) | instid1(VALU_DEP_2)
	v_mov_b32_dpp v58, v57 row_shr:8 row_mask:0xf bank_mask:0xf
	v_cmp_eq_u16_e64 s26, 0, v59
	v_mov_b32_e32 v59, v54
	s_delay_alu instid0(VALU_DEP_2)
	s_and_saveexec_b32 s30, s26
	s_cbranch_execz .LBB52_751
; %bb.746:
	v_lshlrev_b32_e32 v59, 16, v58
	v_lshlrev_b32_e32 v60, 16, v54
	s_delay_alu instid0(VALU_DEP_1) | instskip(NEXT) | instid1(VALU_DEP_1)
	v_add_f32_e32 v59, v60, v59
	v_and_b32_e32 v60, 0x7f800000, v59
	s_delay_alu instid0(VALU_DEP_1) | instskip(NEXT) | instid1(VALU_DEP_1)
	v_cmp_ne_u32_e64 s26, 0x7f800000, v60
                                        ; implicit-def: $vgpr60
	s_and_saveexec_b32 s31, s26
	s_delay_alu instid0(SALU_CYCLE_1)
	s_xor_b32 s26, exec_lo, s31
; %bb.747:
	v_bfe_u32 v60, v59, 16, 1
	s_delay_alu instid0(VALU_DEP_1)
	v_add3_u32 v60, v59, v60, 0x7fff
                                        ; implicit-def: $vgpr59
; %bb.748:
	s_and_not1_saveexec_b32 s31, s26
; %bb.749:
	v_and_b32_e32 v60, 0xffff, v59
	v_or_b32_e32 v61, 0x10000, v59
	s_delay_alu instid0(VALU_DEP_2) | instskip(NEXT) | instid1(VALU_DEP_1)
	v_cmp_eq_u32_e64 s26, 0, v60
	v_cndmask_b32_e64 v60, v61, v59, s26
; %bb.750:
	s_or_b32 exec_lo, exec_lo, s31
	s_delay_alu instid0(VALU_DEP_1)
	v_lshrrev_b32_e32 v59, 16, v60
.LBB52_751:
	s_or_b32 exec_lo, exec_lo, s30
	s_delay_alu instid0(SALU_CYCLE_1)
	s_mov_b32 s30, exec_lo
	v_cmpx_lt_u32_e32 7, v56
; %bb.752:
	v_lshrrev_b32_e32 v51, 16, v58
	v_and_b32_e32 v52, 1, v55
	s_delay_alu instid0(VALU_DEP_2) | instskip(NEXT) | instid1(VALU_DEP_2)
	v_and_b32_e32 v51, 1, v51
	v_cmp_eq_u32_e64 s26, 1, v52
	s_delay_alu instid0(VALU_DEP_1) | instskip(SKIP_1) | instid1(VALU_DEP_2)
	v_cndmask_b32_e64 v52, v51, 1, s26
	v_dual_mov_b32 v51, v59 :: v_dual_and_b32 v54, 0xffff, v59
	v_dual_mov_b32 v55, v52 :: v_dual_lshlrev_b32 v56, 16, v52
	s_delay_alu instid0(VALU_DEP_1)
	v_or3_b32 v57, v56, v54, v50
	v_mov_b32_e32 v54, v59
; %bb.753:
	s_or_b32 exec_lo, exec_lo, s30
	ds_swizzle_b32 v56, v57 offset:swizzle(BROADCAST,32,15)
	v_and_b32_e32 v57, 0xff, v55
	s_mov_b32 s30, exec_lo
	s_delay_alu instid0(VALU_DEP_1)
	v_cmpx_eq_u16_e32 0, v57
	s_cbranch_execz .LBB52_759
; %bb.754:
	s_waitcnt lgkmcnt(0)
	v_lshlrev_b32_e32 v57, 16, v56
	v_lshlrev_b32_e32 v54, 16, v54
	s_delay_alu instid0(VALU_DEP_1) | instskip(NEXT) | instid1(VALU_DEP_1)
	v_add_f32_e32 v54, v54, v57
	v_and_b32_e32 v57, 0x7f800000, v54
	s_delay_alu instid0(VALU_DEP_1) | instskip(NEXT) | instid1(VALU_DEP_1)
	v_cmp_ne_u32_e64 s26, 0x7f800000, v57
                                        ; implicit-def: $vgpr57
	s_and_saveexec_b32 s31, s26
	s_delay_alu instid0(SALU_CYCLE_1)
	s_xor_b32 s26, exec_lo, s31
; %bb.755:
	v_bfe_u32 v57, v54, 16, 1
	s_delay_alu instid0(VALU_DEP_1)
	v_add3_u32 v57, v54, v57, 0x7fff
                                        ; implicit-def: $vgpr54
; %bb.756:
	s_and_not1_saveexec_b32 s31, s26
; %bb.757:
	v_and_b32_e32 v57, 0xffff, v54
	v_or_b32_e32 v58, 0x10000, v54
	s_delay_alu instid0(VALU_DEP_2) | instskip(NEXT) | instid1(VALU_DEP_1)
	v_cmp_eq_u32_e64 s26, 0, v57
	v_cndmask_b32_e64 v57, v58, v54, s26
; %bb.758:
	s_or_b32 exec_lo, exec_lo, s31
	s_delay_alu instid0(VALU_DEP_1)
	v_lshrrev_b32_e32 v54, 16, v57
.LBB52_759:
	s_or_b32 exec_lo, exec_lo, s30
	s_waitcnt lgkmcnt(0)
	v_lshrrev_b32_e32 v56, 16, v56
	v_and_b32_e32 v55, 1, v55
	v_and_b32_e32 v57, 16, v53
	s_mov_b32 s30, exec_lo
	s_delay_alu instid0(VALU_DEP_3) | instskip(NEXT) | instid1(VALU_DEP_3)
	v_and_b32_e32 v56, 1, v56
	v_cmp_eq_u32_e64 s26, 1, v55
	s_delay_alu instid0(VALU_DEP_1) | instskip(SKIP_1) | instid1(VALU_DEP_1)
	v_cndmask_b32_e64 v55, v56, 1, s26
	v_cmp_eq_u32_e64 s26, 0, v57
	v_cndmask_b32_e64 v51, v54, v51, s26
	s_delay_alu instid0(VALU_DEP_3) | instskip(SKIP_1) | instid1(VALU_DEP_3)
	v_cndmask_b32_e64 v52, v55, v52, s26
	v_add_nc_u32_e32 v54, -1, v53
	v_and_b32_e32 v51, 0xffff, v51
	s_delay_alu instid0(VALU_DEP_3) | instskip(NEXT) | instid1(VALU_DEP_3)
	v_and_b32_e32 v52, 0xff, v52
	v_cmp_gt_i32_e64 s26, 0, v54
	s_delay_alu instid0(VALU_DEP_2) | instskip(NEXT) | instid1(VALU_DEP_2)
	v_lshlrev_b32_e32 v52, 16, v52
	v_cndmask_b32_e64 v53, v54, v53, s26
	s_delay_alu instid0(VALU_DEP_2) | instskip(NEXT) | instid1(VALU_DEP_2)
	v_or3_b32 v50, v52, v51, v50
	v_lshlrev_b32_e32 v51, 2, v53
	ds_bpermute_b32 v50, v51, v50
	v_and_b32_e32 v51, 0xff0000, v48
	s_delay_alu instid0(VALU_DEP_1)
	v_cmpx_eq_u32_e32 0, v51
	s_cbranch_execz .LBB52_765
; %bb.760:
	s_waitcnt lgkmcnt(0)
	v_lshlrev_b32_e32 v51, 16, v50
	v_lshlrev_b32_e32 v48, 16, v48
	s_delay_alu instid0(VALU_DEP_1) | instskip(NEXT) | instid1(VALU_DEP_1)
	v_add_f32_e32 v48, v48, v51
	v_and_b32_e32 v51, 0x7f800000, v48
	s_delay_alu instid0(VALU_DEP_1) | instskip(NEXT) | instid1(VALU_DEP_1)
	v_cmp_ne_u32_e64 s26, 0x7f800000, v51
                                        ; implicit-def: $vgpr51
	s_and_saveexec_b32 s31, s26
	s_delay_alu instid0(SALU_CYCLE_1)
	s_xor_b32 s26, exec_lo, s31
; %bb.761:
	v_bfe_u32 v51, v48, 16, 1
	s_delay_alu instid0(VALU_DEP_1)
	v_add3_u32 v51, v48, v51, 0x7fff
                                        ; implicit-def: $vgpr48
; %bb.762:
	s_and_not1_saveexec_b32 s31, s26
; %bb.763:
	v_and_b32_e32 v51, 0xffff, v48
	v_or_b32_e32 v52, 0x10000, v48
	s_delay_alu instid0(VALU_DEP_2) | instskip(NEXT) | instid1(VALU_DEP_1)
	v_cmp_eq_u32_e64 s26, 0, v51
	v_cndmask_b32_e64 v51, v52, v48, s26
; %bb.764:
	s_or_b32 exec_lo, exec_lo, s31
	s_delay_alu instid0(VALU_DEP_1)
	v_lshrrev_b32_e32 v48, 16, v51
.LBB52_765:
	s_or_b32 exec_lo, exec_lo, s30
	s_waitcnt lgkmcnt(0)
	v_lshrrev_b32_e32 v50, 16, v50
	v_cmp_eq_u32_e64 s26, 0, v49
	v_cndmask_b32_e32 v48, v48, v4, vcc_lo
	s_delay_alu instid0(VALU_DEP_3) | instskip(NEXT) | instid1(VALU_DEP_1)
	v_and_b32_e32 v50, 1, v50
	v_cndmask_b32_e64 v49, 1, v50, s26
	s_delay_alu instid0(VALU_DEP_1)
	v_cndmask_b32_e32 v25, v49, v25, vcc_lo
	ds_store_b16 v3, v48
	ds_store_b8 v3, v25 offset:2
	s_and_saveexec_b32 s26, s24
	s_cbranch_execz .LBB52_771
; %bb.766:
	v_lshlrev_b32_e32 v48, 16, v48
	v_lshlrev_b32_e32 v26, 16, v26
	s_delay_alu instid0(VALU_DEP_1) | instskip(NEXT) | instid1(VALU_DEP_1)
	v_add_f32_e32 v26, v26, v48
	v_and_b32_e32 v48, 0x7f800000, v26
	s_delay_alu instid0(VALU_DEP_1) | instskip(NEXT) | instid1(VALU_DEP_1)
	v_cmp_ne_u32_e64 s24, 0x7f800000, v48
                                        ; implicit-def: $vgpr48
	s_and_saveexec_b32 s30, s24
	s_delay_alu instid0(SALU_CYCLE_1)
	s_xor_b32 s24, exec_lo, s30
; %bb.767:
	v_bfe_u32 v48, v26, 16, 1
	s_delay_alu instid0(VALU_DEP_1)
	v_add3_u32 v48, v26, v48, 0x7fff
                                        ; implicit-def: $vgpr26
; %bb.768:
	s_and_not1_saveexec_b32 s30, s24
; %bb.769:
	v_and_b32_e32 v48, 0xffff, v26
	v_or_b32_e32 v49, 0x10000, v26
	s_delay_alu instid0(VALU_DEP_2) | instskip(NEXT) | instid1(VALU_DEP_1)
	v_cmp_eq_u32_e64 s24, 0, v48
	v_cndmask_b32_e64 v48, v49, v26, s24
; %bb.770:
	s_or_b32 exec_lo, exec_lo, s30
	s_delay_alu instid0(VALU_DEP_1)
	v_lshrrev_b32_e32 v26, 16, v48
.LBB52_771:
	s_or_b32 exec_lo, exec_lo, s26
	v_cndmask_b32_e64 v25, v25, 1, s25
	ds_store_b16 v3, v26 offset:4
	ds_store_b8 v3, v25 offset:6
.LBB52_772:
	s_or_b32 exec_lo, exec_lo, s27
	s_waitcnt lgkmcnt(0)
	s_barrier
	buffer_gl0_inv
	s_and_saveexec_b32 s24, s2
	s_cbranch_execz .LBB52_840
; %bb.773:
	v_add_nc_u32_e32 v3, -1, v0
	s_delay_alu instid0(VALU_DEP_1) | instskip(NEXT) | instid1(VALU_DEP_1)
	v_lshrrev_b32_e32 v4, 5, v3
	v_add_lshl_u32 v3, v4, v3, 2
	ds_load_u16 v4, v3
	s_or_b32 exec_lo, exec_lo, s24
	v_mov_b32_e32 v3, v47
	s_and_saveexec_b32 s24, s2
	s_cbranch_execnz .LBB52_841
.LBB52_774:
	s_or_b32 exec_lo, exec_lo, s24
	s_and_saveexec_b32 s24, s3
	s_cbranch_execz .LBB52_848
.LBB52_775:
	s_waitcnt lgkmcnt(0)
	v_lshlrev_b32_e32 v4, 16, v47
	s_delay_alu instid0(VALU_DEP_1) | instskip(NEXT) | instid1(VALU_DEP_1)
	v_add_f32_e32 v1, v1, v4
	v_and_b32_e32 v4, 0x7f800000, v1
	s_delay_alu instid0(VALU_DEP_1) | instskip(NEXT) | instid1(VALU_DEP_1)
	v_cmp_ne_u32_e64 s2, 0x7f800000, v4
                                        ; implicit-def: $vgpr4
	s_and_saveexec_b32 s3, s2
	s_delay_alu instid0(SALU_CYCLE_1)
	s_xor_b32 s2, exec_lo, s3
; %bb.776:
	v_bfe_u32 v4, v1, 16, 1
	s_delay_alu instid0(VALU_DEP_1)
	v_add3_u32 v4, v1, v4, 0x7fff
                                        ; implicit-def: $vgpr1
; %bb.777:
	s_and_not1_saveexec_b32 s3, s2
; %bb.778:
	v_and_b32_e32 v4, 0xffff, v1
	v_or_b32_e32 v25, 0x10000, v1
	s_delay_alu instid0(VALU_DEP_2) | instskip(NEXT) | instid1(VALU_DEP_1)
	v_cmp_eq_u32_e64 s2, 0, v4
	v_cndmask_b32_e64 v4, v25, v1, s2
; %bb.779:
	s_or_b32 exec_lo, exec_lo, s3
	s_delay_alu instid0(VALU_DEP_1) | instskip(SKIP_1) | instid1(VALU_DEP_1)
	v_lshrrev_b32_e32 v46, 16, v4
	s_or_b32 exec_lo, exec_lo, s24
	v_and_b32_e32 v4, 0xffff, v46
	s_and_saveexec_b32 s3, s4
	s_cbranch_execnz .LBB52_849
.LBB52_780:
	s_or_b32 exec_lo, exec_lo, s3
	v_and_b32_e32 v5, 0xffff, v45
	s_and_saveexec_b32 s3, s5
	s_cbranch_execz .LBB52_854
.LBB52_781:
	s_delay_alu instid0(VALU_DEP_1) | instskip(NEXT) | instid1(VALU_DEP_1)
	v_lshlrev_b32_e32 v1, 16, v5
	v_add_f32_e32 v1, v6, v1
	s_delay_alu instid0(VALU_DEP_1) | instskip(NEXT) | instid1(VALU_DEP_1)
	v_and_b32_e32 v6, 0x7f800000, v1
	v_cmp_ne_u32_e64 s2, 0x7f800000, v6
                                        ; implicit-def: $vgpr6
	s_delay_alu instid0(VALU_DEP_1) | instskip(NEXT) | instid1(SALU_CYCLE_1)
	s_and_saveexec_b32 s4, s2
	s_xor_b32 s2, exec_lo, s4
; %bb.782:
	v_bfe_u32 v6, v1, 16, 1
	s_delay_alu instid0(VALU_DEP_1)
	v_add3_u32 v6, v1, v6, 0x7fff
                                        ; implicit-def: $vgpr1
; %bb.783:
	s_and_not1_saveexec_b32 s4, s2
; %bb.784:
	v_and_b32_e32 v6, 0xffff, v1
	v_or_b32_e32 v25, 0x10000, v1
	s_delay_alu instid0(VALU_DEP_2) | instskip(NEXT) | instid1(VALU_DEP_1)
	v_cmp_eq_u32_e64 s2, 0, v6
	v_cndmask_b32_e64 v6, v25, v1, s2
; %bb.785:
	s_or_b32 exec_lo, exec_lo, s4
	s_delay_alu instid0(VALU_DEP_1) | instskip(SKIP_1) | instid1(VALU_DEP_1)
	v_lshrrev_b32_e32 v43, 16, v6
	s_or_b32 exec_lo, exec_lo, s3
	v_and_b32_e32 v6, 0xffff, v43
	s_and_saveexec_b32 s3, s6
	s_cbranch_execnz .LBB52_855
.LBB52_786:
	s_or_b32 exec_lo, exec_lo, s3
	v_and_b32_e32 v7, 0xffff, v44
	s_and_saveexec_b32 s3, s7
	s_cbranch_execz .LBB52_860
.LBB52_787:
	s_delay_alu instid0(VALU_DEP_1) | instskip(NEXT) | instid1(VALU_DEP_1)
	v_lshlrev_b32_e32 v1, 16, v7
	v_add_f32_e32 v1, v8, v1
	s_delay_alu instid0(VALU_DEP_1) | instskip(NEXT) | instid1(VALU_DEP_1)
	v_and_b32_e32 v8, 0x7f800000, v1
	v_cmp_ne_u32_e64 s2, 0x7f800000, v8
                                        ; implicit-def: $vgpr8
	s_delay_alu instid0(VALU_DEP_1) | instskip(NEXT) | instid1(SALU_CYCLE_1)
	s_and_saveexec_b32 s4, s2
	s_xor_b32 s2, exec_lo, s4
; %bb.788:
	v_bfe_u32 v8, v1, 16, 1
	s_delay_alu instid0(VALU_DEP_1)
	v_add3_u32 v8, v1, v8, 0x7fff
                                        ; implicit-def: $vgpr1
; %bb.789:
	s_and_not1_saveexec_b32 s4, s2
; %bb.790:
	v_and_b32_e32 v8, 0xffff, v1
	v_or_b32_e32 v25, 0x10000, v1
	s_delay_alu instid0(VALU_DEP_2) | instskip(NEXT) | instid1(VALU_DEP_1)
	v_cmp_eq_u32_e64 s2, 0, v8
	v_cndmask_b32_e64 v8, v25, v1, s2
; %bb.791:
	s_or_b32 exec_lo, exec_lo, s4
	s_delay_alu instid0(VALU_DEP_1) | instskip(SKIP_1) | instid1(VALU_DEP_1)
	v_lshrrev_b32_e32 v40, 16, v8
	s_or_b32 exec_lo, exec_lo, s3
	v_and_b32_e32 v8, 0xffff, v40
	s_and_saveexec_b32 s3, s8
	s_cbranch_execnz .LBB52_861
.LBB52_792:
	s_or_b32 exec_lo, exec_lo, s3
	v_and_b32_e32 v9, 0xffff, v42
	s_and_saveexec_b32 s3, s9
	s_cbranch_execz .LBB52_866
.LBB52_793:
	s_delay_alu instid0(VALU_DEP_1) | instskip(NEXT) | instid1(VALU_DEP_1)
	v_lshlrev_b32_e32 v1, 16, v9
	v_add_f32_e32 v1, v10, v1
	s_delay_alu instid0(VALU_DEP_1) | instskip(NEXT) | instid1(VALU_DEP_1)
	v_and_b32_e32 v10, 0x7f800000, v1
	v_cmp_ne_u32_e64 s2, 0x7f800000, v10
                                        ; implicit-def: $vgpr10
	s_delay_alu instid0(VALU_DEP_1) | instskip(NEXT) | instid1(SALU_CYCLE_1)
	s_and_saveexec_b32 s4, s2
	s_xor_b32 s2, exec_lo, s4
; %bb.794:
	v_bfe_u32 v10, v1, 16, 1
	s_delay_alu instid0(VALU_DEP_1)
	v_add3_u32 v10, v1, v10, 0x7fff
                                        ; implicit-def: $vgpr1
; %bb.795:
	s_and_not1_saveexec_b32 s4, s2
; %bb.796:
	v_and_b32_e32 v10, 0xffff, v1
	v_or_b32_e32 v25, 0x10000, v1
	s_delay_alu instid0(VALU_DEP_2) | instskip(NEXT) | instid1(VALU_DEP_1)
	v_cmp_eq_u32_e64 s2, 0, v10
	v_cndmask_b32_e64 v10, v25, v1, s2
; %bb.797:
	s_or_b32 exec_lo, exec_lo, s4
	s_delay_alu instid0(VALU_DEP_1) | instskip(SKIP_1) | instid1(VALU_DEP_1)
	v_lshrrev_b32_e32 v38, 16, v10
	s_or_b32 exec_lo, exec_lo, s3
	v_and_b32_e32 v10, 0xffff, v38
	s_and_saveexec_b32 s3, s10
	s_cbranch_execnz .LBB52_867
.LBB52_798:
	s_or_b32 exec_lo, exec_lo, s3
	v_and_b32_e32 v11, 0xffff, v39
	s_and_saveexec_b32 s3, s11
	s_cbranch_execz .LBB52_872
.LBB52_799:
	s_delay_alu instid0(VALU_DEP_1) | instskip(NEXT) | instid1(VALU_DEP_1)
	v_lshlrev_b32_e32 v1, 16, v11
	v_add_f32_e32 v1, v12, v1
	s_delay_alu instid0(VALU_DEP_1) | instskip(NEXT) | instid1(VALU_DEP_1)
	v_and_b32_e32 v12, 0x7f800000, v1
	v_cmp_ne_u32_e64 s2, 0x7f800000, v12
                                        ; implicit-def: $vgpr12
	s_delay_alu instid0(VALU_DEP_1) | instskip(NEXT) | instid1(SALU_CYCLE_1)
	s_and_saveexec_b32 s4, s2
	s_xor_b32 s2, exec_lo, s4
; %bb.800:
	v_bfe_u32 v12, v1, 16, 1
	s_delay_alu instid0(VALU_DEP_1)
	v_add3_u32 v12, v1, v12, 0x7fff
                                        ; implicit-def: $vgpr1
; %bb.801:
	s_and_not1_saveexec_b32 s4, s2
; %bb.802:
	v_and_b32_e32 v12, 0xffff, v1
	v_or_b32_e32 v25, 0x10000, v1
	s_delay_alu instid0(VALU_DEP_2) | instskip(NEXT) | instid1(VALU_DEP_1)
	v_cmp_eq_u32_e64 s2, 0, v12
	v_cndmask_b32_e64 v12, v25, v1, s2
; %bb.803:
	s_or_b32 exec_lo, exec_lo, s4
	s_delay_alu instid0(VALU_DEP_1) | instskip(SKIP_1) | instid1(VALU_DEP_1)
	v_lshrrev_b32_e32 v41, 16, v12
	s_or_b32 exec_lo, exec_lo, s3
	v_and_b32_e32 v12, 0xffff, v41
	s_and_saveexec_b32 s3, s12
	s_cbranch_execnz .LBB52_873
.LBB52_804:
	s_or_b32 exec_lo, exec_lo, s3
	v_and_b32_e32 v13, 0xffff, v37
	s_and_saveexec_b32 s3, s13
	s_cbranch_execz .LBB52_878
.LBB52_805:
	s_delay_alu instid0(VALU_DEP_1) | instskip(NEXT) | instid1(VALU_DEP_1)
	v_lshlrev_b32_e32 v1, 16, v13
	v_add_f32_e32 v1, v14, v1
	s_delay_alu instid0(VALU_DEP_1) | instskip(NEXT) | instid1(VALU_DEP_1)
	v_and_b32_e32 v14, 0x7f800000, v1
	v_cmp_ne_u32_e64 s2, 0x7f800000, v14
                                        ; implicit-def: $vgpr14
	s_delay_alu instid0(VALU_DEP_1) | instskip(NEXT) | instid1(SALU_CYCLE_1)
	s_and_saveexec_b32 s4, s2
	s_xor_b32 s2, exec_lo, s4
; %bb.806:
	v_bfe_u32 v14, v1, 16, 1
	s_delay_alu instid0(VALU_DEP_1)
	v_add3_u32 v14, v1, v14, 0x7fff
                                        ; implicit-def: $vgpr1
; %bb.807:
	s_and_not1_saveexec_b32 s4, s2
; %bb.808:
	v_and_b32_e32 v14, 0xffff, v1
	v_or_b32_e32 v25, 0x10000, v1
	s_delay_alu instid0(VALU_DEP_2) | instskip(NEXT) | instid1(VALU_DEP_1)
	v_cmp_eq_u32_e64 s2, 0, v14
	v_cndmask_b32_e64 v14, v25, v1, s2
; %bb.809:
	s_or_b32 exec_lo, exec_lo, s4
	s_delay_alu instid0(VALU_DEP_1) | instskip(SKIP_1) | instid1(VALU_DEP_1)
	v_lshrrev_b32_e32 v30, 16, v14
	s_or_b32 exec_lo, exec_lo, s3
	v_and_b32_e32 v14, 0xffff, v30
	s_and_saveexec_b32 s3, s14
	s_cbranch_execnz .LBB52_879
.LBB52_810:
	s_or_b32 exec_lo, exec_lo, s3
	v_and_b32_e32 v15, 0xffff, v34
	s_and_saveexec_b32 s3, s15
	s_cbranch_execz .LBB52_884
.LBB52_811:
	s_delay_alu instid0(VALU_DEP_1) | instskip(NEXT) | instid1(VALU_DEP_1)
	v_lshlrev_b32_e32 v1, 16, v15
	v_add_f32_e32 v1, v16, v1
	s_delay_alu instid0(VALU_DEP_1) | instskip(NEXT) | instid1(VALU_DEP_1)
	v_and_b32_e32 v16, 0x7f800000, v1
	v_cmp_ne_u32_e64 s2, 0x7f800000, v16
                                        ; implicit-def: $vgpr16
	s_delay_alu instid0(VALU_DEP_1) | instskip(NEXT) | instid1(SALU_CYCLE_1)
	s_and_saveexec_b32 s4, s2
	s_xor_b32 s2, exec_lo, s4
; %bb.812:
	v_bfe_u32 v16, v1, 16, 1
	s_delay_alu instid0(VALU_DEP_1)
	v_add3_u32 v16, v1, v16, 0x7fff
                                        ; implicit-def: $vgpr1
; %bb.813:
	s_and_not1_saveexec_b32 s4, s2
; %bb.814:
	v_and_b32_e32 v16, 0xffff, v1
	v_or_b32_e32 v25, 0x10000, v1
	s_delay_alu instid0(VALU_DEP_2) | instskip(NEXT) | instid1(VALU_DEP_1)
	v_cmp_eq_u32_e64 s2, 0, v16
	v_cndmask_b32_e64 v16, v25, v1, s2
; %bb.815:
	s_or_b32 exec_lo, exec_lo, s4
	s_delay_alu instid0(VALU_DEP_1) | instskip(SKIP_1) | instid1(VALU_DEP_1)
	v_lshrrev_b32_e32 v28, 16, v16
	s_or_b32 exec_lo, exec_lo, s3
	v_and_b32_e32 v16, 0xffff, v28
	s_and_saveexec_b32 s3, s16
	s_cbranch_execnz .LBB52_885
.LBB52_816:
	s_or_b32 exec_lo, exec_lo, s3
	v_and_b32_e32 v17, 0xffff, v32
	s_and_saveexec_b32 s3, s17
	s_cbranch_execz .LBB52_890
.LBB52_817:
	s_delay_alu instid0(VALU_DEP_1) | instskip(NEXT) | instid1(VALU_DEP_1)
	v_lshlrev_b32_e32 v1, 16, v17
	v_add_f32_e32 v1, v18, v1
	s_delay_alu instid0(VALU_DEP_1) | instskip(NEXT) | instid1(VALU_DEP_1)
	v_and_b32_e32 v18, 0x7f800000, v1
	v_cmp_ne_u32_e64 s2, 0x7f800000, v18
                                        ; implicit-def: $vgpr18
	s_delay_alu instid0(VALU_DEP_1) | instskip(NEXT) | instid1(SALU_CYCLE_1)
	s_and_saveexec_b32 s4, s2
	s_xor_b32 s2, exec_lo, s4
; %bb.818:
	v_bfe_u32 v18, v1, 16, 1
	s_delay_alu instid0(VALU_DEP_1)
	v_add3_u32 v18, v1, v18, 0x7fff
                                        ; implicit-def: $vgpr1
; %bb.819:
	s_and_not1_saveexec_b32 s4, s2
; %bb.820:
	v_and_b32_e32 v18, 0xffff, v1
	v_or_b32_e32 v25, 0x10000, v1
	s_delay_alu instid0(VALU_DEP_2) | instskip(NEXT) | instid1(VALU_DEP_1)
	v_cmp_eq_u32_e64 s2, 0, v18
	v_cndmask_b32_e64 v18, v25, v1, s2
; %bb.821:
	s_or_b32 exec_lo, exec_lo, s4
	s_delay_alu instid0(VALU_DEP_1) | instskip(SKIP_1) | instid1(VALU_DEP_1)
	v_lshrrev_b32_e32 v27, 16, v18
	s_or_b32 exec_lo, exec_lo, s3
	v_and_b32_e32 v18, 0xffff, v27
	s_and_saveexec_b32 s3, s18
	s_cbranch_execnz .LBB52_891
.LBB52_822:
	s_or_b32 exec_lo, exec_lo, s3
	v_and_b32_e32 v19, 0xffff, v31
	s_and_saveexec_b32 s3, s19
	s_cbranch_execz .LBB52_896
.LBB52_823:
	s_delay_alu instid0(VALU_DEP_1) | instskip(NEXT) | instid1(VALU_DEP_1)
	v_lshlrev_b32_e32 v1, 16, v19
	v_add_f32_e32 v1, v20, v1
	s_delay_alu instid0(VALU_DEP_1) | instskip(NEXT) | instid1(VALU_DEP_1)
	v_and_b32_e32 v20, 0x7f800000, v1
	v_cmp_ne_u32_e64 s2, 0x7f800000, v20
                                        ; implicit-def: $vgpr20
	s_delay_alu instid0(VALU_DEP_1) | instskip(NEXT) | instid1(SALU_CYCLE_1)
	s_and_saveexec_b32 s4, s2
	s_xor_b32 s2, exec_lo, s4
; %bb.824:
	v_bfe_u32 v20, v1, 16, 1
	s_delay_alu instid0(VALU_DEP_1)
	v_add3_u32 v20, v1, v20, 0x7fff
                                        ; implicit-def: $vgpr1
; %bb.825:
	s_and_not1_saveexec_b32 s4, s2
; %bb.826:
	v_and_b32_e32 v20, 0xffff, v1
	v_or_b32_e32 v25, 0x10000, v1
	s_delay_alu instid0(VALU_DEP_2) | instskip(NEXT) | instid1(VALU_DEP_1)
	v_cmp_eq_u32_e64 s2, 0, v20
	v_cndmask_b32_e64 v20, v25, v1, s2
; %bb.827:
	s_or_b32 exec_lo, exec_lo, s4
	s_delay_alu instid0(VALU_DEP_1) | instskip(SKIP_1) | instid1(VALU_DEP_1)
	v_lshrrev_b32_e32 v36, 16, v20
	s_or_b32 exec_lo, exec_lo, s3
	v_and_b32_e32 v20, 0xffff, v36
	s_and_saveexec_b32 s3, s20
	s_cbranch_execnz .LBB52_897
.LBB52_828:
	s_or_b32 exec_lo, exec_lo, s3
	v_and_b32_e32 v21, 0xffff, v33
	s_and_saveexec_b32 s3, s21
	s_cbranch_execz .LBB52_902
.LBB52_829:
	s_delay_alu instid0(VALU_DEP_1) | instskip(NEXT) | instid1(VALU_DEP_1)
	v_lshlrev_b32_e32 v1, 16, v21
	v_add_f32_e32 v1, v22, v1
	s_delay_alu instid0(VALU_DEP_1) | instskip(NEXT) | instid1(VALU_DEP_1)
	v_and_b32_e32 v22, 0x7f800000, v1
	v_cmp_ne_u32_e64 s2, 0x7f800000, v22
                                        ; implicit-def: $vgpr22
	s_delay_alu instid0(VALU_DEP_1) | instskip(NEXT) | instid1(SALU_CYCLE_1)
	s_and_saveexec_b32 s4, s2
	s_xor_b32 s2, exec_lo, s4
; %bb.830:
	v_bfe_u32 v22, v1, 16, 1
	s_delay_alu instid0(VALU_DEP_1)
	v_add3_u32 v22, v1, v22, 0x7fff
                                        ; implicit-def: $vgpr1
; %bb.831:
	s_and_not1_saveexec_b32 s4, s2
; %bb.832:
	v_and_b32_e32 v22, 0xffff, v1
	v_or_b32_e32 v25, 0x10000, v1
	s_delay_alu instid0(VALU_DEP_2) | instskip(NEXT) | instid1(VALU_DEP_1)
	v_cmp_eq_u32_e64 s2, 0, v22
	v_cndmask_b32_e64 v22, v25, v1, s2
; %bb.833:
	s_or_b32 exec_lo, exec_lo, s4
	s_delay_alu instid0(VALU_DEP_1) | instskip(SKIP_1) | instid1(VALU_DEP_1)
	v_lshrrev_b32_e32 v29, 16, v22
	s_or_b32 exec_lo, exec_lo, s3
	v_and_b32_e32 v22, 0xffff, v29
	s_and_saveexec_b32 s3, s22
	s_cbranch_execnz .LBB52_903
.LBB52_834:
	s_or_b32 exec_lo, exec_lo, s3
	v_and_b32_e32 v1, 0xffff, v35
	s_and_saveexec_b32 s3, s23
	s_cbranch_execz .LBB52_908
.LBB52_835:
	s_delay_alu instid0(VALU_DEP_1) | instskip(NEXT) | instid1(VALU_DEP_1)
	v_lshlrev_b32_e32 v2, 16, v1
	v_add_f32_e32 v2, v24, v2
	s_delay_alu instid0(VALU_DEP_1) | instskip(NEXT) | instid1(VALU_DEP_1)
	v_and_b32_e32 v23, 0x7f800000, v2
	v_cmp_ne_u32_e64 s2, 0x7f800000, v23
                                        ; implicit-def: $vgpr23
	s_delay_alu instid0(VALU_DEP_1) | instskip(NEXT) | instid1(SALU_CYCLE_1)
	s_and_saveexec_b32 s4, s2
	s_xor_b32 s2, exec_lo, s4
; %bb.836:
	v_bfe_u32 v23, v2, 16, 1
	s_delay_alu instid0(VALU_DEP_1)
	v_add3_u32 v23, v2, v23, 0x7fff
                                        ; implicit-def: $vgpr2
; %bb.837:
	s_and_not1_saveexec_b32 s4, s2
; %bb.838:
	v_and_b32_e32 v23, 0xffff, v2
	v_or_b32_e32 v24, 0x10000, v2
	s_delay_alu instid0(VALU_DEP_2) | instskip(NEXT) | instid1(VALU_DEP_1)
	v_cmp_eq_u32_e64 s2, 0, v23
	v_cndmask_b32_e64 v23, v24, v2, s2
; %bb.839:
	s_or_b32 exec_lo, exec_lo, s4
	s_delay_alu instid0(VALU_DEP_1)
	v_lshrrev_b32_e32 v2, 16, v23
	s_or_b32 exec_lo, exec_lo, s3
	s_and_saveexec_b32 s2, vcc_lo
	s_cbranch_execnz .LBB52_909
	s_branch .LBB52_910
.LBB52_840:
	s_or_b32 exec_lo, exec_lo, s24
	v_mov_b32_e32 v3, v47
	s_and_saveexec_b32 s24, s2
	s_cbranch_execz .LBB52_774
.LBB52_841:
	s_mov_b32 s25, exec_lo
	v_cmpx_gt_u32_e32 0x10000, v47
	s_cbranch_execz .LBB52_847
; %bb.842:
	s_waitcnt lgkmcnt(0)
	v_lshlrev_b32_e32 v3, 16, v4
	v_lshlrev_b32_e32 v4, 16, v47
	s_delay_alu instid0(VALU_DEP_1) | instskip(NEXT) | instid1(VALU_DEP_1)
	v_add_f32_e32 v3, v4, v3
	v_and_b32_e32 v4, 0x7f800000, v3
	s_delay_alu instid0(VALU_DEP_1) | instskip(NEXT) | instid1(VALU_DEP_1)
	v_cmp_ne_u32_e64 s2, 0x7f800000, v4
                                        ; implicit-def: $vgpr4
	s_and_saveexec_b32 s26, s2
	s_delay_alu instid0(SALU_CYCLE_1)
	s_xor_b32 s2, exec_lo, s26
; %bb.843:
	v_bfe_u32 v4, v3, 16, 1
	s_delay_alu instid0(VALU_DEP_1)
	v_add3_u32 v4, v3, v4, 0x7fff
                                        ; implicit-def: $vgpr3
; %bb.844:
	s_and_not1_saveexec_b32 s26, s2
; %bb.845:
	v_and_b32_e32 v4, 0xffff, v3
	v_or_b32_e32 v25, 0x10000, v3
	s_delay_alu instid0(VALU_DEP_2) | instskip(NEXT) | instid1(VALU_DEP_1)
	v_cmp_eq_u32_e64 s2, 0, v4
	v_cndmask_b32_e64 v4, v25, v3, s2
; %bb.846:
	s_or_b32 exec_lo, exec_lo, s26
	s_delay_alu instid0(VALU_DEP_1)
	v_lshrrev_b32_e32 v47, 16, v4
.LBB52_847:
	s_or_b32 exec_lo, exec_lo, s25
	s_delay_alu instid0(VALU_DEP_1)
	v_and_b32_e32 v3, 0xffff, v47
	s_or_b32 exec_lo, exec_lo, s24
	s_and_saveexec_b32 s24, s3
	s_cbranch_execnz .LBB52_775
.LBB52_848:
	s_or_b32 exec_lo, exec_lo, s24
	s_waitcnt lgkmcnt(0)
	v_and_b32_e32 v4, 0xffff, v46
	s_and_saveexec_b32 s3, s4
	s_cbranch_execz .LBB52_780
.LBB52_849:
	s_delay_alu instid0(VALU_DEP_1) | instskip(NEXT) | instid1(VALU_DEP_1)
	v_lshlrev_b32_e32 v1, 16, v4
	v_add_f32_e32 v1, v5, v1
	s_delay_alu instid0(VALU_DEP_1) | instskip(NEXT) | instid1(VALU_DEP_1)
	v_and_b32_e32 v5, 0x7f800000, v1
	v_cmp_ne_u32_e64 s2, 0x7f800000, v5
                                        ; implicit-def: $vgpr5
	s_delay_alu instid0(VALU_DEP_1) | instskip(NEXT) | instid1(SALU_CYCLE_1)
	s_and_saveexec_b32 s4, s2
	s_xor_b32 s2, exec_lo, s4
; %bb.850:
	v_bfe_u32 v5, v1, 16, 1
	s_delay_alu instid0(VALU_DEP_1)
	v_add3_u32 v5, v1, v5, 0x7fff
                                        ; implicit-def: $vgpr1
; %bb.851:
	s_and_not1_saveexec_b32 s4, s2
; %bb.852:
	v_and_b32_e32 v5, 0xffff, v1
	v_or_b32_e32 v25, 0x10000, v1
	s_delay_alu instid0(VALU_DEP_2) | instskip(NEXT) | instid1(VALU_DEP_1)
	v_cmp_eq_u32_e64 s2, 0, v5
	v_cndmask_b32_e64 v5, v25, v1, s2
; %bb.853:
	s_or_b32 exec_lo, exec_lo, s4
	s_delay_alu instid0(VALU_DEP_1) | instskip(SKIP_1) | instid1(VALU_DEP_1)
	v_lshrrev_b32_e32 v45, 16, v5
	s_or_b32 exec_lo, exec_lo, s3
	v_and_b32_e32 v5, 0xffff, v45
	s_and_saveexec_b32 s3, s5
	s_cbranch_execnz .LBB52_781
.LBB52_854:
	s_or_b32 exec_lo, exec_lo, s3
	v_and_b32_e32 v6, 0xffff, v43
	s_and_saveexec_b32 s3, s6
	s_cbranch_execz .LBB52_786
.LBB52_855:
	s_delay_alu instid0(VALU_DEP_1) | instskip(NEXT) | instid1(VALU_DEP_1)
	v_lshlrev_b32_e32 v1, 16, v6
	v_add_f32_e32 v1, v7, v1
	s_delay_alu instid0(VALU_DEP_1) | instskip(NEXT) | instid1(VALU_DEP_1)
	v_and_b32_e32 v7, 0x7f800000, v1
	v_cmp_ne_u32_e64 s2, 0x7f800000, v7
                                        ; implicit-def: $vgpr7
	s_delay_alu instid0(VALU_DEP_1) | instskip(NEXT) | instid1(SALU_CYCLE_1)
	s_and_saveexec_b32 s4, s2
	s_xor_b32 s2, exec_lo, s4
; %bb.856:
	v_bfe_u32 v7, v1, 16, 1
	s_delay_alu instid0(VALU_DEP_1)
	v_add3_u32 v7, v1, v7, 0x7fff
                                        ; implicit-def: $vgpr1
; %bb.857:
	s_and_not1_saveexec_b32 s4, s2
; %bb.858:
	v_and_b32_e32 v7, 0xffff, v1
	v_or_b32_e32 v25, 0x10000, v1
	s_delay_alu instid0(VALU_DEP_2) | instskip(NEXT) | instid1(VALU_DEP_1)
	v_cmp_eq_u32_e64 s2, 0, v7
	v_cndmask_b32_e64 v7, v25, v1, s2
; %bb.859:
	s_or_b32 exec_lo, exec_lo, s4
	s_delay_alu instid0(VALU_DEP_1) | instskip(SKIP_1) | instid1(VALU_DEP_1)
	v_lshrrev_b32_e32 v44, 16, v7
	s_or_b32 exec_lo, exec_lo, s3
	v_and_b32_e32 v7, 0xffff, v44
	s_and_saveexec_b32 s3, s7
	s_cbranch_execnz .LBB52_787
.LBB52_860:
	s_or_b32 exec_lo, exec_lo, s3
	v_and_b32_e32 v8, 0xffff, v40
	s_and_saveexec_b32 s3, s8
	s_cbranch_execz .LBB52_792
.LBB52_861:
	s_delay_alu instid0(VALU_DEP_1) | instskip(NEXT) | instid1(VALU_DEP_1)
	v_lshlrev_b32_e32 v1, 16, v8
	v_add_f32_e32 v1, v9, v1
	s_delay_alu instid0(VALU_DEP_1) | instskip(NEXT) | instid1(VALU_DEP_1)
	v_and_b32_e32 v9, 0x7f800000, v1
	v_cmp_ne_u32_e64 s2, 0x7f800000, v9
                                        ; implicit-def: $vgpr9
	s_delay_alu instid0(VALU_DEP_1) | instskip(NEXT) | instid1(SALU_CYCLE_1)
	s_and_saveexec_b32 s4, s2
	s_xor_b32 s2, exec_lo, s4
; %bb.862:
	v_bfe_u32 v9, v1, 16, 1
	s_delay_alu instid0(VALU_DEP_1)
	v_add3_u32 v9, v1, v9, 0x7fff
                                        ; implicit-def: $vgpr1
; %bb.863:
	s_and_not1_saveexec_b32 s4, s2
; %bb.864:
	v_and_b32_e32 v9, 0xffff, v1
	v_or_b32_e32 v25, 0x10000, v1
	s_delay_alu instid0(VALU_DEP_2) | instskip(NEXT) | instid1(VALU_DEP_1)
	v_cmp_eq_u32_e64 s2, 0, v9
	v_cndmask_b32_e64 v9, v25, v1, s2
; %bb.865:
	s_or_b32 exec_lo, exec_lo, s4
	s_delay_alu instid0(VALU_DEP_1) | instskip(SKIP_1) | instid1(VALU_DEP_1)
	v_lshrrev_b32_e32 v42, 16, v9
	s_or_b32 exec_lo, exec_lo, s3
	v_and_b32_e32 v9, 0xffff, v42
	s_and_saveexec_b32 s3, s9
	s_cbranch_execnz .LBB52_793
.LBB52_866:
	s_or_b32 exec_lo, exec_lo, s3
	v_and_b32_e32 v10, 0xffff, v38
	s_and_saveexec_b32 s3, s10
	s_cbranch_execz .LBB52_798
.LBB52_867:
	s_delay_alu instid0(VALU_DEP_1) | instskip(NEXT) | instid1(VALU_DEP_1)
	v_lshlrev_b32_e32 v1, 16, v10
	v_add_f32_e32 v1, v11, v1
	s_delay_alu instid0(VALU_DEP_1) | instskip(NEXT) | instid1(VALU_DEP_1)
	v_and_b32_e32 v11, 0x7f800000, v1
	v_cmp_ne_u32_e64 s2, 0x7f800000, v11
                                        ; implicit-def: $vgpr11
	s_delay_alu instid0(VALU_DEP_1) | instskip(NEXT) | instid1(SALU_CYCLE_1)
	s_and_saveexec_b32 s4, s2
	s_xor_b32 s2, exec_lo, s4
; %bb.868:
	v_bfe_u32 v11, v1, 16, 1
	s_delay_alu instid0(VALU_DEP_1)
	v_add3_u32 v11, v1, v11, 0x7fff
                                        ; implicit-def: $vgpr1
; %bb.869:
	s_and_not1_saveexec_b32 s4, s2
; %bb.870:
	v_and_b32_e32 v11, 0xffff, v1
	v_or_b32_e32 v25, 0x10000, v1
	s_delay_alu instid0(VALU_DEP_2) | instskip(NEXT) | instid1(VALU_DEP_1)
	v_cmp_eq_u32_e64 s2, 0, v11
	v_cndmask_b32_e64 v11, v25, v1, s2
; %bb.871:
	s_or_b32 exec_lo, exec_lo, s4
	s_delay_alu instid0(VALU_DEP_1) | instskip(SKIP_1) | instid1(VALU_DEP_1)
	v_lshrrev_b32_e32 v39, 16, v11
	s_or_b32 exec_lo, exec_lo, s3
	v_and_b32_e32 v11, 0xffff, v39
	s_and_saveexec_b32 s3, s11
	s_cbranch_execnz .LBB52_799
.LBB52_872:
	s_or_b32 exec_lo, exec_lo, s3
	v_and_b32_e32 v12, 0xffff, v41
	s_and_saveexec_b32 s3, s12
	s_cbranch_execz .LBB52_804
.LBB52_873:
	s_delay_alu instid0(VALU_DEP_1) | instskip(NEXT) | instid1(VALU_DEP_1)
	v_lshlrev_b32_e32 v1, 16, v12
	v_add_f32_e32 v1, v13, v1
	s_delay_alu instid0(VALU_DEP_1) | instskip(NEXT) | instid1(VALU_DEP_1)
	v_and_b32_e32 v13, 0x7f800000, v1
	v_cmp_ne_u32_e64 s2, 0x7f800000, v13
                                        ; implicit-def: $vgpr13
	s_delay_alu instid0(VALU_DEP_1) | instskip(NEXT) | instid1(SALU_CYCLE_1)
	s_and_saveexec_b32 s4, s2
	s_xor_b32 s2, exec_lo, s4
; %bb.874:
	v_bfe_u32 v13, v1, 16, 1
	s_delay_alu instid0(VALU_DEP_1)
	v_add3_u32 v13, v1, v13, 0x7fff
                                        ; implicit-def: $vgpr1
; %bb.875:
	s_and_not1_saveexec_b32 s4, s2
; %bb.876:
	v_and_b32_e32 v13, 0xffff, v1
	v_or_b32_e32 v25, 0x10000, v1
	s_delay_alu instid0(VALU_DEP_2) | instskip(NEXT) | instid1(VALU_DEP_1)
	v_cmp_eq_u32_e64 s2, 0, v13
	v_cndmask_b32_e64 v13, v25, v1, s2
; %bb.877:
	s_or_b32 exec_lo, exec_lo, s4
	s_delay_alu instid0(VALU_DEP_1) | instskip(SKIP_1) | instid1(VALU_DEP_1)
	v_lshrrev_b32_e32 v37, 16, v13
	s_or_b32 exec_lo, exec_lo, s3
	v_and_b32_e32 v13, 0xffff, v37
	s_and_saveexec_b32 s3, s13
	s_cbranch_execnz .LBB52_805
.LBB52_878:
	s_or_b32 exec_lo, exec_lo, s3
	v_and_b32_e32 v14, 0xffff, v30
	s_and_saveexec_b32 s3, s14
	s_cbranch_execz .LBB52_810
.LBB52_879:
	s_delay_alu instid0(VALU_DEP_1) | instskip(NEXT) | instid1(VALU_DEP_1)
	v_lshlrev_b32_e32 v1, 16, v14
	v_add_f32_e32 v1, v15, v1
	s_delay_alu instid0(VALU_DEP_1) | instskip(NEXT) | instid1(VALU_DEP_1)
	v_and_b32_e32 v15, 0x7f800000, v1
	v_cmp_ne_u32_e64 s2, 0x7f800000, v15
                                        ; implicit-def: $vgpr15
	s_delay_alu instid0(VALU_DEP_1) | instskip(NEXT) | instid1(SALU_CYCLE_1)
	s_and_saveexec_b32 s4, s2
	s_xor_b32 s2, exec_lo, s4
; %bb.880:
	v_bfe_u32 v15, v1, 16, 1
	s_delay_alu instid0(VALU_DEP_1)
	v_add3_u32 v15, v1, v15, 0x7fff
                                        ; implicit-def: $vgpr1
; %bb.881:
	s_and_not1_saveexec_b32 s4, s2
; %bb.882:
	v_and_b32_e32 v15, 0xffff, v1
	v_or_b32_e32 v25, 0x10000, v1
	s_delay_alu instid0(VALU_DEP_2) | instskip(NEXT) | instid1(VALU_DEP_1)
	v_cmp_eq_u32_e64 s2, 0, v15
	v_cndmask_b32_e64 v15, v25, v1, s2
; %bb.883:
	s_or_b32 exec_lo, exec_lo, s4
	s_delay_alu instid0(VALU_DEP_1) | instskip(SKIP_1) | instid1(VALU_DEP_1)
	v_lshrrev_b32_e32 v34, 16, v15
	s_or_b32 exec_lo, exec_lo, s3
	v_and_b32_e32 v15, 0xffff, v34
	s_and_saveexec_b32 s3, s15
	s_cbranch_execnz .LBB52_811
.LBB52_884:
	s_or_b32 exec_lo, exec_lo, s3
	v_and_b32_e32 v16, 0xffff, v28
	s_and_saveexec_b32 s3, s16
	s_cbranch_execz .LBB52_816
.LBB52_885:
	s_delay_alu instid0(VALU_DEP_1) | instskip(NEXT) | instid1(VALU_DEP_1)
	v_lshlrev_b32_e32 v1, 16, v16
	v_add_f32_e32 v1, v17, v1
	s_delay_alu instid0(VALU_DEP_1) | instskip(NEXT) | instid1(VALU_DEP_1)
	v_and_b32_e32 v17, 0x7f800000, v1
	v_cmp_ne_u32_e64 s2, 0x7f800000, v17
                                        ; implicit-def: $vgpr17
	s_delay_alu instid0(VALU_DEP_1) | instskip(NEXT) | instid1(SALU_CYCLE_1)
	s_and_saveexec_b32 s4, s2
	s_xor_b32 s2, exec_lo, s4
; %bb.886:
	v_bfe_u32 v17, v1, 16, 1
	s_delay_alu instid0(VALU_DEP_1)
	v_add3_u32 v17, v1, v17, 0x7fff
                                        ; implicit-def: $vgpr1
; %bb.887:
	s_and_not1_saveexec_b32 s4, s2
; %bb.888:
	v_and_b32_e32 v17, 0xffff, v1
	v_or_b32_e32 v25, 0x10000, v1
	s_delay_alu instid0(VALU_DEP_2) | instskip(NEXT) | instid1(VALU_DEP_1)
	v_cmp_eq_u32_e64 s2, 0, v17
	v_cndmask_b32_e64 v17, v25, v1, s2
; %bb.889:
	s_or_b32 exec_lo, exec_lo, s4
	s_delay_alu instid0(VALU_DEP_1) | instskip(SKIP_1) | instid1(VALU_DEP_1)
	v_lshrrev_b32_e32 v32, 16, v17
	s_or_b32 exec_lo, exec_lo, s3
	v_and_b32_e32 v17, 0xffff, v32
	s_and_saveexec_b32 s3, s17
	s_cbranch_execnz .LBB52_817
.LBB52_890:
	s_or_b32 exec_lo, exec_lo, s3
	v_and_b32_e32 v18, 0xffff, v27
	s_and_saveexec_b32 s3, s18
	s_cbranch_execz .LBB52_822
.LBB52_891:
	s_delay_alu instid0(VALU_DEP_1) | instskip(NEXT) | instid1(VALU_DEP_1)
	v_lshlrev_b32_e32 v1, 16, v18
	v_add_f32_e32 v1, v19, v1
	s_delay_alu instid0(VALU_DEP_1) | instskip(NEXT) | instid1(VALU_DEP_1)
	v_and_b32_e32 v19, 0x7f800000, v1
	v_cmp_ne_u32_e64 s2, 0x7f800000, v19
                                        ; implicit-def: $vgpr19
	s_delay_alu instid0(VALU_DEP_1) | instskip(NEXT) | instid1(SALU_CYCLE_1)
	s_and_saveexec_b32 s4, s2
	s_xor_b32 s2, exec_lo, s4
; %bb.892:
	v_bfe_u32 v19, v1, 16, 1
	s_delay_alu instid0(VALU_DEP_1)
	v_add3_u32 v19, v1, v19, 0x7fff
                                        ; implicit-def: $vgpr1
; %bb.893:
	s_and_not1_saveexec_b32 s4, s2
; %bb.894:
	v_and_b32_e32 v19, 0xffff, v1
	v_or_b32_e32 v25, 0x10000, v1
	s_delay_alu instid0(VALU_DEP_2) | instskip(NEXT) | instid1(VALU_DEP_1)
	v_cmp_eq_u32_e64 s2, 0, v19
	v_cndmask_b32_e64 v19, v25, v1, s2
; %bb.895:
	s_or_b32 exec_lo, exec_lo, s4
	s_delay_alu instid0(VALU_DEP_1) | instskip(SKIP_1) | instid1(VALU_DEP_1)
	v_lshrrev_b32_e32 v31, 16, v19
	s_or_b32 exec_lo, exec_lo, s3
	v_and_b32_e32 v19, 0xffff, v31
	s_and_saveexec_b32 s3, s19
	s_cbranch_execnz .LBB52_823
.LBB52_896:
	s_or_b32 exec_lo, exec_lo, s3
	v_and_b32_e32 v20, 0xffff, v36
	s_and_saveexec_b32 s3, s20
	s_cbranch_execz .LBB52_828
.LBB52_897:
	s_delay_alu instid0(VALU_DEP_1) | instskip(NEXT) | instid1(VALU_DEP_1)
	v_lshlrev_b32_e32 v1, 16, v20
	v_add_f32_e32 v1, v21, v1
	s_delay_alu instid0(VALU_DEP_1) | instskip(NEXT) | instid1(VALU_DEP_1)
	v_and_b32_e32 v21, 0x7f800000, v1
	v_cmp_ne_u32_e64 s2, 0x7f800000, v21
                                        ; implicit-def: $vgpr21
	s_delay_alu instid0(VALU_DEP_1) | instskip(NEXT) | instid1(SALU_CYCLE_1)
	s_and_saveexec_b32 s4, s2
	s_xor_b32 s2, exec_lo, s4
; %bb.898:
	v_bfe_u32 v21, v1, 16, 1
	s_delay_alu instid0(VALU_DEP_1)
	v_add3_u32 v21, v1, v21, 0x7fff
                                        ; implicit-def: $vgpr1
; %bb.899:
	s_and_not1_saveexec_b32 s4, s2
; %bb.900:
	v_and_b32_e32 v21, 0xffff, v1
	v_or_b32_e32 v25, 0x10000, v1
	s_delay_alu instid0(VALU_DEP_2) | instskip(NEXT) | instid1(VALU_DEP_1)
	v_cmp_eq_u32_e64 s2, 0, v21
	v_cndmask_b32_e64 v21, v25, v1, s2
; %bb.901:
	s_or_b32 exec_lo, exec_lo, s4
	s_delay_alu instid0(VALU_DEP_1) | instskip(SKIP_1) | instid1(VALU_DEP_1)
	v_lshrrev_b32_e32 v33, 16, v21
	s_or_b32 exec_lo, exec_lo, s3
	v_and_b32_e32 v21, 0xffff, v33
	s_and_saveexec_b32 s3, s21
	s_cbranch_execnz .LBB52_829
.LBB52_902:
	s_or_b32 exec_lo, exec_lo, s3
	v_and_b32_e32 v22, 0xffff, v29
	s_and_saveexec_b32 s3, s22
	s_cbranch_execz .LBB52_834
.LBB52_903:
	s_delay_alu instid0(VALU_DEP_1) | instskip(NEXT) | instid1(VALU_DEP_1)
	v_lshlrev_b32_e32 v1, 16, v22
	v_add_f32_e32 v1, v23, v1
	s_delay_alu instid0(VALU_DEP_1) | instskip(NEXT) | instid1(VALU_DEP_1)
	v_and_b32_e32 v23, 0x7f800000, v1
	v_cmp_ne_u32_e64 s2, 0x7f800000, v23
                                        ; implicit-def: $vgpr23
	s_delay_alu instid0(VALU_DEP_1) | instskip(NEXT) | instid1(SALU_CYCLE_1)
	s_and_saveexec_b32 s4, s2
	s_xor_b32 s2, exec_lo, s4
; %bb.904:
	v_bfe_u32 v23, v1, 16, 1
	s_delay_alu instid0(VALU_DEP_1)
	v_add3_u32 v23, v1, v23, 0x7fff
                                        ; implicit-def: $vgpr1
; %bb.905:
	s_and_not1_saveexec_b32 s4, s2
; %bb.906:
	v_and_b32_e32 v23, 0xffff, v1
	v_or_b32_e32 v25, 0x10000, v1
	s_delay_alu instid0(VALU_DEP_2) | instskip(NEXT) | instid1(VALU_DEP_1)
	v_cmp_eq_u32_e64 s2, 0, v23
	v_cndmask_b32_e64 v23, v25, v1, s2
; %bb.907:
	s_or_b32 exec_lo, exec_lo, s4
	s_delay_alu instid0(VALU_DEP_1) | instskip(SKIP_1) | instid1(VALU_DEP_1)
	v_lshrrev_b32_e32 v35, 16, v23
	s_or_b32 exec_lo, exec_lo, s3
	v_and_b32_e32 v1, 0xffff, v35
	s_and_saveexec_b32 s3, s23
	s_cbranch_execnz .LBB52_835
.LBB52_908:
	s_or_b32 exec_lo, exec_lo, s3
	s_and_saveexec_b32 s2, vcc_lo
	s_cbranch_execz .LBB52_910
.LBB52_909:
	v_mov_b32_e32 v25, 0
	ds_load_u8 v23, v25 offset:258
	ds_load_u16 v24, v25 offset:256
	s_waitcnt lgkmcnt(1)
	v_lshlrev_b32_e32 v23, 16, v23
	s_waitcnt lgkmcnt(0)
	s_delay_alu instid0(VALU_DEP_1)
	v_or_b32_e32 v23, v23, v24
	v_mov_b32_e32 v24, 2
	global_store_b64 v25, v[23:24], s[36:37] offset:256
.LBB52_910:
	s_or_b32 exec_lo, exec_lo, s2
	v_dual_mov_b32 v24, v2 :: v_dual_mov_b32 v23, v1
.LBB52_911:
	s_load_b64 s[0:1], s[0:1], 0x18
	s_waitcnt lgkmcnt(0)
	s_add_u32 s0, s0, s28
	s_addc_u32 s1, s1, s29
	s_and_b32 vcc_lo, exec_lo, s39
	s_cbranch_vccz .LBB52_995
; %bb.912:
	v_mul_u32_u24_e32 v1, 22, v0
	s_add_i32 s33, s33, s38
	s_mov_b32 s2, exec_lo
	s_delay_alu instid0(VALU_DEP_1)
	v_or_b32_e32 v2, 1, v1
	v_cmpx_le_u32_e64 s33, v1
	s_xor_b32 s2, exec_lo, s2
; %bb.913:
	v_or_b32_e32 v2, 1, v1
; %bb.914:
	s_and_not1_saveexec_b32 s2, s2
	s_cbranch_execz .LBB52_952
; %bb.915:
	s_mov_b32 s3, exec_lo
	s_delay_alu instid0(VALU_DEP_1)
	v_cmpx_gt_u32_e64 s33, v2
	s_cbranch_execz .LBB52_951
; %bb.916:
	v_add_nc_u32_e32 v25, 2, v1
	s_mov_b32 s4, exec_lo
	s_delay_alu instid0(VALU_DEP_1)
	v_cmpx_gt_u32_e64 s33, v25
	s_cbranch_execz .LBB52_950
; %bb.917:
	v_add_nc_u32_e32 v25, 3, v1
	;; [unrolled: 6-line block ×17, first 2 shown]
	s_mov_b32 s20, exec_lo
	s_delay_alu instid0(VALU_DEP_1)
	v_cmpx_gt_u32_e64 s33, v25
; %bb.933:
	v_add_nc_u32_e32 v25, 19, v1
	s_mov_b32 s21, exec_lo
	s_delay_alu instid0(VALU_DEP_1)
	v_cmpx_gt_u32_e64 s33, v25
	s_or_b32 exec_lo, exec_lo, s21
; %bb.934:
	s_delay_alu instid0(SALU_CYCLE_1)
	s_or_b32 exec_lo, exec_lo, s20
.LBB52_935:
	s_delay_alu instid0(SALU_CYCLE_1)
	s_or_b32 exec_lo, exec_lo, s19
.LBB52_936:
	s_delay_alu instid0(SALU_CYCLE_1)
	s_or_b32 exec_lo, exec_lo, s18
.LBB52_937:
	s_delay_alu instid0(SALU_CYCLE_1)
	s_or_b32 exec_lo, exec_lo, s17
.LBB52_938:
	s_delay_alu instid0(SALU_CYCLE_1)
	s_or_b32 exec_lo, exec_lo, s16
.LBB52_939:
	s_delay_alu instid0(SALU_CYCLE_1)
	s_or_b32 exec_lo, exec_lo, s15
.LBB52_940:
	s_delay_alu instid0(SALU_CYCLE_1)
	s_or_b32 exec_lo, exec_lo, s14
.LBB52_941:
	s_delay_alu instid0(SALU_CYCLE_1)
	s_or_b32 exec_lo, exec_lo, s13
.LBB52_942:
	s_delay_alu instid0(SALU_CYCLE_1)
	s_or_b32 exec_lo, exec_lo, s12
.LBB52_943:
	s_delay_alu instid0(SALU_CYCLE_1)
	s_or_b32 exec_lo, exec_lo, s11
.LBB52_944:
	s_delay_alu instid0(SALU_CYCLE_1)
	s_or_b32 exec_lo, exec_lo, s10
.LBB52_945:
	s_delay_alu instid0(SALU_CYCLE_1)
	s_or_b32 exec_lo, exec_lo, s9
.LBB52_946:
	s_delay_alu instid0(SALU_CYCLE_1)
	s_or_b32 exec_lo, exec_lo, s8
.LBB52_947:
	s_delay_alu instid0(SALU_CYCLE_1)
	s_or_b32 exec_lo, exec_lo, s7
.LBB52_948:
	s_delay_alu instid0(SALU_CYCLE_1)
	s_or_b32 exec_lo, exec_lo, s6
.LBB52_949:
	s_delay_alu instid0(SALU_CYCLE_1)
	s_or_b32 exec_lo, exec_lo, s5
.LBB52_950:
	s_delay_alu instid0(SALU_CYCLE_1)
	s_or_b32 exec_lo, exec_lo, s4
.LBB52_951:
	s_delay_alu instid0(SALU_CYCLE_1)
	s_or_b32 exec_lo, exec_lo, s3
.LBB52_952:
	s_delay_alu instid0(SALU_CYCLE_1)
	s_or_b32 exec_lo, exec_lo, s2
	v_lshlrev_b32_e32 v44, 1, v1
	v_lshlrev_b32_e32 v1, 1, v2
	s_waitcnt_vscnt null, 0x0
	s_barrier
	buffer_gl0_inv
	ds_store_b16 v44, v3
	ds_store_b16 v1, v4
	v_perm_b32 v1, v8, v7, 0x5040100
	v_perm_b32 v2, v6, v5, 0x5040100
	;; [unrolled: 1-line block ×10, first 2 shown]
	ds_store_2addr_b32 v44, v2, v1 offset0:1 offset1:2
	ds_store_2addr_b32 v44, v26, v25 offset0:3 offset1:4
	;; [unrolled: 1-line block ×4, first 2 shown]
	v_mad_i32_i24 v1, 0xffffffd6, v0, v44
	v_lshlrev_b32_e32 v25, 1, v0
	ds_store_2addr_b32 v44, v32, v31 offset0:9 offset1:10
	s_waitcnt lgkmcnt(0)
	s_barrier
	buffer_gl0_inv
	ds_load_u16 v47, v1 offset:128
	ds_load_u16 v46, v1 offset:256
	;; [unrolled: 1-line block ×21, first 2 shown]
	v_mov_b32_e32 v1, 0
	v_add_co_u32 v25, s2, s0, v25
	s_delay_alu instid0(VALU_DEP_1)
	v_add_co_ci_u32_e64 v26, null, s1, 0, s2
	s_mov_b32 s2, exec_lo
	v_cmpx_gt_u32_e64 s33, v0
	s_cbranch_execz .LBB52_954
; %bb.953:
	v_mul_i32_i24_e32 v48, 0xffffffd6, v0
	s_delay_alu instid0(VALU_DEP_1)
	v_add_nc_u32_e32 v44, v44, v48
	ds_load_u16 v44, v44
	s_waitcnt lgkmcnt(0)
	global_store_b16 v[25:26], v44, off
.LBB52_954:
	s_or_b32 exec_lo, exec_lo, s2
	v_or_b32_e32 v44, 64, v0
	s_mov_b32 s2, exec_lo
	s_delay_alu instid0(VALU_DEP_1)
	v_cmpx_gt_u32_e64 s33, v44
	s_cbranch_execz .LBB52_956
; %bb.955:
	s_waitcnt lgkmcnt(20)
	global_store_b16 v[25:26], v47, off offset:128
.LBB52_956:
	s_or_b32 exec_lo, exec_lo, s2
	v_or_b32_e32 v44, 0x80, v0
	s_mov_b32 s2, exec_lo
	s_delay_alu instid0(VALU_DEP_1)
	v_cmpx_gt_u32_e64 s33, v44
	s_cbranch_execz .LBB52_958
; %bb.957:
	s_waitcnt lgkmcnt(19)
	global_store_b16 v[25:26], v46, off offset:256
.LBB52_958:
	;; [unrolled: 10-line block ×4, first 2 shown]
	s_or_b32 exec_lo, exec_lo, s2
	s_waitcnt lgkmcnt(17)
	v_or_b32_e32 v43, 0x140, v0
	s_mov_b32 s2, exec_lo
	s_delay_alu instid0(VALU_DEP_1)
	v_cmpx_gt_u32_e64 s33, v43
	s_cbranch_execz .LBB52_964
; %bb.963:
	s_waitcnt lgkmcnt(16)
	global_store_b16 v[25:26], v42, off offset:640
.LBB52_964:
	s_or_b32 exec_lo, exec_lo, s2
	s_waitcnt lgkmcnt(16)
	v_or_b32_e32 v42, 0x180, v0
	s_mov_b32 s2, exec_lo
	s_delay_alu instid0(VALU_DEP_1)
	v_cmpx_gt_u32_e64 s33, v42
	s_cbranch_execz .LBB52_966
; %bb.965:
	s_waitcnt lgkmcnt(15)
	global_store_b16 v[25:26], v41, off offset:768
.LBB52_966:
	;; [unrolled: 11-line block ×16, first 2 shown]
	s_or_b32 exec_lo, exec_lo, s2
	v_or_b32_e32 v25, 0x540, v0
	s_delay_alu instid0(VALU_DEP_1)
	v_cmp_gt_u32_e64 s2, s33, v25
	s_branch .LBB52_997
.LBB52_995:
	s_mov_b32 s2, 0
                                        ; implicit-def: $vgpr2
	s_cbranch_execz .LBB52_997
; %bb.996:
	s_waitcnt lgkmcnt(0)
	v_mul_u32_u24_e32 v2, 44, v0
	v_perm_b32 v5, v6, v5, 0x5040100
	v_perm_b32 v3, v4, v3, 0x5040100
	;; [unrolled: 1-line block ×4, first 2 shown]
	v_mul_i32_i24_e32 v13, 0xffffffd6, v0
	v_perm_b32 v4, v10, v9, 0x5040100
	v_perm_b32 v8, v12, v11, 0x5040100
	;; [unrolled: 1-line block ×7, first 2 shown]
	s_waitcnt_vscnt null, 0x0
	s_barrier
	buffer_gl0_inv
	ds_store_2addr_b32 v2, v3, v5 offset1:1
	ds_store_2addr_b32 v2, v6, v4 offset0:2 offset1:3
	ds_store_2addr_b32 v2, v8, v7 offset0:4 offset1:5
	;; [unrolled: 1-line block ×4, first 2 shown]
	ds_store_b32 v2, v1 offset:40
	v_mad_u32_u24 v2, v0, 44, v13
	s_waitcnt lgkmcnt(0)
	s_barrier
	buffer_gl0_inv
	ds_load_u16 v3, v2
	ds_load_u16 v4, v2 offset:128
	ds_load_u16 v5, v2 offset:256
	;; [unrolled: 1-line block ×21, first 2 shown]
	v_mov_b32_e32 v1, 0
	v_lshlrev_b32_e32 v19, 1, v0
	s_or_b32 s2, s2, exec_lo
	s_waitcnt lgkmcnt(21)
	global_store_b16 v19, v3, s[0:1]
	s_waitcnt lgkmcnt(20)
	global_store_b16 v19, v4, s[0:1] offset:128
	s_waitcnt lgkmcnt(19)
	global_store_b16 v19, v5, s[0:1] offset:256
	;; [unrolled: 2-line block ×20, first 2 shown]
.LBB52_997:
	s_delay_alu instid0(VALU_DEP_1)
	s_and_saveexec_b32 s3, s2
	s_cbranch_execz .LBB52_999
; %bb.998:
	v_lshlrev_b64 v[0:1], 1, v[0:1]
	s_delay_alu instid0(VALU_DEP_1) | instskip(NEXT) | instid1(VALU_DEP_2)
	v_add_co_u32 v0, vcc_lo, s0, v0
	v_add_co_ci_u32_e32 v1, vcc_lo, s1, v1, vcc_lo
	s_waitcnt lgkmcnt(0)
	global_store_b16 v[0:1], v2, off offset:2688
	s_nop 0
	s_sendmsg sendmsg(MSG_DEALLOC_VGPRS)
	s_endpgm
.LBB52_999:
	s_nop 0
	s_sendmsg sendmsg(MSG_DEALLOC_VGPRS)
	s_endpgm
	.section	.rodata,"a",@progbits
	.p2align	6, 0x0
	.amdhsa_kernel _ZN7rocprim6detail25device_scan_by_key_kernelILNS0_25lookback_scan_determinismE0ELb0ENS0_26wrapped_scan_by_key_configINS_14default_configEi12hip_bfloat16EEPiN6hipcub22TransformInputIteratorIS5_NS8_6CastOpIS5_EEPS5_lEESC_S5_NS8_8EqualityENS8_3SumENS0_19lookback_scan_stateINS_5tupleIJS5_bEEELb0ELb1EEES5_EEvT2_T3_T4_T5_T6_T7_T8_mmmPKNSH_IJT9_bEEE
		.amdhsa_group_segment_fixed_size 6144
		.amdhsa_private_segment_fixed_size 0
		.amdhsa_kernarg_size 80
		.amdhsa_user_sgpr_count 15
		.amdhsa_user_sgpr_dispatch_ptr 0
		.amdhsa_user_sgpr_queue_ptr 0
		.amdhsa_user_sgpr_kernarg_segment_ptr 1
		.amdhsa_user_sgpr_dispatch_id 0
		.amdhsa_user_sgpr_private_segment_size 0
		.amdhsa_wavefront_size32 1
		.amdhsa_uses_dynamic_stack 0
		.amdhsa_enable_private_segment 0
		.amdhsa_system_sgpr_workgroup_id_x 1
		.amdhsa_system_sgpr_workgroup_id_y 0
		.amdhsa_system_sgpr_workgroup_id_z 0
		.amdhsa_system_sgpr_workgroup_info 0
		.amdhsa_system_vgpr_workitem_id 0
		.amdhsa_next_free_vgpr 62
		.amdhsa_next_free_sgpr 44
		.amdhsa_reserve_vcc 1
		.amdhsa_float_round_mode_32 0
		.amdhsa_float_round_mode_16_64 0
		.amdhsa_float_denorm_mode_32 3
		.amdhsa_float_denorm_mode_16_64 3
		.amdhsa_dx10_clamp 1
		.amdhsa_ieee_mode 1
		.amdhsa_fp16_overflow 0
		.amdhsa_workgroup_processor_mode 1
		.amdhsa_memory_ordered 1
		.amdhsa_forward_progress 0
		.amdhsa_shared_vgpr_count 0
		.amdhsa_exception_fp_ieee_invalid_op 0
		.amdhsa_exception_fp_denorm_src 0
		.amdhsa_exception_fp_ieee_div_zero 0
		.amdhsa_exception_fp_ieee_overflow 0
		.amdhsa_exception_fp_ieee_underflow 0
		.amdhsa_exception_fp_ieee_inexact 0
		.amdhsa_exception_int_div_zero 0
	.end_amdhsa_kernel
	.section	.text._ZN7rocprim6detail25device_scan_by_key_kernelILNS0_25lookback_scan_determinismE0ELb0ENS0_26wrapped_scan_by_key_configINS_14default_configEi12hip_bfloat16EEPiN6hipcub22TransformInputIteratorIS5_NS8_6CastOpIS5_EEPS5_lEESC_S5_NS8_8EqualityENS8_3SumENS0_19lookback_scan_stateINS_5tupleIJS5_bEEELb0ELb1EEES5_EEvT2_T3_T4_T5_T6_T7_T8_mmmPKNSH_IJT9_bEEE,"axG",@progbits,_ZN7rocprim6detail25device_scan_by_key_kernelILNS0_25lookback_scan_determinismE0ELb0ENS0_26wrapped_scan_by_key_configINS_14default_configEi12hip_bfloat16EEPiN6hipcub22TransformInputIteratorIS5_NS8_6CastOpIS5_EEPS5_lEESC_S5_NS8_8EqualityENS8_3SumENS0_19lookback_scan_stateINS_5tupleIJS5_bEEELb0ELb1EEES5_EEvT2_T3_T4_T5_T6_T7_T8_mmmPKNSH_IJT9_bEEE,comdat
.Lfunc_end52:
	.size	_ZN7rocprim6detail25device_scan_by_key_kernelILNS0_25lookback_scan_determinismE0ELb0ENS0_26wrapped_scan_by_key_configINS_14default_configEi12hip_bfloat16EEPiN6hipcub22TransformInputIteratorIS5_NS8_6CastOpIS5_EEPS5_lEESC_S5_NS8_8EqualityENS8_3SumENS0_19lookback_scan_stateINS_5tupleIJS5_bEEELb0ELb1EEES5_EEvT2_T3_T4_T5_T6_T7_T8_mmmPKNSH_IJT9_bEEE, .Lfunc_end52-_ZN7rocprim6detail25device_scan_by_key_kernelILNS0_25lookback_scan_determinismE0ELb0ENS0_26wrapped_scan_by_key_configINS_14default_configEi12hip_bfloat16EEPiN6hipcub22TransformInputIteratorIS5_NS8_6CastOpIS5_EEPS5_lEESC_S5_NS8_8EqualityENS8_3SumENS0_19lookback_scan_stateINS_5tupleIJS5_bEEELb0ELb1EEES5_EEvT2_T3_T4_T5_T6_T7_T8_mmmPKNSH_IJT9_bEEE
                                        ; -- End function
	.section	.AMDGPU.csdata,"",@progbits
; Kernel info:
; codeLenInByte = 31140
; NumSgprs: 46
; NumVgprs: 62
; ScratchSize: 0
; MemoryBound: 0
; FloatMode: 240
; IeeeMode: 1
; LDSByteSize: 6144 bytes/workgroup (compile time only)
; SGPRBlocks: 5
; VGPRBlocks: 7
; NumSGPRsForWavesPerEU: 46
; NumVGPRsForWavesPerEU: 62
; Occupancy: 11
; WaveLimiterHint : 1
; COMPUTE_PGM_RSRC2:SCRATCH_EN: 0
; COMPUTE_PGM_RSRC2:USER_SGPR: 15
; COMPUTE_PGM_RSRC2:TRAP_HANDLER: 0
; COMPUTE_PGM_RSRC2:TGID_X_EN: 1
; COMPUTE_PGM_RSRC2:TGID_Y_EN: 0
; COMPUTE_PGM_RSRC2:TGID_Z_EN: 0
; COMPUTE_PGM_RSRC2:TIDIG_COMP_CNT: 0
	.section	.text._ZN7rocprim6detail25device_scan_by_key_kernelILNS0_25lookback_scan_determinismE0ELb0ENS0_26wrapped_scan_by_key_configINS_14default_configEi12hip_bfloat16EEPiN6hipcub22TransformInputIteratorIS5_NS8_6CastOpIS5_EEPS5_lEESC_S5_NS8_8EqualityENS8_3MaxENS0_19lookback_scan_stateINS_5tupleIJS5_bEEELb1ELb1EEES5_EEvT2_T3_T4_T5_T6_T7_T8_mmmPKNSH_IJT9_bEEE,"axG",@progbits,_ZN7rocprim6detail25device_scan_by_key_kernelILNS0_25lookback_scan_determinismE0ELb0ENS0_26wrapped_scan_by_key_configINS_14default_configEi12hip_bfloat16EEPiN6hipcub22TransformInputIteratorIS5_NS8_6CastOpIS5_EEPS5_lEESC_S5_NS8_8EqualityENS8_3MaxENS0_19lookback_scan_stateINS_5tupleIJS5_bEEELb1ELb1EEES5_EEvT2_T3_T4_T5_T6_T7_T8_mmmPKNSH_IJT9_bEEE,comdat
	.protected	_ZN7rocprim6detail25device_scan_by_key_kernelILNS0_25lookback_scan_determinismE0ELb0ENS0_26wrapped_scan_by_key_configINS_14default_configEi12hip_bfloat16EEPiN6hipcub22TransformInputIteratorIS5_NS8_6CastOpIS5_EEPS5_lEESC_S5_NS8_8EqualityENS8_3MaxENS0_19lookback_scan_stateINS_5tupleIJS5_bEEELb1ELb1EEES5_EEvT2_T3_T4_T5_T6_T7_T8_mmmPKNSH_IJT9_bEEE ; -- Begin function _ZN7rocprim6detail25device_scan_by_key_kernelILNS0_25lookback_scan_determinismE0ELb0ENS0_26wrapped_scan_by_key_configINS_14default_configEi12hip_bfloat16EEPiN6hipcub22TransformInputIteratorIS5_NS8_6CastOpIS5_EEPS5_lEESC_S5_NS8_8EqualityENS8_3MaxENS0_19lookback_scan_stateINS_5tupleIJS5_bEEELb1ELb1EEES5_EEvT2_T3_T4_T5_T6_T7_T8_mmmPKNSH_IJT9_bEEE
	.globl	_ZN7rocprim6detail25device_scan_by_key_kernelILNS0_25lookback_scan_determinismE0ELb0ENS0_26wrapped_scan_by_key_configINS_14default_configEi12hip_bfloat16EEPiN6hipcub22TransformInputIteratorIS5_NS8_6CastOpIS5_EEPS5_lEESC_S5_NS8_8EqualityENS8_3MaxENS0_19lookback_scan_stateINS_5tupleIJS5_bEEELb1ELb1EEES5_EEvT2_T3_T4_T5_T6_T7_T8_mmmPKNSH_IJT9_bEEE
	.p2align	8
	.type	_ZN7rocprim6detail25device_scan_by_key_kernelILNS0_25lookback_scan_determinismE0ELb0ENS0_26wrapped_scan_by_key_configINS_14default_configEi12hip_bfloat16EEPiN6hipcub22TransformInputIteratorIS5_NS8_6CastOpIS5_EEPS5_lEESC_S5_NS8_8EqualityENS8_3MaxENS0_19lookback_scan_stateINS_5tupleIJS5_bEEELb1ELb1EEES5_EEvT2_T3_T4_T5_T6_T7_T8_mmmPKNSH_IJT9_bEEE,@function
_ZN7rocprim6detail25device_scan_by_key_kernelILNS0_25lookback_scan_determinismE0ELb0ENS0_26wrapped_scan_by_key_configINS_14default_configEi12hip_bfloat16EEPiN6hipcub22TransformInputIteratorIS5_NS8_6CastOpIS5_EEPS5_lEESC_S5_NS8_8EqualityENS8_3MaxENS0_19lookback_scan_stateINS_5tupleIJS5_bEEELb1ELb1EEES5_EEvT2_T3_T4_T5_T6_T7_T8_mmmPKNSH_IJT9_bEEE: ; @_ZN7rocprim6detail25device_scan_by_key_kernelILNS0_25lookback_scan_determinismE0ELb0ENS0_26wrapped_scan_by_key_configINS_14default_configEi12hip_bfloat16EEPiN6hipcub22TransformInputIteratorIS5_NS8_6CastOpIS5_EEPS5_lEESC_S5_NS8_8EqualityENS8_3MaxENS0_19lookback_scan_stateINS_5tupleIJS5_bEEELb1ELb1EEES5_EEvT2_T3_T4_T5_T6_T7_T8_mmmPKNSH_IJT9_bEEE
; %bb.0:
	s_endpgm
	.section	.rodata,"a",@progbits
	.p2align	6, 0x0
	.amdhsa_kernel _ZN7rocprim6detail25device_scan_by_key_kernelILNS0_25lookback_scan_determinismE0ELb0ENS0_26wrapped_scan_by_key_configINS_14default_configEi12hip_bfloat16EEPiN6hipcub22TransformInputIteratorIS5_NS8_6CastOpIS5_EEPS5_lEESC_S5_NS8_8EqualityENS8_3MaxENS0_19lookback_scan_stateINS_5tupleIJS5_bEEELb1ELb1EEES5_EEvT2_T3_T4_T5_T6_T7_T8_mmmPKNSH_IJT9_bEEE
		.amdhsa_group_segment_fixed_size 0
		.amdhsa_private_segment_fixed_size 0
		.amdhsa_kernarg_size 80
		.amdhsa_user_sgpr_count 15
		.amdhsa_user_sgpr_dispatch_ptr 0
		.amdhsa_user_sgpr_queue_ptr 0
		.amdhsa_user_sgpr_kernarg_segment_ptr 1
		.amdhsa_user_sgpr_dispatch_id 0
		.amdhsa_user_sgpr_private_segment_size 0
		.amdhsa_wavefront_size32 1
		.amdhsa_uses_dynamic_stack 0
		.amdhsa_enable_private_segment 0
		.amdhsa_system_sgpr_workgroup_id_x 1
		.amdhsa_system_sgpr_workgroup_id_y 0
		.amdhsa_system_sgpr_workgroup_id_z 0
		.amdhsa_system_sgpr_workgroup_info 0
		.amdhsa_system_vgpr_workitem_id 0
		.amdhsa_next_free_vgpr 1
		.amdhsa_next_free_sgpr 1
		.amdhsa_reserve_vcc 0
		.amdhsa_float_round_mode_32 0
		.amdhsa_float_round_mode_16_64 0
		.amdhsa_float_denorm_mode_32 3
		.amdhsa_float_denorm_mode_16_64 3
		.amdhsa_dx10_clamp 1
		.amdhsa_ieee_mode 1
		.amdhsa_fp16_overflow 0
		.amdhsa_workgroup_processor_mode 1
		.amdhsa_memory_ordered 1
		.amdhsa_forward_progress 0
		.amdhsa_shared_vgpr_count 0
		.amdhsa_exception_fp_ieee_invalid_op 0
		.amdhsa_exception_fp_denorm_src 0
		.amdhsa_exception_fp_ieee_div_zero 0
		.amdhsa_exception_fp_ieee_overflow 0
		.amdhsa_exception_fp_ieee_underflow 0
		.amdhsa_exception_fp_ieee_inexact 0
		.amdhsa_exception_int_div_zero 0
	.end_amdhsa_kernel
	.section	.text._ZN7rocprim6detail25device_scan_by_key_kernelILNS0_25lookback_scan_determinismE0ELb0ENS0_26wrapped_scan_by_key_configINS_14default_configEi12hip_bfloat16EEPiN6hipcub22TransformInputIteratorIS5_NS8_6CastOpIS5_EEPS5_lEESC_S5_NS8_8EqualityENS8_3MaxENS0_19lookback_scan_stateINS_5tupleIJS5_bEEELb1ELb1EEES5_EEvT2_T3_T4_T5_T6_T7_T8_mmmPKNSH_IJT9_bEEE,"axG",@progbits,_ZN7rocprim6detail25device_scan_by_key_kernelILNS0_25lookback_scan_determinismE0ELb0ENS0_26wrapped_scan_by_key_configINS_14default_configEi12hip_bfloat16EEPiN6hipcub22TransformInputIteratorIS5_NS8_6CastOpIS5_EEPS5_lEESC_S5_NS8_8EqualityENS8_3MaxENS0_19lookback_scan_stateINS_5tupleIJS5_bEEELb1ELb1EEES5_EEvT2_T3_T4_T5_T6_T7_T8_mmmPKNSH_IJT9_bEEE,comdat
.Lfunc_end53:
	.size	_ZN7rocprim6detail25device_scan_by_key_kernelILNS0_25lookback_scan_determinismE0ELb0ENS0_26wrapped_scan_by_key_configINS_14default_configEi12hip_bfloat16EEPiN6hipcub22TransformInputIteratorIS5_NS8_6CastOpIS5_EEPS5_lEESC_S5_NS8_8EqualityENS8_3MaxENS0_19lookback_scan_stateINS_5tupleIJS5_bEEELb1ELb1EEES5_EEvT2_T3_T4_T5_T6_T7_T8_mmmPKNSH_IJT9_bEEE, .Lfunc_end53-_ZN7rocprim6detail25device_scan_by_key_kernelILNS0_25lookback_scan_determinismE0ELb0ENS0_26wrapped_scan_by_key_configINS_14default_configEi12hip_bfloat16EEPiN6hipcub22TransformInputIteratorIS5_NS8_6CastOpIS5_EEPS5_lEESC_S5_NS8_8EqualityENS8_3MaxENS0_19lookback_scan_stateINS_5tupleIJS5_bEEELb1ELb1EEES5_EEvT2_T3_T4_T5_T6_T7_T8_mmmPKNSH_IJT9_bEEE
                                        ; -- End function
	.section	.AMDGPU.csdata,"",@progbits
; Kernel info:
; codeLenInByte = 4
; NumSgprs: 0
; NumVgprs: 0
; ScratchSize: 0
; MemoryBound: 0
; FloatMode: 240
; IeeeMode: 1
; LDSByteSize: 0 bytes/workgroup (compile time only)
; SGPRBlocks: 0
; VGPRBlocks: 0
; NumSGPRsForWavesPerEU: 1
; NumVGPRsForWavesPerEU: 1
; Occupancy: 16
; WaveLimiterHint : 0
; COMPUTE_PGM_RSRC2:SCRATCH_EN: 0
; COMPUTE_PGM_RSRC2:USER_SGPR: 15
; COMPUTE_PGM_RSRC2:TRAP_HANDLER: 0
; COMPUTE_PGM_RSRC2:TGID_X_EN: 1
; COMPUTE_PGM_RSRC2:TGID_Y_EN: 0
; COMPUTE_PGM_RSRC2:TGID_Z_EN: 0
; COMPUTE_PGM_RSRC2:TIDIG_COMP_CNT: 0
	.section	.text._ZN7rocprim6detail25device_scan_by_key_kernelILNS0_25lookback_scan_determinismE0ELb0ENS0_26wrapped_scan_by_key_configINS_14default_configEi12hip_bfloat16EEPiN6hipcub22TransformInputIteratorIS5_NS8_6CastOpIS5_EEPS5_lEESC_S5_NS8_8EqualityENS8_3MaxENS0_19lookback_scan_stateINS_5tupleIJS5_bEEELb0ELb1EEES5_EEvT2_T3_T4_T5_T6_T7_T8_mmmPKNSH_IJT9_bEEE,"axG",@progbits,_ZN7rocprim6detail25device_scan_by_key_kernelILNS0_25lookback_scan_determinismE0ELb0ENS0_26wrapped_scan_by_key_configINS_14default_configEi12hip_bfloat16EEPiN6hipcub22TransformInputIteratorIS5_NS8_6CastOpIS5_EEPS5_lEESC_S5_NS8_8EqualityENS8_3MaxENS0_19lookback_scan_stateINS_5tupleIJS5_bEEELb0ELb1EEES5_EEvT2_T3_T4_T5_T6_T7_T8_mmmPKNSH_IJT9_bEEE,comdat
	.protected	_ZN7rocprim6detail25device_scan_by_key_kernelILNS0_25lookback_scan_determinismE0ELb0ENS0_26wrapped_scan_by_key_configINS_14default_configEi12hip_bfloat16EEPiN6hipcub22TransformInputIteratorIS5_NS8_6CastOpIS5_EEPS5_lEESC_S5_NS8_8EqualityENS8_3MaxENS0_19lookback_scan_stateINS_5tupleIJS5_bEEELb0ELb1EEES5_EEvT2_T3_T4_T5_T6_T7_T8_mmmPKNSH_IJT9_bEEE ; -- Begin function _ZN7rocprim6detail25device_scan_by_key_kernelILNS0_25lookback_scan_determinismE0ELb0ENS0_26wrapped_scan_by_key_configINS_14default_configEi12hip_bfloat16EEPiN6hipcub22TransformInputIteratorIS5_NS8_6CastOpIS5_EEPS5_lEESC_S5_NS8_8EqualityENS8_3MaxENS0_19lookback_scan_stateINS_5tupleIJS5_bEEELb0ELb1EEES5_EEvT2_T3_T4_T5_T6_T7_T8_mmmPKNSH_IJT9_bEEE
	.globl	_ZN7rocprim6detail25device_scan_by_key_kernelILNS0_25lookback_scan_determinismE0ELb0ENS0_26wrapped_scan_by_key_configINS_14default_configEi12hip_bfloat16EEPiN6hipcub22TransformInputIteratorIS5_NS8_6CastOpIS5_EEPS5_lEESC_S5_NS8_8EqualityENS8_3MaxENS0_19lookback_scan_stateINS_5tupleIJS5_bEEELb0ELb1EEES5_EEvT2_T3_T4_T5_T6_T7_T8_mmmPKNSH_IJT9_bEEE
	.p2align	8
	.type	_ZN7rocprim6detail25device_scan_by_key_kernelILNS0_25lookback_scan_determinismE0ELb0ENS0_26wrapped_scan_by_key_configINS_14default_configEi12hip_bfloat16EEPiN6hipcub22TransformInputIteratorIS5_NS8_6CastOpIS5_EEPS5_lEESC_S5_NS8_8EqualityENS8_3MaxENS0_19lookback_scan_stateINS_5tupleIJS5_bEEELb0ELb1EEES5_EEvT2_T3_T4_T5_T6_T7_T8_mmmPKNSH_IJT9_bEEE,@function
_ZN7rocprim6detail25device_scan_by_key_kernelILNS0_25lookback_scan_determinismE0ELb0ENS0_26wrapped_scan_by_key_configINS_14default_configEi12hip_bfloat16EEPiN6hipcub22TransformInputIteratorIS5_NS8_6CastOpIS5_EEPS5_lEESC_S5_NS8_8EqualityENS8_3MaxENS0_19lookback_scan_stateINS_5tupleIJS5_bEEELb0ELb1EEES5_EEvT2_T3_T4_T5_T6_T7_T8_mmmPKNSH_IJT9_bEEE: ; @_ZN7rocprim6detail25device_scan_by_key_kernelILNS0_25lookback_scan_determinismE0ELb0ENS0_26wrapped_scan_by_key_configINS_14default_configEi12hip_bfloat16EEPiN6hipcub22TransformInputIteratorIS5_NS8_6CastOpIS5_EEPS5_lEESC_S5_NS8_8EqualityENS8_3MaxENS0_19lookback_scan_stateINS_5tupleIJS5_bEEELb0ELb1EEES5_EEvT2_T3_T4_T5_T6_T7_T8_mmmPKNSH_IJT9_bEEE
; %bb.0:
	s_clause 0x1
	s_load_b128 s[4:7], s[0:1], 0x0
	s_load_b256 s[36:43], s[0:1], 0x28
	s_mov_b32 s3, 0
	s_mul_i32 s2, s15, 0x580
	s_load_b64 s[30:31], s[0:1], 0x48
	s_lshl_b64 s[8:9], s[2:3], 2
	v_lshlrev_b32_e32 v48, 2, v0
	s_waitcnt lgkmcnt(0)
	s_add_u32 s34, s4, s8
	s_addc_u32 s35, s5, s9
	s_lshl_b64 s[28:29], s[2:3], 1
	s_delay_alu instid0(SALU_CYCLE_1)
	s_add_u32 s26, s6, s28
	s_addc_u32 s27, s7, s29
	s_add_u32 s4, s15, s40
	s_addc_u32 s5, 0, s41
	s_add_u32 s6, s42, -1
	s_addc_u32 s7, s43, -1
	s_mul_i32 s33, s6, 0xfffffa80
	v_cmp_ge_u64_e64 s39, s[4:5], s[6:7]
	s_delay_alu instid0(VALU_DEP_1)
	s_and_b32 vcc_lo, exec_lo, s39
	s_cbranch_vccz .LBB54_114
; %bb.1:
	s_load_b32 s24, s[34:35], 0x0
	s_add_i32 s25, s33, s38
	v_add_co_u32 v1, s2, s34, v48
	s_delay_alu instid0(VALU_DEP_1)
	v_add_co_ci_u32_e64 v2, null, s35, 0, s2
	v_cmp_gt_u32_e32 vcc_lo, s25, v0
	s_waitcnt lgkmcnt(0)
	v_mov_b32_e32 v3, s24
	s_and_saveexec_b32 s2, vcc_lo
	s_cbranch_execz .LBB54_3
; %bb.2:
	global_load_b32 v3, v[1:2], off
.LBB54_3:
	s_or_b32 exec_lo, exec_lo, s2
	v_or_b32_e32 v4, 64, v0
	s_delay_alu instid0(VALU_DEP_1) | instskip(SKIP_1) | instid1(VALU_DEP_2)
	v_cmp_gt_u32_e64 s2, s25, v4
	v_mov_b32_e32 v4, s24
	s_and_saveexec_b32 s3, s2
	s_cbranch_execz .LBB54_5
; %bb.4:
	global_load_b32 v4, v[1:2], off offset:256
.LBB54_5:
	s_or_b32 exec_lo, exec_lo, s3
	v_or_b32_e32 v5, 0x80, v0
	s_delay_alu instid0(VALU_DEP_1) | instskip(SKIP_1) | instid1(VALU_DEP_2)
	v_cmp_gt_u32_e64 s3, s25, v5
	v_mov_b32_e32 v5, s24
	s_and_saveexec_b32 s4, s3
	s_cbranch_execz .LBB54_7
; %bb.6:
	global_load_b32 v5, v[1:2], off offset:512
.LBB54_7:
	;; [unrolled: 10-line block ×15, first 2 shown]
	s_or_b32 exec_lo, exec_lo, s18
	v_or_b32_e32 v19, 0x400, v0
	s_delay_alu instid0(VALU_DEP_1) | instskip(SKIP_1) | instid1(VALU_DEP_2)
	v_cmp_gt_u32_e64 s18, s25, v19
	v_mov_b32_e32 v19, s24
	s_and_saveexec_b32 s20, s18
	s_cbranch_execz .LBB54_35
; %bb.34:
	v_add_co_u32 v19, s19, 0x1000, v1
	s_delay_alu instid0(VALU_DEP_1)
	v_add_co_ci_u32_e64 v20, s19, 0, v2, s19
	global_load_b32 v19, v[19:20], off
.LBB54_35:
	s_or_b32 exec_lo, exec_lo, s20
	v_or_b32_e32 v20, 0x440, v0
	s_delay_alu instid0(VALU_DEP_1) | instskip(SKIP_1) | instid1(VALU_DEP_2)
	v_cmp_gt_u32_e64 s19, s25, v20
	v_mov_b32_e32 v20, s24
	s_and_saveexec_b32 s21, s19
	s_cbranch_execz .LBB54_37
; %bb.36:
	v_add_co_u32 v20, s20, 0x1000, v1
	s_delay_alu instid0(VALU_DEP_1)
	v_add_co_ci_u32_e64 v21, s20, 0, v2, s20
	global_load_b32 v20, v[20:21], off offset:256
.LBB54_37:
	s_or_b32 exec_lo, exec_lo, s21
	v_or_b32_e32 v21, 0x480, v0
	s_delay_alu instid0(VALU_DEP_1) | instskip(SKIP_1) | instid1(VALU_DEP_2)
	v_cmp_gt_u32_e64 s20, s25, v21
	v_mov_b32_e32 v21, s24
	s_and_saveexec_b32 s22, s20
	s_cbranch_execz .LBB54_39
; %bb.38:
	v_add_co_u32 v21, s21, 0x1000, v1
	s_delay_alu instid0(VALU_DEP_1)
	v_add_co_ci_u32_e64 v22, s21, 0, v2, s21
	global_load_b32 v21, v[21:22], off offset:512
.LBB54_39:
	;; [unrolled: 13-line block ×5, first 2 shown]
	s_or_b32 exec_lo, exec_lo, s42
	s_sub_u32 s42, 0, s15
	s_subb_u32 s43, 0, 0
	s_waitcnt vmcnt(0)
	ds_store_2addr_stride64_b32 v48, v3, v4 offset1:1
	ds_store_2addr_stride64_b32 v48, v5, v6 offset0:2 offset1:3
	ds_store_2addr_stride64_b32 v48, v7, v8 offset0:4 offset1:5
	;; [unrolled: 1-line block ×10, first 2 shown]
	s_cmp_eq_u64 s[42:43], s[40:41]
	s_waitcnt lgkmcnt(0)
	s_cselect_b32 s24, 0, -4
	s_cselect_b32 s43, 0, -1
	s_add_u32 s42, s34, s24
	s_addc_u32 s43, s35, s43
	s_barrier
	buffer_gl0_inv
	s_load_b32 s42, s[42:43], 0x0
	v_mad_u32_u24 v21, 0x54, v0, v48
	ds_load_2addr_b64 v[1:4], v21 offset0:8 offset1:9
	ds_load_b64 v[25:26], v21 offset:80
	ds_load_2addr_b64 v[17:20], v21 offset1:1
	ds_load_2addr_b64 v[13:16], v21 offset0:2 offset1:3
	ds_load_2addr_b64 v[9:12], v21 offset0:4 offset1:5
	;; [unrolled: 1-line block ×3, first 2 shown]
	v_mad_i32_i24 v24, 0xffffffac, v0, v21
	s_waitcnt lgkmcnt(0)
	v_mov_b32_e32 v23, s42
	s_mov_b32 s42, exec_lo
	ds_store_b32 v24, v26 offset:5632
	s_waitcnt lgkmcnt(0)
	s_barrier
	buffer_gl0_inv
	v_cmpx_ne_u32_e32 0, v0
	s_cbranch_execz .LBB54_47
; %bb.46:
	ds_load_b32 v23, v24 offset:5628
.LBB54_47:
	s_or_b32 exec_lo, exec_lo, s42
	v_lshlrev_b32_e32 v27, 1, v0
	s_waitcnt lgkmcnt(0)
	s_barrier
	buffer_gl0_inv
                                        ; implicit-def: $vgpr28
	v_add_co_u32 v21, s24, s26, v27
	s_delay_alu instid0(VALU_DEP_1)
	v_add_co_ci_u32_e64 v22, null, s27, 0, s24
	s_and_saveexec_b32 s24, vcc_lo
	s_cbranch_execz .LBB54_177
; %bb.48:
	global_load_u16 v28, v[21:22], off
	s_or_b32 exec_lo, exec_lo, s24
                                        ; implicit-def: $vgpr29
	s_and_saveexec_b32 s24, s2
	s_cbranch_execnz .LBB54_178
.LBB54_49:
	s_or_b32 exec_lo, exec_lo, s24
                                        ; implicit-def: $vgpr30
	s_and_saveexec_b32 s2, s3
	s_cbranch_execz .LBB54_179
.LBB54_50:
	global_load_u16 v30, v[21:22], off offset:256
	s_or_b32 exec_lo, exec_lo, s2
                                        ; implicit-def: $vgpr31
	s_and_saveexec_b32 s2, s4
	s_cbranch_execnz .LBB54_180
.LBB54_51:
	s_or_b32 exec_lo, exec_lo, s2
                                        ; implicit-def: $vgpr32
	s_and_saveexec_b32 s2, s5
	s_cbranch_execz .LBB54_181
.LBB54_52:
	global_load_u16 v32, v[21:22], off offset:512
	s_or_b32 exec_lo, exec_lo, s2
                                        ; implicit-def: $vgpr33
	s_and_saveexec_b32 s2, s6
	s_cbranch_execnz .LBB54_182
.LBB54_53:
	s_or_b32 exec_lo, exec_lo, s2
                                        ; implicit-def: $vgpr34
	s_and_saveexec_b32 s2, s7
	s_cbranch_execz .LBB54_183
.LBB54_54:
	global_load_u16 v34, v[21:22], off offset:768
	s_or_b32 exec_lo, exec_lo, s2
                                        ; implicit-def: $vgpr35
	s_and_saveexec_b32 s2, s8
	s_cbranch_execnz .LBB54_184
.LBB54_55:
	s_or_b32 exec_lo, exec_lo, s2
                                        ; implicit-def: $vgpr36
	s_and_saveexec_b32 s2, s9
	s_cbranch_execz .LBB54_185
.LBB54_56:
	global_load_u16 v36, v[21:22], off offset:1024
	s_or_b32 exec_lo, exec_lo, s2
                                        ; implicit-def: $vgpr37
	s_and_saveexec_b32 s2, s10
	s_cbranch_execnz .LBB54_186
.LBB54_57:
	s_or_b32 exec_lo, exec_lo, s2
                                        ; implicit-def: $vgpr38
	s_and_saveexec_b32 s2, s11
	s_cbranch_execz .LBB54_187
.LBB54_58:
	global_load_u16 v38, v[21:22], off offset:1280
	s_or_b32 exec_lo, exec_lo, s2
                                        ; implicit-def: $vgpr39
	s_and_saveexec_b32 s2, s12
	s_cbranch_execnz .LBB54_188
.LBB54_59:
	s_or_b32 exec_lo, exec_lo, s2
                                        ; implicit-def: $vgpr40
	s_and_saveexec_b32 s2, s13
	s_cbranch_execz .LBB54_189
.LBB54_60:
	global_load_u16 v40, v[21:22], off offset:1536
	s_or_b32 exec_lo, exec_lo, s2
                                        ; implicit-def: $vgpr41
	s_and_saveexec_b32 s2, s14
	s_cbranch_execnz .LBB54_190
.LBB54_61:
	s_or_b32 exec_lo, exec_lo, s2
                                        ; implicit-def: $vgpr42
	s_and_saveexec_b32 s2, s16
	s_cbranch_execz .LBB54_191
.LBB54_62:
	global_load_u16 v42, v[21:22], off offset:1792
	s_or_b32 exec_lo, exec_lo, s2
                                        ; implicit-def: $vgpr43
	s_and_saveexec_b32 s2, s17
	s_cbranch_execnz .LBB54_192
.LBB54_63:
	s_or_b32 exec_lo, exec_lo, s2
                                        ; implicit-def: $vgpr44
	s_and_saveexec_b32 s2, s18
	s_cbranch_execz .LBB54_193
.LBB54_64:
	global_load_u16 v44, v[21:22], off offset:2048
	s_or_b32 exec_lo, exec_lo, s2
                                        ; implicit-def: $vgpr45
	s_and_saveexec_b32 s2, s19
	s_cbranch_execnz .LBB54_194
.LBB54_65:
	s_or_b32 exec_lo, exec_lo, s2
                                        ; implicit-def: $vgpr46
	s_and_saveexec_b32 s2, s20
	s_cbranch_execz .LBB54_195
.LBB54_66:
	global_load_u16 v46, v[21:22], off offset:2304
	s_or_b32 exec_lo, exec_lo, s2
                                        ; implicit-def: $vgpr47
	s_and_saveexec_b32 s2, s21
	s_cbranch_execnz .LBB54_196
.LBB54_67:
	s_or_b32 exec_lo, exec_lo, s2
                                        ; implicit-def: $vgpr49
	s_and_saveexec_b32 s2, s22
	s_cbranch_execz .LBB54_69
.LBB54_68:
	global_load_u16 v49, v[21:22], off offset:2560
.LBB54_69:
	s_or_b32 exec_lo, exec_lo, s2
	v_mul_u32_u24_e32 v50, 22, v0
                                        ; implicit-def: $vgpr51
	s_and_saveexec_b32 s2, s23
	s_cbranch_execz .LBB54_71
; %bb.70:
	global_load_u16 v51, v[21:22], off offset:2688
.LBB54_71:
	s_or_b32 exec_lo, exec_lo, s2
	v_sub_nc_u32_e32 v21, v24, v27
	v_cmp_gt_u32_e32 vcc_lo, s25, v50
	v_mov_b32_e32 v27, 0
	s_mov_b32 s3, 0
	s_mov_b32 s4, 0
	s_waitcnt vmcnt(0)
	ds_store_b16 v21, v28
	ds_store_b16 v21, v29 offset:128
	ds_store_b16 v21, v30 offset:256
	;; [unrolled: 1-line block ×21, first 2 shown]
	v_dual_mov_b32 v28, 0 :: v_dual_mov_b32 v29, 0
	v_dual_mov_b32 v30, 0 :: v_dual_mov_b32 v31, 0
	;; [unrolled: 1-line block ×10, first 2 shown]
	s_waitcnt lgkmcnt(0)
	s_barrier
	buffer_gl0_inv
                                        ; implicit-def: $sgpr6
                                        ; implicit-def: $vgpr49
	s_and_saveexec_b32 s5, vcc_lo
	s_cbranch_execz .LBB54_113
; %bb.72:
	v_mad_u32_u24 v22, v0, 42, v21
	v_cmp_ne_u32_e32 vcc_lo, v23, v17
	v_or_b32_e32 v24, 1, v50
	v_dual_mov_b32 v28, 0 :: v_dual_mov_b32 v29, 0
	ds_load_u16 v22, v22
	v_cndmask_b32_e64 v23, 0, 1, vcc_lo
	v_dual_mov_b32 v30, 0 :: v_dual_mov_b32 v31, 0
	v_dual_mov_b32 v32, 0 :: v_dual_mov_b32 v33, 0
	;; [unrolled: 1-line block ×9, first 2 shown]
	s_waitcnt lgkmcnt(0)
	v_lshl_or_b32 v27, v23, 16, v22
	s_mov_b32 s7, 0
	s_mov_b32 s2, 0
	s_mov_b32 s3, exec_lo
                                        ; implicit-def: $sgpr6
                                        ; implicit-def: $vgpr49
	v_cmpx_gt_u32_e64 s25, v24
	s_cbranch_execz .LBB54_112
; %bb.73:
	v_mul_u32_u24_e32 v22, 42, v0
	v_cmp_ne_u32_e32 vcc_lo, v17, v18
	v_dual_mov_b32 v29, 0 :: v_dual_add_nc_u32 v28, 2, v50
	v_dual_mov_b32 v31, 0 :: v_dual_mov_b32 v32, 0
	s_delay_alu instid0(VALU_DEP_4)
	v_dual_mov_b32 v30, 0 :: v_dual_add_nc_u32 v51, v21, v22
	v_cndmask_b32_e64 v17, 0, 1, vcc_lo
	v_dual_mov_b32 v33, 0 :: v_dual_mov_b32 v34, 0
	ds_load_b128 v[21:24], v51 offset:2
	v_dual_mov_b32 v35, 0 :: v_dual_mov_b32 v36, 0
	v_dual_mov_b32 v37, 0 :: v_dual_mov_b32 v38, 0
	;; [unrolled: 1-line block ×5, first 2 shown]
	v_mov_b32_e32 v45, 0
	v_cmp_gt_u32_e32 vcc_lo, s25, v28
	s_mov_b32 s8, 0
                                        ; implicit-def: $sgpr7
                                        ; implicit-def: $vgpr49
	s_waitcnt lgkmcnt(0)
	v_dual_mov_b32 v46, 0 :: v_dual_and_b32 v47, 0xffff, v21
	s_delay_alu instid0(VALU_DEP_1)
	v_lshl_or_b32 v28, v17, 16, v47
	v_mov_b32_e32 v47, 0
	s_and_saveexec_b32 s6, vcc_lo
	s_cbranch_execz .LBB54_111
; %bb.74:
	v_cmp_ne_u32_e32 vcc_lo, v18, v19
	v_dual_mov_b32 v31, 0 :: v_dual_add_nc_u32 v18, 3, v50
	v_dual_mov_b32 v30, 0 :: v_dual_mov_b32 v33, 0
	v_cndmask_b32_e64 v17, 0, 1, vcc_lo
	s_delay_alu instid0(VALU_DEP_3) | instskip(SKIP_2) | instid1(VALU_DEP_4)
	v_cmp_gt_u32_e32 vcc_lo, s25, v18
	v_dual_mov_b32 v32, 0 :: v_dual_mov_b32 v35, 0
	v_dual_mov_b32 v34, 0 :: v_dual_mov_b32 v37, 0
	v_alignbit_b32 v29, v17, v21, 16
	v_dual_mov_b32 v36, 0 :: v_dual_mov_b32 v39, 0
	v_dual_mov_b32 v38, 0 :: v_dual_mov_b32 v41, 0
	;; [unrolled: 1-line block ×5, first 2 shown]
	v_mov_b32_e32 v46, 0
                                        ; implicit-def: $sgpr9
                                        ; implicit-def: $vgpr49
	s_and_saveexec_b32 s7, vcc_lo
	s_cbranch_execz .LBB54_110
; %bb.75:
	v_cmp_ne_u32_e32 vcc_lo, v19, v20
	v_dual_mov_b32 v32, 0 :: v_dual_and_b32 v17, 0xffff, v22
	v_dual_mov_b32 v34, 0 :: v_dual_add_nc_u32 v19, 4, v50
	v_cndmask_b32_e64 v18, 0, 1, vcc_lo
	v_dual_mov_b32 v31, 0 :: v_dual_mov_b32 v36, 0
	s_delay_alu instid0(VALU_DEP_3) | instskip(SKIP_1) | instid1(VALU_DEP_4)
	v_cmp_gt_u32_e32 vcc_lo, s25, v19
	v_dual_mov_b32 v33, 0 :: v_dual_mov_b32 v38, 0
	v_lshl_or_b32 v30, v18, 16, v17
	v_dual_mov_b32 v35, 0 :: v_dual_mov_b32 v40, 0
	v_dual_mov_b32 v37, 0 :: v_dual_mov_b32 v42, 0
	;; [unrolled: 1-line block ×4, first 2 shown]
	v_mov_b32_e32 v43, 0
	v_mov_b32_e32 v45, 0
	;; [unrolled: 1-line block ×3, first 2 shown]
	s_mov_b32 s10, 0
                                        ; implicit-def: $sgpr9
                                        ; implicit-def: $vgpr49
	s_and_saveexec_b32 s8, vcc_lo
	s_cbranch_execz .LBB54_109
; %bb.76:
	v_cmp_ne_u32_e32 vcc_lo, v20, v13
	v_dual_mov_b32 v33, 0 :: v_dual_add_nc_u32 v18, 5, v50
	v_dual_mov_b32 v32, 0 :: v_dual_mov_b32 v35, 0
	v_cndmask_b32_e64 v17, 0, 1, vcc_lo
	v_dual_mov_b32 v34, 0 :: v_dual_mov_b32 v37, 0
	v_dual_mov_b32 v36, 0 :: v_dual_mov_b32 v39, 0
	s_delay_alu instid0(VALU_DEP_3)
	v_alignbit_b32 v31, v17, v22, 16
	v_dual_mov_b32 v38, 0 :: v_dual_mov_b32 v41, 0
	v_dual_mov_b32 v40, 0 :: v_dual_mov_b32 v43, 0
	;; [unrolled: 1-line block ×4, first 2 shown]
	v_mov_b32_e32 v46, 0
	s_mov_b32 s9, exec_lo
                                        ; implicit-def: $sgpr11
                                        ; implicit-def: $vgpr49
	v_cmpx_gt_u32_e64 s25, v18
	s_cbranch_execz .LBB54_108
; %bb.77:
	v_cmp_ne_u32_e32 vcc_lo, v13, v14
	v_dual_mov_b32 v34, 0 :: v_dual_and_b32 v17, 0xffff, v23
	v_dual_mov_b32 v33, 0 :: v_dual_add_nc_u32 v18, 6, v50
	v_cndmask_b32_e64 v13, 0, 1, vcc_lo
	v_dual_mov_b32 v35, 0 :: v_dual_mov_b32 v36, 0
	v_dual_mov_b32 v37, 0 :: v_dual_mov_b32 v38, 0
	s_delay_alu instid0(VALU_DEP_3)
	v_lshl_or_b32 v32, v13, 16, v17
	v_dual_mov_b32 v39, 0 :: v_dual_mov_b32 v40, 0
	v_dual_mov_b32 v41, 0 :: v_dual_mov_b32 v42, 0
	;; [unrolled: 1-line block ×4, first 2 shown]
	v_mov_b32_e32 v47, 0
	s_mov_b32 s12, 0
	s_mov_b32 s10, exec_lo
                                        ; implicit-def: $sgpr11
                                        ; implicit-def: $vgpr49
	v_cmpx_gt_u32_e64 s25, v18
	s_cbranch_execz .LBB54_107
; %bb.78:
	v_cmp_ne_u32_e32 vcc_lo, v14, v15
	v_dual_mov_b32 v35, 0 :: v_dual_add_nc_u32 v14, 7, v50
	v_dual_mov_b32 v34, 0 :: v_dual_mov_b32 v37, 0
	v_cndmask_b32_e64 v13, 0, 1, vcc_lo
	v_dual_mov_b32 v36, 0 :: v_dual_mov_b32 v39, 0
	v_dual_mov_b32 v38, 0 :: v_dual_mov_b32 v41, 0
	s_delay_alu instid0(VALU_DEP_3)
	v_alignbit_b32 v33, v13, v23, 16
	v_dual_mov_b32 v40, 0 :: v_dual_mov_b32 v43, 0
	v_dual_mov_b32 v42, 0 :: v_dual_mov_b32 v45, 0
	;; [unrolled: 1-line block ×3, first 2 shown]
	v_mov_b32_e32 v46, 0
	s_mov_b32 s11, exec_lo
                                        ; implicit-def: $sgpr13
                                        ; implicit-def: $vgpr49
	v_cmpx_gt_u32_e64 s25, v14
	s_cbranch_execz .LBB54_106
; %bb.79:
	v_cmp_ne_u32_e32 vcc_lo, v15, v16
	v_dual_mov_b32 v36, 0 :: v_dual_and_b32 v13, 0xffff, v24
	v_dual_mov_b32 v38, 0 :: v_dual_add_nc_u32 v15, 8, v50
	v_cndmask_b32_e64 v14, 0, 1, vcc_lo
	v_dual_mov_b32 v35, 0 :: v_dual_mov_b32 v40, 0
	v_dual_mov_b32 v37, 0 :: v_dual_mov_b32 v42, 0
	s_delay_alu instid0(VALU_DEP_3)
	v_lshl_or_b32 v34, v14, 16, v13
	v_dual_mov_b32 v39, 0 :: v_dual_mov_b32 v44, 0
	v_dual_mov_b32 v41, 0 :: v_dual_mov_b32 v46, 0
	v_mov_b32_e32 v43, 0
	v_mov_b32_e32 v45, 0
	;; [unrolled: 1-line block ×3, first 2 shown]
	s_mov_b32 s14, 0
	s_mov_b32 s12, exec_lo
                                        ; implicit-def: $sgpr13
                                        ; implicit-def: $vgpr49
	v_cmpx_gt_u32_e64 s25, v15
	s_cbranch_execz .LBB54_105
; %bb.80:
	v_cmp_ne_u32_e32 vcc_lo, v16, v9
	v_dual_mov_b32 v37, 0 :: v_dual_add_nc_u32 v14, 9, v50
	v_dual_mov_b32 v36, 0 :: v_dual_mov_b32 v39, 0
	v_cndmask_b32_e64 v13, 0, 1, vcc_lo
	v_dual_mov_b32 v38, 0 :: v_dual_mov_b32 v41, 0
	v_dual_mov_b32 v40, 0 :: v_dual_mov_b32 v43, 0
	s_delay_alu instid0(VALU_DEP_3)
	v_alignbit_b32 v35, v13, v24, 16
	v_dual_mov_b32 v42, 0 :: v_dual_mov_b32 v45, 0
	v_dual_mov_b32 v44, 0 :: v_dual_mov_b32 v47, 0
	v_mov_b32_e32 v46, 0
	s_mov_b32 s13, exec_lo
                                        ; implicit-def: $sgpr16
                                        ; implicit-def: $vgpr49
	v_cmpx_gt_u32_e64 s25, v14
	s_cbranch_execz .LBB54_104
; %bb.81:
	ds_load_b128 v[13:16], v51 offset:18
	v_cmp_ne_u32_e32 vcc_lo, v9, v10
	v_mov_b32_e32 v41, 0
	v_dual_mov_b32 v38, 0 :: v_dual_add_nc_u32 v17, 10, v50
	v_dual_mov_b32 v37, 0 :: v_dual_mov_b32 v40, 0
	v_cndmask_b32_e64 v9, 0, 1, vcc_lo
	v_dual_mov_b32 v39, 0 :: v_dual_mov_b32 v42, 0
	v_dual_mov_b32 v43, 0 :: v_dual_mov_b32 v44, 0
	;; [unrolled: 1-line block ×3, first 2 shown]
	v_mov_b32_e32 v47, 0
	s_mov_b32 s17, 0
	s_mov_b32 s14, exec_lo
                                        ; implicit-def: $sgpr16
                                        ; implicit-def: $vgpr49
	s_waitcnt lgkmcnt(0)
	v_and_b32_e32 v18, 0xffff, v13
	s_delay_alu instid0(VALU_DEP_1)
	v_lshl_or_b32 v36, v9, 16, v18
	v_cmpx_gt_u32_e64 s25, v17
	s_cbranch_execz .LBB54_103
; %bb.82:
	v_cmp_ne_u32_e32 vcc_lo, v10, v11
	v_dual_mov_b32 v39, 0 :: v_dual_add_nc_u32 v10, 11, v50
	v_dual_mov_b32 v38, 0 :: v_dual_mov_b32 v41, 0
	v_cndmask_b32_e64 v9, 0, 1, vcc_lo
	v_dual_mov_b32 v40, 0 :: v_dual_mov_b32 v43, 0
	v_dual_mov_b32 v42, 0 :: v_dual_mov_b32 v45, 0
	s_delay_alu instid0(VALU_DEP_3)
	v_alignbit_b32 v37, v9, v13, 16
	v_dual_mov_b32 v44, 0 :: v_dual_mov_b32 v47, 0
	v_mov_b32_e32 v46, 0
	s_mov_b32 s16, exec_lo
                                        ; implicit-def: $sgpr18
                                        ; implicit-def: $vgpr49
	v_cmpx_gt_u32_e64 s25, v10
	s_cbranch_execz .LBB54_102
; %bb.83:
	v_cmp_ne_u32_e32 vcc_lo, v11, v12
	v_dual_mov_b32 v40, 0 :: v_dual_and_b32 v9, 0xffff, v14
	v_dual_mov_b32 v42, 0 :: v_dual_add_nc_u32 v11, 12, v50
	v_cndmask_b32_e64 v10, 0, 1, vcc_lo
	v_dual_mov_b32 v39, 0 :: v_dual_mov_b32 v44, 0
	v_dual_mov_b32 v41, 0 :: v_dual_mov_b32 v46, 0
	s_delay_alu instid0(VALU_DEP_3)
	v_lshl_or_b32 v38, v10, 16, v9
	v_mov_b32_e32 v43, 0
	v_mov_b32_e32 v45, 0
	;; [unrolled: 1-line block ×3, first 2 shown]
	s_mov_b32 s19, 0
	s_mov_b32 s17, exec_lo
                                        ; implicit-def: $sgpr18
                                        ; implicit-def: $vgpr49
	v_cmpx_gt_u32_e64 s25, v11
	s_cbranch_execz .LBB54_101
; %bb.84:
	v_cmp_ne_u32_e32 vcc_lo, v12, v5
	v_dual_mov_b32 v41, 0 :: v_dual_add_nc_u32 v10, 13, v50
	v_dual_mov_b32 v40, 0 :: v_dual_mov_b32 v43, 0
	v_cndmask_b32_e64 v9, 0, 1, vcc_lo
	v_dual_mov_b32 v42, 0 :: v_dual_mov_b32 v45, 0
	v_dual_mov_b32 v44, 0 :: v_dual_mov_b32 v47, 0
	s_delay_alu instid0(VALU_DEP_3)
	v_alignbit_b32 v39, v9, v14, 16
	v_mov_b32_e32 v46, 0
	s_mov_b32 s18, exec_lo
                                        ; implicit-def: $sgpr20
                                        ; implicit-def: $vgpr49
	v_cmpx_gt_u32_e64 s25, v10
	s_cbranch_execz .LBB54_100
; %bb.85:
	v_cmp_ne_u32_e32 vcc_lo, v5, v6
	v_dual_mov_b32 v42, 0 :: v_dual_and_b32 v9, 0xffff, v15
	v_dual_mov_b32 v41, 0 :: v_dual_add_nc_u32 v10, 14, v50
	v_cndmask_b32_e64 v5, 0, 1, vcc_lo
	v_dual_mov_b32 v43, 0 :: v_dual_mov_b32 v44, 0
	v_dual_mov_b32 v45, 0 :: v_dual_mov_b32 v46, 0
	s_delay_alu instid0(VALU_DEP_3)
	v_lshl_or_b32 v40, v5, 16, v9
	v_mov_b32_e32 v47, 0
	s_mov_b32 s21, 0
	s_mov_b32 s19, exec_lo
                                        ; implicit-def: $sgpr20
                                        ; implicit-def: $vgpr49
	v_cmpx_gt_u32_e64 s25, v10
	s_cbranch_execz .LBB54_99
; %bb.86:
	v_cmp_ne_u32_e32 vcc_lo, v6, v7
	v_dual_mov_b32 v43, 0 :: v_dual_add_nc_u32 v6, 15, v50
	v_dual_mov_b32 v42, 0 :: v_dual_mov_b32 v45, 0
	v_cndmask_b32_e64 v5, 0, 1, vcc_lo
	v_dual_mov_b32 v44, 0 :: v_dual_mov_b32 v47, 0
	v_mov_b32_e32 v46, 0
	s_mov_b32 s20, exec_lo
	s_delay_alu instid0(VALU_DEP_3)
	v_alignbit_b32 v41, v5, v15, 16
                                        ; implicit-def: $sgpr22
                                        ; implicit-def: $vgpr49
	v_cmpx_gt_u32_e64 s25, v6
	s_cbranch_execz .LBB54_98
; %bb.87:
	v_cmp_ne_u32_e32 vcc_lo, v7, v8
	v_dual_mov_b32 v44, 0 :: v_dual_and_b32 v5, 0xffff, v16
	v_dual_mov_b32 v46, 0 :: v_dual_add_nc_u32 v7, 16, v50
	v_cndmask_b32_e64 v6, 0, 1, vcc_lo
	v_mov_b32_e32 v43, 0
	v_mov_b32_e32 v45, 0
	;; [unrolled: 1-line block ×3, first 2 shown]
	s_mov_b32 s23, 0
	v_lshl_or_b32 v42, v6, 16, v5
	s_mov_b32 s21, exec_lo
                                        ; implicit-def: $sgpr22
                                        ; implicit-def: $vgpr49
	v_cmpx_gt_u32_e64 s25, v7
	s_cbranch_execz .LBB54_97
; %bb.88:
	v_cmp_ne_u32_e32 vcc_lo, v8, v1
	v_dual_mov_b32 v45, 0 :: v_dual_add_nc_u32 v6, 17, v50
	v_dual_mov_b32 v44, 0 :: v_dual_mov_b32 v47, 0
	v_cndmask_b32_e64 v5, 0, 1, vcc_lo
	v_mov_b32_e32 v46, 0
	s_mov_b32 s22, exec_lo
                                        ; implicit-def: $sgpr24
                                        ; implicit-def: $vgpr49
	s_delay_alu instid0(VALU_DEP_2)
	v_alignbit_b32 v43, v5, v16, 16
	v_cmpx_gt_u32_e64 s25, v6
	s_cbranch_execz .LBB54_96
; %bb.89:
	ds_load_b64 v[5:6], v51 offset:34
	v_cmp_ne_u32_e32 vcc_lo, v1, v2
	v_dual_mov_b32 v46, 0 :: v_dual_add_nc_u32 v7, 18, v50
	v_mov_b32_e32 v47, 0
	s_mov_b32 s42, 0
	v_cndmask_b32_e64 v1, 0, 1, vcc_lo
	s_mov_b32 s23, exec_lo
                                        ; implicit-def: $sgpr24
                                        ; implicit-def: $vgpr49
	s_waitcnt lgkmcnt(0)
	v_dual_mov_b32 v45, 0 :: v_dual_and_b32 v8, 0xffff, v5
	s_delay_alu instid0(VALU_DEP_1)
	v_lshl_or_b32 v44, v1, 16, v8
	v_cmpx_gt_u32_e64 s25, v7
	s_cbranch_execz .LBB54_95
; %bb.90:
	v_cmp_ne_u32_e32 vcc_lo, v2, v3
	v_dual_mov_b32 v47, 0 :: v_dual_add_nc_u32 v2, 19, v50
	v_mov_b32_e32 v46, 0
	s_mov_b32 s24, exec_lo
	v_cndmask_b32_e64 v1, 0, 1, vcc_lo
                                        ; implicit-def: $sgpr43
                                        ; implicit-def: $vgpr49
	s_delay_alu instid0(VALU_DEP_1)
	v_alignbit_b32 v45, v1, v5, 16
	v_cmpx_gt_u32_e64 s25, v2
	s_cbranch_execz .LBB54_94
; %bb.91:
	v_cmp_ne_u32_e32 vcc_lo, v3, v4
	v_and_b32_e32 v1, 0xffff, v6
	v_add_nc_u32_e32 v3, 20, v50
	v_mov_b32_e32 v47, 0
	s_mov_b32 s43, exec_lo
	v_cndmask_b32_e64 v2, 0, 1, vcc_lo
                                        ; implicit-def: $sgpr42
                                        ; implicit-def: $vgpr49
	s_delay_alu instid0(VALU_DEP_1)
	v_lshl_or_b32 v46, v2, 16, v1
	v_cmpx_gt_u32_e64 s25, v3
	s_xor_b32 s43, exec_lo, s43
	s_cbranch_execz .LBB54_93
; %bb.92:
	ds_load_u16 v49, v51 offset:42
	v_cmp_ne_u32_e32 vcc_lo, v4, v25
	v_add_nc_u32_e32 v1, 21, v50
	v_cndmask_b32_e64 v2, 0, 1, vcc_lo
	v_cmp_ne_u32_e32 vcc_lo, v25, v26
	s_delay_alu instid0(VALU_DEP_3) | instskip(NEXT) | instid1(VALU_DEP_3)
	v_cmp_gt_u32_e64 s2, s25, v1
	v_alignbit_b32 v47, v2, v6, 16
	s_and_b32 s42, vcc_lo, exec_lo
	s_delay_alu instid0(VALU_DEP_2)
	s_and_b32 s2, s2, exec_lo
.LBB54_93:
	s_or_b32 exec_lo, exec_lo, s43
	s_delay_alu instid0(SALU_CYCLE_1)
	s_and_b32 s43, s42, exec_lo
	s_and_b32 s42, s2, exec_lo
.LBB54_94:
	s_or_b32 exec_lo, exec_lo, s24
	s_delay_alu instid0(SALU_CYCLE_1)
	s_and_b32 s24, s43, exec_lo
	s_and_b32 s2, s42, exec_lo
.LBB54_95:
	s_or_b32 exec_lo, exec_lo, s23
	s_delay_alu instid0(SALU_CYCLE_1)
	s_and_b32 s24, s24, exec_lo
	s_and_b32 s23, s2, exec_lo
.LBB54_96:
	s_or_b32 exec_lo, exec_lo, s22
	s_delay_alu instid0(SALU_CYCLE_1)
	s_and_b32 s22, s24, exec_lo
	s_and_b32 s2, s23, exec_lo
.LBB54_97:
	s_or_b32 exec_lo, exec_lo, s21
	s_delay_alu instid0(SALU_CYCLE_1)
	s_and_b32 s22, s22, exec_lo
	s_and_b32 s21, s2, exec_lo
.LBB54_98:
	s_or_b32 exec_lo, exec_lo, s20
	s_delay_alu instid0(SALU_CYCLE_1)
	s_and_b32 s20, s22, exec_lo
	s_and_b32 s2, s21, exec_lo
.LBB54_99:
	s_or_b32 exec_lo, exec_lo, s19
	s_delay_alu instid0(SALU_CYCLE_1)
	s_and_b32 s20, s20, exec_lo
	s_and_b32 s19, s2, exec_lo
.LBB54_100:
	s_or_b32 exec_lo, exec_lo, s18
	s_delay_alu instid0(SALU_CYCLE_1)
	s_and_b32 s18, s20, exec_lo
	s_and_b32 s2, s19, exec_lo
.LBB54_101:
	s_or_b32 exec_lo, exec_lo, s17
	s_delay_alu instid0(SALU_CYCLE_1)
	s_and_b32 s18, s18, exec_lo
	s_and_b32 s17, s2, exec_lo
.LBB54_102:
	s_or_b32 exec_lo, exec_lo, s16
	s_delay_alu instid0(SALU_CYCLE_1)
	s_and_b32 s16, s18, exec_lo
	s_and_b32 s2, s17, exec_lo
.LBB54_103:
	s_or_b32 exec_lo, exec_lo, s14
	s_delay_alu instid0(SALU_CYCLE_1)
	s_and_b32 s16, s16, exec_lo
	s_and_b32 s14, s2, exec_lo
.LBB54_104:
	s_or_b32 exec_lo, exec_lo, s13
	s_delay_alu instid0(SALU_CYCLE_1)
	s_and_b32 s13, s16, exec_lo
	s_and_b32 s2, s14, exec_lo
.LBB54_105:
	s_or_b32 exec_lo, exec_lo, s12
	s_delay_alu instid0(SALU_CYCLE_1)
	s_and_b32 s13, s13, exec_lo
	s_and_b32 s12, s2, exec_lo
.LBB54_106:
	s_or_b32 exec_lo, exec_lo, s11
	s_delay_alu instid0(SALU_CYCLE_1)
	s_and_b32 s11, s13, exec_lo
	s_and_b32 s2, s12, exec_lo
.LBB54_107:
	s_or_b32 exec_lo, exec_lo, s10
	s_delay_alu instid0(SALU_CYCLE_1)
	s_and_b32 s11, s11, exec_lo
	s_and_b32 s10, s2, exec_lo
.LBB54_108:
	s_or_b32 exec_lo, exec_lo, s9
	s_delay_alu instid0(SALU_CYCLE_1)
	s_and_b32 s9, s11, exec_lo
	s_and_b32 s2, s10, exec_lo
.LBB54_109:
	s_or_b32 exec_lo, exec_lo, s8
	s_delay_alu instid0(SALU_CYCLE_1)
	s_and_b32 s9, s9, exec_lo
	s_and_b32 s8, s2, exec_lo
.LBB54_110:
	s_or_b32 exec_lo, exec_lo, s7
	s_delay_alu instid0(SALU_CYCLE_1)
	s_and_b32 s7, s9, exec_lo
	s_and_b32 s2, s8, exec_lo
.LBB54_111:
	s_or_b32 exec_lo, exec_lo, s6
	s_delay_alu instid0(SALU_CYCLE_1)
	s_and_b32 s6, s7, exec_lo
	s_and_b32 s7, s2, exec_lo
.LBB54_112:
	s_or_b32 exec_lo, exec_lo, s3
	s_delay_alu instid0(SALU_CYCLE_1)
	s_and_b32 s6, s6, exec_lo
	s_and_b32 s3, s7, exec_lo
.LBB54_113:
	s_or_b32 exec_lo, exec_lo, s5
	s_mov_b32 s5, 0
	v_cmp_ne_u32_e64 s2, 0, v0
	s_and_b32 vcc_lo, exec_lo, s4
	s_cbranch_vccnz .LBB54_115
	s_branch .LBB54_118
.LBB54_114:
                                        ; implicit-def: $sgpr6
                                        ; implicit-def: $vgpr49
                                        ; implicit-def: $vgpr27
                                        ; implicit-def: $vgpr28
                                        ; implicit-def: $vgpr29
                                        ; implicit-def: $vgpr30
                                        ; implicit-def: $vgpr31
                                        ; implicit-def: $vgpr32
                                        ; implicit-def: $vgpr33
                                        ; implicit-def: $vgpr34
                                        ; implicit-def: $vgpr35
                                        ; implicit-def: $vgpr36
                                        ; implicit-def: $vgpr37
                                        ; implicit-def: $vgpr38
                                        ; implicit-def: $vgpr39
                                        ; implicit-def: $vgpr40
                                        ; implicit-def: $vgpr41
                                        ; implicit-def: $vgpr42
                                        ; implicit-def: $vgpr43
                                        ; implicit-def: $vgpr44
                                        ; implicit-def: $vgpr45
                                        ; implicit-def: $vgpr46
                                        ; implicit-def: $vgpr47
                                        ; implicit-def: $sgpr5
	v_cmp_ne_u32_e64 s2, 0, v0
	s_cbranch_execz .LBB54_118
.LBB54_115:
	v_add_co_u32 v1, s3, s34, v48
	s_delay_alu instid0(VALU_DEP_1)
	v_add_co_ci_u32_e64 v2, null, s35, 0, s3
	s_clause 0x9
	global_load_b32 v3, v48, s[34:35]
	global_load_b32 v4, v48, s[34:35] offset:256
	global_load_b32 v5, v48, s[34:35] offset:512
	;; [unrolled: 1-line block ×9, first 2 shown]
	v_add_co_u32 v1, vcc_lo, 0x1000, v1
	v_add_co_ci_u32_e32 v2, vcc_lo, 0, v2, vcc_lo
	s_clause 0xb
	global_load_b32 v13, v48, s[34:35] offset:2560
	global_load_b32 v14, v48, s[34:35] offset:2816
	;; [unrolled: 1-line block ×6, first 2 shown]
	global_load_b32 v19, v[1:2], off
	global_load_b32 v20, v[1:2], off offset:256
	global_load_b32 v21, v[1:2], off offset:512
	;; [unrolled: 1-line block ×5, first 2 shown]
	s_sub_u32 s4, 0, s15
	s_subb_u32 s5, 0, 0
	v_mad_u32_u24 v24, 0x54, v0, v48
	s_cmp_eq_u64 s[4:5], s[40:41]
	s_waitcnt vmcnt(20)
	ds_store_2addr_stride64_b32 v48, v3, v4 offset1:1
	s_waitcnt vmcnt(18)
	ds_store_2addr_stride64_b32 v48, v5, v6 offset0:2 offset1:3
	s_waitcnt vmcnt(16)
	ds_store_2addr_stride64_b32 v48, v7, v8 offset0:4 offset1:5
	;; [unrolled: 2-line block ×10, first 2 shown]
	s_cselect_b32 s3, 0, -4
	s_cselect_b32 s5, 0, -1
	s_add_u32 s4, s34, s3
	s_addc_u32 s5, s35, s5
	s_waitcnt lgkmcnt(0)
	s_barrier
	buffer_gl0_inv
	s_load_b32 s4, s[4:5], 0x0
	ds_load_2addr_b64 v[1:4], v24 offset0:8 offset1:9
	ds_load_b64 v[21:22], v24 offset:80
	ds_load_2addr_b64 v[17:20], v24 offset1:1
	ds_load_2addr_b64 v[13:16], v24 offset0:2 offset1:3
	ds_load_2addr_b64 v[9:12], v24 offset0:4 offset1:5
	;; [unrolled: 1-line block ×3, first 2 shown]
	v_mad_i32_i24 v23, 0xffffffac, v0, v24
	s_mov_b32 s3, -1
	s_waitcnt lgkmcnt(0)
	ds_store_b32 v23, v22 offset:5632
	s_waitcnt lgkmcnt(0)
	s_barrier
	v_mov_b32_e32 v24, s4
	buffer_gl0_inv
	s_and_saveexec_b32 s4, s2
	s_cbranch_execz .LBB54_117
; %bb.116:
	ds_load_b32 v24, v23 offset:5628
.LBB54_117:
	s_or_b32 exec_lo, exec_lo, s4
	v_lshlrev_b32_e32 v25, 1, v0
	s_waitcnt lgkmcnt(0)
	s_barrier
	buffer_gl0_inv
	v_cmp_ne_u32_e32 vcc_lo, v24, v17
	s_clause 0x15
	global_load_u16 v26, v25, s[26:27]
	global_load_u16 v27, v25, s[26:27] offset:128
	global_load_u16 v28, v25, s[26:27] offset:256
	;; [unrolled: 1-line block ×21, first 2 shown]
	v_cmp_ne_u32_e64 s6, v21, v22
                                        ; implicit-def: $sgpr5
	v_cndmask_b32_e64 v22, 0, 1, vcc_lo
	v_cmp_ne_u32_e32 vcc_lo, v17, v18
	v_cndmask_b32_e64 v17, 0, 1, vcc_lo
	v_cmp_ne_u32_e32 vcc_lo, v18, v19
	;; [unrolled: 2-line block ×9, first 2 shown]
	v_sub_nc_u32_e32 v9, v23, v25
	s_waitcnt vmcnt(21)
	ds_store_b16 v9, v26
	s_waitcnt vmcnt(20)
	ds_store_b16 v9, v27 offset:128
	s_waitcnt vmcnt(19)
	ds_store_b16 v9, v28 offset:256
	;; [unrolled: 2-line block ×21, first 2 shown]
	v_cndmask_b32_e64 v50, 0, 1, vcc_lo
	v_cmp_ne_u32_e32 vcc_lo, v10, v11
	v_mad_u32_u24 v49, v0, 42, v9
	s_waitcnt lgkmcnt(0)
	s_barrier
	buffer_gl0_inv
	v_cndmask_b32_e64 v51, 0, 1, vcc_lo
	v_cmp_ne_u32_e32 vcc_lo, v11, v12
	v_cndmask_b32_e64 v23, 0, 1, vcc_lo
	v_cmp_ne_u32_e32 vcc_lo, v12, v5
	ds_load_2addr_b32 v[9:10], v49 offset1:1
	ds_load_2addr_b32 v[11:12], v49 offset0:8 offset1:9
	ds_load_b32 v26, v49 offset:40
	ds_load_2addr_b32 v[13:14], v49 offset0:4 offset1:5
	v_cndmask_b32_e64 v25, 0, 1, vcc_lo
	v_cmp_ne_u32_e32 vcc_lo, v5, v6
	v_cndmask_b32_e64 v27, 0, 1, vcc_lo
	v_cmp_ne_u32_e32 vcc_lo, v6, v7
	ds_load_2addr_b32 v[5:6], v49 offset0:2 offset1:3
	v_cndmask_b32_e64 v41, 0, 1, vcc_lo
	v_cmp_ne_u32_e32 vcc_lo, v7, v8
	s_waitcnt lgkmcnt(4)
	v_alignbit_b32 v28, v17, v9, 16
	v_alignbit_b32 v30, v19, v10, 16
	v_cndmask_b32_e64 v29, 0, 1, vcc_lo
	v_cmp_ne_u32_e32 vcc_lo, v8, v1
	ds_load_2addr_b32 v[7:8], v49 offset0:6 offset1:7
	s_waitcnt lgkmcnt(2)
	v_alignbit_b32 v36, v50, v13, 16
	v_alignbit_b32 v38, v23, v14, 16
	v_lshrrev_b32_e32 v49, 16, v26
	v_cndmask_b32_e64 v43, 0, 1, vcc_lo
	v_cmp_ne_u32_e32 vcc_lo, v1, v2
	s_waitcnt lgkmcnt(1)
	v_alignbit_b32 v32, v24, v5, 16
	v_alignbit_b32 v34, v15, v6, 16
	v_cndmask_b32_e64 v1, 0, 1, vcc_lo
	v_cmp_ne_u32_e32 vcc_lo, v2, v3
	s_delay_alu instid0(VALU_DEP_2)
	v_alignbit_b32 v44, v1, v11, 16
	v_cndmask_b32_e64 v2, 0, 1, vcc_lo
	v_cmp_ne_u32_e32 vcc_lo, v3, v4
	v_and_b32_e32 v1, 0xffff, v12
	s_waitcnt lgkmcnt(0)
	v_alignbit_b32 v40, v27, v7, 16
	v_alignbit_b32 v42, v29, v8, 16
	v_cndmask_b32_e64 v3, 0, 1, vcc_lo
	v_cmp_ne_u32_e32 vcc_lo, v4, v21
	v_and_b32_e32 v21, 0xffff, v9
	v_and_b32_e32 v9, 0xffff, v10
	;; [unrolled: 1-line block ×4, first 2 shown]
	v_cndmask_b32_e64 v4, 0, 1, vcc_lo
	v_and_b32_e32 v6, 0xffff, v13
	v_and_b32_e32 v13, 0xffff, v14
	;; [unrolled: 1-line block ×5, first 2 shown]
	v_alignbit_b32 v46, v3, v12, 16
	v_and_b32_e32 v3, 0xffff, v26
	v_lshl_or_b32 v27, v22, 16, v21
	v_lshl_or_b32 v29, v18, 16, v9
	;; [unrolled: 1-line block ×11, first 2 shown]
.LBB54_118:
	v_mov_b32_e32 v7, s5
	s_and_saveexec_b32 s2, s3
	s_cbranch_execz .LBB54_120
; %bb.119:
	s_waitcnt lgkmcnt(0)
	v_and_b32_e32 v1, 0xffff, v49
	v_cndmask_b32_e64 v2, 0, 0x10000, s6
	s_delay_alu instid0(VALU_DEP_1)
	v_or_b32_e32 v7, v2, v1
.LBB54_120:
	s_or_b32 exec_lo, exec_lo, s2
	s_delay_alu instid0(VALU_DEP_1)
	v_or3_b32 v1, v7, v47, v46
	v_cmp_gt_u32_e64 s23, 0x10000, v28
	s_waitcnt lgkmcnt(0)
	v_lshlrev_b32_e32 v49, 16, v28
	v_cmp_gt_u32_e64 s22, 0x10000, v29
	v_lshlrev_b32_e32 v48, 16, v29
	v_cmp_gt_u32_e64 s21, 0x10000, v30
	;; [unrolled: 2-line block ×20, first 2 shown]
	v_lshlrev_b32_e32 v8, 16, v7
	v_or3_b32 v51, v1, v45, v44
	v_lshrrev_b32_e32 v50, 5, v0
	v_cmp_gt_u32_e32 vcc_lo, 32, v0
	s_cmp_lg_u32 s15, 0
	s_barrier
	buffer_gl0_inv
	s_cbranch_scc0 .LBB54_197
; %bb.121:
	v_lshlrev_b32_e32 v52, 16, v27
	v_lshrrev_b32_e32 v53, 16, v27
	s_delay_alu instid0(VALU_DEP_2) | instskip(NEXT) | instid1(VALU_DEP_1)
	v_cmp_lt_f32_e64 s24, v52, v49
	v_cndmask_b32_e64 v1, v27, v28, s24
	s_delay_alu instid0(VALU_DEP_1) | instskip(NEXT) | instid1(VALU_DEP_1)
	v_cndmask_b32_e64 v1, v28, v1, s23
	v_lshlrev_b32_e32 v2, 16, v1
	s_delay_alu instid0(VALU_DEP_1) | instskip(NEXT) | instid1(VALU_DEP_1)
	v_cmp_lt_f32_e64 s24, v2, v48
	v_cndmask_b32_e64 v1, v1, v29, s24
	s_delay_alu instid0(VALU_DEP_1) | instskip(NEXT) | instid1(VALU_DEP_1)
	v_cndmask_b32_e64 v1, v29, v1, s22
	v_lshlrev_b32_e32 v2, 16, v1
	s_delay_alu instid0(VALU_DEP_1) | instskip(NEXT) | instid1(VALU_DEP_1)
	;; [unrolled: 6-line block ×16, first 2 shown]
	v_cmp_lt_f32_e64 s24, v2, v12
	v_cndmask_b32_e64 v1, v1, v44, s24
	s_delay_alu instid0(VALU_DEP_1) | instskip(NEXT) | instid1(VALU_DEP_1)
	v_cndmask_b32_e64 v1, v44, v1, s6
	v_lshlrev_b32_e32 v2, 16, v1
	s_delay_alu instid0(VALU_DEP_1) | instskip(SKIP_1) | instid1(VALU_DEP_2)
	v_cmp_lt_f32_e64 s24, v2, v11
	v_or3_b32 v2, v51, v43, v42
	v_cndmask_b32_e64 v1, v1, v45, s24
	s_delay_alu instid0(VALU_DEP_2) | instskip(NEXT) | instid1(VALU_DEP_2)
	v_or3_b32 v2, v2, v41, v40
	v_cndmask_b32_e64 v1, v45, v1, s5
	s_delay_alu instid0(VALU_DEP_2) | instskip(NEXT) | instid1(VALU_DEP_2)
	v_or3_b32 v2, v2, v39, v38
	v_lshlrev_b32_e32 v3, 16, v1
	s_delay_alu instid0(VALU_DEP_2) | instskip(NEXT) | instid1(VALU_DEP_2)
	v_or3_b32 v2, v2, v37, v36
	v_cmp_lt_f32_e64 s24, v3, v10
	s_delay_alu instid0(VALU_DEP_2) | instskip(NEXT) | instid1(VALU_DEP_2)
	v_or3_b32 v2, v2, v35, v34
	v_cndmask_b32_e64 v1, v1, v46, s24
	s_delay_alu instid0(VALU_DEP_2) | instskip(NEXT) | instid1(VALU_DEP_2)
	v_or3_b32 v2, v2, v33, v32
	v_cndmask_b32_e64 v1, v46, v1, s4
	s_delay_alu instid0(VALU_DEP_2) | instskip(NEXT) | instid1(VALU_DEP_2)
	v_or3_b32 v2, v2, v31, v30
	v_lshlrev_b32_e32 v3, 16, v1
	s_delay_alu instid0(VALU_DEP_2) | instskip(NEXT) | instid1(VALU_DEP_2)
	v_or3_b32 v2, v2, v29, v28
	v_cmp_lt_f32_e64 s24, v3, v9
	s_delay_alu instid0(VALU_DEP_2) | instskip(NEXT) | instid1(VALU_DEP_2)
	v_and_b32_e32 v2, 0x10000, v2
	v_cndmask_b32_e64 v1, v1, v47, s24
	s_delay_alu instid0(VALU_DEP_1) | instskip(NEXT) | instid1(VALU_DEP_1)
	v_cndmask_b32_e64 v1, v47, v1, s3
	v_lshlrev_b32_e32 v3, 16, v1
	s_delay_alu instid0(VALU_DEP_1) | instskip(SKIP_1) | instid1(VALU_DEP_2)
	v_cmp_lt_f32_e64 s24, v3, v8
	v_add_lshl_u32 v3, v50, v0, 2
	v_cndmask_b32_e64 v1, v1, v7, s24
	v_cmp_ne_u32_e64 s24, 0, v2
	s_delay_alu instid0(VALU_DEP_2) | instskip(NEXT) | instid1(VALU_DEP_2)
	v_cndmask_b32_e64 v55, v7, v1, s2
	v_cndmask_b32_e64 v54, v53, 1, s24
	ds_store_b16 v3, v55
	ds_store_b8 v3, v54 offset:2
	s_waitcnt lgkmcnt(0)
	s_barrier
	buffer_gl0_inv
	s_and_saveexec_b32 s34, vcc_lo
	s_cbranch_execz .LBB54_133
; %bb.122:
	v_lshrrev_b32_e32 v1, 2, v0
	s_mov_b32 s27, exec_lo
	s_delay_alu instid0(VALU_DEP_1) | instskip(NEXT) | instid1(VALU_DEP_1)
	v_and_b32_e32 v1, 12, v1
	v_lshl_or_b32 v1, v0, 3, v1
	ds_load_b32 v4, v1
	ds_load_u16 v2, v1 offset:4
	ds_load_u8 v57, v1 offset:6
	s_waitcnt lgkmcnt(2)
	v_lshlrev_b32_e32 v6, 16, v4
	s_waitcnt lgkmcnt(1)
	v_lshlrev_b32_e32 v3, 16, v2
	s_waitcnt lgkmcnt(0)
	v_and_b32_e32 v58, 1, v57
	v_and_b32_e32 v5, 0x10000, v4
	v_cmp_eq_u16_e64 s25, 0, v57
	v_and_b32_e32 v56, 0xff000000, v4
	v_cmp_lt_f32_e64 s24, v6, v3
	v_mbcnt_lo_u32_b32 v57, -1, 0
	s_delay_alu instid0(VALU_DEP_2) | instskip(SKIP_1) | instid1(VALU_DEP_2)
	v_cndmask_b32_e64 v59, v4, v2, s24
	v_cmp_eq_u32_e64 s24, 1, v58
	v_cndmask_b32_e64 v58, v2, v59, s25
	s_delay_alu instid0(VALU_DEP_2) | instskip(SKIP_1) | instid1(VALU_DEP_3)
	v_cndmask_b32_e64 v60, v5, 0x10000, s24
	v_and_b32_e32 v59, 15, v57
	v_and_b32_e32 v62, 0xffff, v58
	s_delay_alu instid0(VALU_DEP_3) | instskip(NEXT) | instid1(VALU_DEP_1)
	v_or_b32_e32 v61, v60, v56
	v_or_b32_e32 v63, v61, v62
	v_lshrrev_b32_e32 v60, 16, v61
	s_delay_alu instid0(VALU_DEP_2)
	v_mov_b32_dpp v64, v63 row_shr:1 row_mask:0xf bank_mask:0xf
	v_cmpx_ne_u32_e32 0, v59
	s_cbranch_execz .LBB54_124
; %bb.123:
	s_delay_alu instid0(VALU_DEP_2) | instskip(SKIP_4) | instid1(VALU_DEP_4)
	v_lshlrev_b32_e32 v65, 16, v64
	v_lshlrev_b32_e32 v62, 16, v62
	v_lshrrev_b32_e32 v60, 16, v61
	v_lshrrev_b32_e32 v63, 16, v64
	v_and_b32_e32 v61, 0x10000, v61
	v_cmp_lt_f32_e64 s26, v65, v62
	s_delay_alu instid0(VALU_DEP_4) | instskip(NEXT) | instid1(VALU_DEP_4)
	v_and_b32_e32 v66, 0xff, v60
	v_and_b32_e32 v60, 1, v63
	s_delay_alu instid0(VALU_DEP_3) | instskip(SKIP_1) | instid1(VALU_DEP_1)
	v_cndmask_b32_e64 v62, v64, v58, s26
	v_cmp_ne_u32_e64 s26, 0, v61
	v_cndmask_b32_e64 v60, v60, 1, s26
	v_cmp_eq_u16_e64 s26, 0, v66
	s_delay_alu instid0(VALU_DEP_2) | instskip(NEXT) | instid1(VALU_DEP_2)
	v_lshlrev_b32_e32 v61, 16, v60
	v_cndmask_b32_e64 v58, v58, v62, s26
	s_delay_alu instid0(VALU_DEP_1) | instskip(NEXT) | instid1(VALU_DEP_1)
	v_and_b32_e32 v62, 0xffff, v58
	v_or3_b32 v63, v61, v62, v56
.LBB54_124:
	s_or_b32 exec_lo, exec_lo, s27
	s_delay_alu instid0(VALU_DEP_1)
	v_lshrrev_b32_e32 v62, 16, v63
	v_mov_b32_dpp v64, v63 row_shr:2 row_mask:0xf bank_mask:0xf
	v_mov_b32_e32 v61, v63
	s_mov_b32 s27, exec_lo
	v_cmpx_lt_u32_e32 1, v59
	s_cbranch_execz .LBB54_126
; %bb.125:
	v_lshlrev_b32_e32 v60, 16, v64
	v_lshlrev_b32_e32 v61, 16, v63
	v_lshrrev_b32_e32 v58, 16, v64
	v_and_b32_e32 v65, 0x10000, v63
	v_and_b32_e32 v62, 0xff, v62
	s_delay_alu instid0(VALU_DEP_4) | instskip(NEXT) | instid1(VALU_DEP_4)
	v_cmp_lt_f32_e64 s26, v60, v61
	v_and_b32_e32 v58, 1, v58
	s_delay_alu instid0(VALU_DEP_2) | instskip(SKIP_1) | instid1(VALU_DEP_1)
	v_cndmask_b32_e64 v61, v64, v63, s26
	v_cmp_ne_u32_e64 s26, 0, v65
	v_cndmask_b32_e64 v60, v58, 1, s26
	v_cmp_eq_u16_e64 s26, 0, v62
	s_delay_alu instid0(VALU_DEP_2) | instskip(NEXT) | instid1(VALU_DEP_2)
	v_lshlrev_b32_e32 v62, 16, v60
	v_cndmask_b32_e64 v58, v63, v61, s26
	s_delay_alu instid0(VALU_DEP_1) | instskip(SKIP_1) | instid1(VALU_DEP_2)
	v_and_b32_e32 v63, 0xffff, v58
	v_mov_b32_e32 v61, v58
	v_or3_b32 v63, v62, v63, v56
	v_mov_b32_e32 v62, v60
.LBB54_126:
	s_or_b32 exec_lo, exec_lo, s27
	s_delay_alu instid0(VALU_DEP_2)
	v_mov_b32_dpp v64, v63 row_shr:4 row_mask:0xf bank_mask:0xf
	s_mov_b32 s27, exec_lo
	v_cmpx_lt_u32_e32 3, v59
	s_cbranch_execz .LBB54_128
; %bb.127:
	s_delay_alu instid0(VALU_DEP_2) | instskip(SKIP_4) | instid1(VALU_DEP_4)
	v_lshlrev_b32_e32 v60, 16, v64
	v_lshlrev_b32_e32 v63, 16, v61
	v_lshrrev_b32_e32 v58, 16, v64
	v_and_b32_e32 v65, 0xff, v62
	v_and_b32_e32 v62, 1, v62
	v_cmp_lt_f32_e64 s26, v60, v63
	s_delay_alu instid0(VALU_DEP_4) | instskip(NEXT) | instid1(VALU_DEP_2)
	v_and_b32_e32 v58, 1, v58
	v_cndmask_b32_e64 v63, v64, v61, s26
	s_delay_alu instid0(VALU_DEP_4) | instskip(NEXT) | instid1(VALU_DEP_1)
	v_cmp_eq_u32_e64 s26, 1, v62
	v_cndmask_b32_e64 v60, v58, 1, s26
	v_cmp_eq_u16_e64 s26, 0, v65
	s_delay_alu instid0(VALU_DEP_2) | instskip(NEXT) | instid1(VALU_DEP_2)
	v_lshlrev_b32_e32 v62, 16, v60
	v_cndmask_b32_e64 v58, v61, v63, s26
	s_delay_alu instid0(VALU_DEP_1) | instskip(SKIP_1) | instid1(VALU_DEP_2)
	v_and_b32_e32 v63, 0xffff, v58
	v_mov_b32_e32 v61, v58
	v_or3_b32 v63, v62, v63, v56
	v_mov_b32_e32 v62, v60
.LBB54_128:
	s_or_b32 exec_lo, exec_lo, s27
	s_delay_alu instid0(VALU_DEP_2)
	v_mov_b32_dpp v64, v63 row_shr:8 row_mask:0xf bank_mask:0xf
	s_mov_b32 s27, exec_lo
	v_cmpx_lt_u32_e32 7, v59
	s_cbranch_execz .LBB54_130
; %bb.129:
	s_delay_alu instid0(VALU_DEP_2) | instskip(SKIP_4) | instid1(VALU_DEP_4)
	v_lshlrev_b32_e32 v59, 16, v64
	v_lshlrev_b32_e32 v60, 16, v61
	v_lshrrev_b32_e32 v58, 16, v64
	v_and_b32_e32 v63, 0xff, v62
	v_and_b32_e32 v62, 1, v62
	v_cmp_lt_f32_e64 s26, v59, v60
	s_delay_alu instid0(VALU_DEP_4) | instskip(NEXT) | instid1(VALU_DEP_2)
	v_and_b32_e32 v58, 1, v58
	v_cndmask_b32_e64 v59, v64, v61, s26
	s_delay_alu instid0(VALU_DEP_4) | instskip(NEXT) | instid1(VALU_DEP_1)
	v_cmp_eq_u32_e64 s26, 1, v62
	v_cndmask_b32_e64 v60, v58, 1, s26
	v_cmp_eq_u16_e64 s26, 0, v63
	s_delay_alu instid0(VALU_DEP_1) | instskip(NEXT) | instid1(VALU_DEP_3)
	v_cndmask_b32_e64 v58, v61, v59, s26
	v_lshlrev_b32_e32 v59, 16, v60
	s_delay_alu instid0(VALU_DEP_2) | instskip(NEXT) | instid1(VALU_DEP_1)
	v_dual_mov_b32 v61, v58 :: v_dual_and_b32 v62, 0xffff, v58
	v_or3_b32 v63, v59, v62, v56
	v_mov_b32_e32 v62, v60
.LBB54_130:
	s_or_b32 exec_lo, exec_lo, s27
	ds_swizzle_b32 v59, v63 offset:swizzle(BROADCAST,32,15)
	v_and_b32_e32 v63, 16, v57
	s_mov_b32 s27, exec_lo
	s_delay_alu instid0(VALU_DEP_1)
	v_cmpx_ne_u32_e32 0, v63
	s_cbranch_execz .LBB54_132
; %bb.131:
	s_waitcnt lgkmcnt(0)
	v_lshlrev_b32_e32 v60, 16, v59
	v_lshlrev_b32_e32 v63, 16, v61
	v_lshrrev_b32_e32 v58, 16, v59
	v_and_b32_e32 v64, 0xff, v62
	v_and_b32_e32 v62, 1, v62
	s_delay_alu instid0(VALU_DEP_4) | instskip(NEXT) | instid1(VALU_DEP_4)
	v_cmp_lt_f32_e64 s26, v60, v63
	v_and_b32_e32 v58, 1, v58
	s_delay_alu instid0(VALU_DEP_2) | instskip(NEXT) | instid1(VALU_DEP_4)
	v_cndmask_b32_e64 v59, v59, v61, s26
	v_cmp_eq_u32_e64 s26, 1, v62
	s_delay_alu instid0(VALU_DEP_1) | instskip(SKIP_1) | instid1(VALU_DEP_1)
	v_cndmask_b32_e64 v60, v58, 1, s26
	v_cmp_eq_u16_e64 s26, 0, v64
	v_cndmask_b32_e64 v58, v61, v59, s26
.LBB54_132:
	s_or_b32 exec_lo, exec_lo, s27
	s_waitcnt lgkmcnt(0)
	v_and_b32_e32 v59, 0xff, v60
	v_add_nc_u32_e32 v60, -1, v57
	v_and_b32_e32 v58, 0xffff, v58
	v_cmp_eq_u32_e64 s27, 0, v5
	s_delay_alu instid0(VALU_DEP_4) | instskip(NEXT) | instid1(VALU_DEP_4)
	v_lshlrev_b32_e32 v59, 16, v59
	v_cmp_gt_i32_e64 s26, 0, v60
	s_delay_alu instid0(VALU_DEP_2) | instskip(NEXT) | instid1(VALU_DEP_2)
	v_or3_b32 v56, v59, v58, v56
	v_cndmask_b32_e64 v57, v60, v57, s26
	v_and_b32_e32 v58, 0xff0000, v4
	s_delay_alu instid0(VALU_DEP_2) | instskip(SKIP_3) | instid1(VALU_DEP_1)
	v_lshlrev_b32_e32 v57, 2, v57
	ds_bpermute_b32 v56, v57, v56
	s_waitcnt lgkmcnt(0)
	v_lshlrev_b32_e32 v57, 16, v56
	v_cmp_lt_f32_e64 s26, v57, v6
	s_delay_alu instid0(VALU_DEP_1) | instskip(SKIP_1) | instid1(VALU_DEP_1)
	v_cndmask_b32_e64 v6, v56, v4, s26
	v_cmp_eq_u32_e64 s26, 0, v58
	v_cndmask_b32_e64 v4, v4, v6, s26
	v_cmp_eq_u32_e64 s26, 0, v0
	v_lshrrev_b32_e32 v6, 16, v56
	s_delay_alu instid0(VALU_DEP_2) | instskip(NEXT) | instid1(VALU_DEP_2)
	v_cndmask_b32_e64 v4, v4, v55, s26
	v_and_b32_e32 v6, 1, v6
	s_delay_alu instid0(VALU_DEP_2) | instskip(NEXT) | instid1(VALU_DEP_2)
	v_lshlrev_b32_e32 v56, 16, v4
	v_cndmask_b32_e64 v5, 1, v6, s27
	s_delay_alu instid0(VALU_DEP_2) | instskip(NEXT) | instid1(VALU_DEP_2)
	v_cmp_lt_f32_e64 s27, v56, v3
	v_cndmask_b32_e64 v5, v5, v54, s26
	s_delay_alu instid0(VALU_DEP_2) | instskip(NEXT) | instid1(VALU_DEP_1)
	v_cndmask_b32_e64 v3, v4, v2, s27
	v_cndmask_b32_e64 v2, v2, v3, s25
	s_delay_alu instid0(VALU_DEP_3)
	v_cndmask_b32_e64 v3, v5, 1, s24
	ds_store_b16 v1, v4
	ds_store_b8 v1, v5 offset:2
	ds_store_b16 v1, v2 offset:4
	ds_store_b8 v1, v3 offset:6
.LBB54_133:
	s_or_b32 exec_lo, exec_lo, s34
	v_cmp_eq_u32_e64 s25, 0, v0
	v_cmp_ne_u32_e64 s24, 0, v0
	s_waitcnt lgkmcnt(0)
	s_barrier
	buffer_gl0_inv
	s_and_saveexec_b32 s26, s24
	s_cbranch_execz .LBB54_135
; %bb.134:
	v_add_nc_u32_e32 v1, -1, v0
	s_delay_alu instid0(VALU_DEP_1) | instskip(NEXT) | instid1(VALU_DEP_1)
	v_lshrrev_b32_e32 v2, 5, v1
	v_add_lshl_u32 v1, v2, v1, 2
	ds_load_u16 v55, v1
	ds_load_u8 v54, v1 offset:2
.LBB54_135:
	s_or_b32 exec_lo, exec_lo, s26
	s_and_saveexec_b32 s27, vcc_lo
	s_cbranch_execz .LBB54_174
; %bb.136:
	v_mov_b32_e32 v3, 0
	v_mbcnt_lo_u32_b32 v65, -1, 0
	s_mov_b32 s35, 0
	ds_load_b32 v1, v3 offset:256
	v_cmp_eq_u32_e64 s26, 0, v65
	s_waitcnt lgkmcnt(0)
	v_readfirstlane_b32 s40, v1
	s_delay_alu instid0(VALU_DEP_2)
	s_and_saveexec_b32 s41, s26
	s_cbranch_execz .LBB54_138
; %bb.137:
	s_add_i32 s34, s15, 32
	s_delay_alu instid0(VALU_DEP_1) | instskip(SKIP_1) | instid1(SALU_CYCLE_1)
	v_dual_mov_b32 v1, s40 :: v_dual_mov_b32 v2, 1
	s_lshl_b64 s[34:35], s[34:35], 3
	s_add_u32 s34, s36, s34
	s_addc_u32 s35, s37, s35
	global_store_b64 v3, v[1:2], s[34:35]
.LBB54_138:
	s_or_b32 exec_lo, exec_lo, s41
	v_xad_u32 v1, v65, -1, s15
	s_mov_b32 s34, exec_lo
	s_delay_alu instid0(VALU_DEP_1) | instskip(NEXT) | instid1(VALU_DEP_1)
	v_add_nc_u32_e32 v2, 32, v1
	v_lshlrev_b64 v[2:3], 3, v[2:3]
	s_delay_alu instid0(VALU_DEP_1) | instskip(NEXT) | instid1(VALU_DEP_2)
	v_add_co_u32 v5, vcc_lo, s36, v2
	v_add_co_ci_u32_e32 v6, vcc_lo, s37, v3, vcc_lo
	global_load_b64 v[3:4], v[5:6], off glc
	s_waitcnt vmcnt(0)
	v_and_b32_e32 v2, 0xff, v4
	s_delay_alu instid0(VALU_DEP_1)
	v_cmpx_eq_u16_e32 0, v2
	s_cbranch_execz .LBB54_142
; %bb.139:
	s_mov_b32 s35, 0
.LBB54_140:                             ; =>This Inner Loop Header: Depth=1
	global_load_b64 v[3:4], v[5:6], off glc
	s_waitcnt vmcnt(0)
	v_and_b32_e32 v2, 0xff, v4
	s_delay_alu instid0(VALU_DEP_1) | instskip(SKIP_1) | instid1(SALU_CYCLE_1)
	v_cmp_ne_u16_e32 vcc_lo, 0, v2
	s_or_b32 s35, vcc_lo, s35
	s_and_not1_b32 exec_lo, exec_lo, s35
	s_cbranch_execnz .LBB54_140
; %bb.141:
	s_or_b32 exec_lo, exec_lo, s35
.LBB54_142:
	s_delay_alu instid0(SALU_CYCLE_1)
	s_or_b32 exec_lo, exec_lo, s34
	v_cmp_ne_u32_e32 vcc_lo, 31, v65
	v_and_b32_e32 v66, 0xffffff, v3
	v_and_b32_e32 v5, 0xff, v4
	v_lshlrev_b32_e64 v57, v65, -1
	v_add_nc_u32_e32 v58, 1, v65
	v_add_co_ci_u32_e32 v2, vcc_lo, 0, v65, vcc_lo
	s_delay_alu instid0(VALU_DEP_4) | instskip(SKIP_2) | instid1(VALU_DEP_4)
	v_cmp_eq_u16_e32 vcc_lo, 2, v5
	v_lshrrev_b32_e32 v5, 16, v3
	v_bfe_u32 v6, v3, 16, 8
	v_lshlrev_b32_e32 v56, 2, v2
	s_mov_b32 s34, exec_lo
	v_and_or_b32 v2, vcc_lo, v57, 0x80000000
	ds_bpermute_b32 v59, v56, v66
	v_ctz_i32_b32_e32 v2, v2
	s_delay_alu instid0(VALU_DEP_1)
	v_cmpx_le_u32_e64 v58, v2
	s_cbranch_execz .LBB54_144
; %bb.143:
	v_and_b32_e32 v6, 0xff0000, v3
	s_waitcnt lgkmcnt(0)
	v_lshlrev_b32_e32 v5, 16, v59
	v_lshlrev_b32_e32 v61, 16, v3
	v_lshrrev_b32_e32 v60, 16, v59
	s_delay_alu instid0(VALU_DEP_2) | instskip(SKIP_1) | instid1(VALU_DEP_3)
	v_cmp_lt_f32_e32 vcc_lo, v5, v61
	v_dual_cndmask_b32 v59, v59, v3 :: v_dual_and_b32 v62, 0x10000, v6
	v_and_b32_e32 v60, 1, v60
	s_delay_alu instid0(VALU_DEP_2) | instskip(NEXT) | instid1(VALU_DEP_2)
	v_cmp_ne_u32_e32 vcc_lo, 0, v62
	v_cndmask_b32_e64 v5, v60, 1, vcc_lo
	v_cmp_eq_u32_e32 vcc_lo, 0, v6
	s_delay_alu instid0(VALU_DEP_2) | instskip(NEXT) | instid1(VALU_DEP_1)
	v_dual_cndmask_b32 v3, v3, v59 :: v_dual_lshlrev_b32 v6, 16, v5
	v_and_b32_e32 v59, 0xffff, v3
	s_delay_alu instid0(VALU_DEP_1)
	v_or_b32_e32 v66, v6, v59
	v_mov_b32_e32 v6, v5
.LBB54_144:
	s_or_b32 exec_lo, exec_lo, s34
	v_cmp_gt_u32_e32 vcc_lo, 30, v65
	v_add_nc_u32_e32 v60, 2, v65
	s_mov_b32 s34, exec_lo
	s_waitcnt lgkmcnt(0)
	v_cndmask_b32_e64 v59, 0, 1, vcc_lo
	s_delay_alu instid0(VALU_DEP_1) | instskip(NEXT) | instid1(VALU_DEP_1)
	v_lshlrev_b32_e32 v59, 1, v59
	v_add_lshl_u32 v59, v59, v65, 2
	ds_bpermute_b32 v61, v59, v66
	v_cmpx_le_u32_e64 v60, v2
	s_cbranch_execz .LBB54_146
; %bb.145:
	s_waitcnt lgkmcnt(0)
	v_lshlrev_b32_e32 v5, 16, v61
	v_lshlrev_b32_e32 v63, 16, v3
	v_lshrrev_b32_e32 v62, 16, v61
	s_delay_alu instid0(VALU_DEP_2) | instskip(SKIP_1) | instid1(VALU_DEP_3)
	v_cmp_lt_f32_e32 vcc_lo, v5, v63
	v_dual_cndmask_b32 v61, v61, v3 :: v_dual_and_b32 v64, 1, v6
	v_and_b32_e32 v62, 1, v62
	s_delay_alu instid0(VALU_DEP_2) | instskip(NEXT) | instid1(VALU_DEP_2)
	v_cmp_eq_u32_e32 vcc_lo, 1, v64
	v_cndmask_b32_e64 v5, v62, 1, vcc_lo
	v_cmp_eq_u16_e32 vcc_lo, 0, v6
	s_delay_alu instid0(VALU_DEP_2) | instskip(SKIP_1) | instid1(VALU_DEP_1)
	v_lshlrev_b32_e32 v6, 16, v5
	v_cndmask_b32_e32 v3, v3, v61, vcc_lo
	v_and_b32_e32 v61, 0xffff, v3
	s_delay_alu instid0(VALU_DEP_1)
	v_or_b32_e32 v66, v6, v61
	v_mov_b32_e32 v6, v5
.LBB54_146:
	s_or_b32 exec_lo, exec_lo, s34
	v_cmp_gt_u32_e32 vcc_lo, 28, v65
	v_add_nc_u32_e32 v62, 4, v65
	s_mov_b32 s34, exec_lo
	s_waitcnt lgkmcnt(0)
	v_cndmask_b32_e64 v61, 0, 1, vcc_lo
	s_delay_alu instid0(VALU_DEP_1) | instskip(NEXT) | instid1(VALU_DEP_1)
	v_lshlrev_b32_e32 v61, 2, v61
	v_add_lshl_u32 v61, v61, v65, 2
	ds_bpermute_b32 v63, v61, v66
	v_cmpx_le_u32_e64 v62, v2
	s_cbranch_execz .LBB54_148
; %bb.147:
	s_waitcnt lgkmcnt(0)
	v_lshlrev_b32_e32 v5, 16, v63
	v_lshlrev_b32_e32 v66, 16, v3
	v_lshrrev_b32_e32 v64, 16, v63
	v_and_b32_e32 v67, 1, v6
	s_delay_alu instid0(VALU_DEP_3) | instskip(NEXT) | instid1(VALU_DEP_3)
	v_cmp_lt_f32_e32 vcc_lo, v5, v66
	v_dual_cndmask_b32 v63, v63, v3 :: v_dual_and_b32 v64, 1, v64
	s_delay_alu instid0(VALU_DEP_3) | instskip(NEXT) | instid1(VALU_DEP_2)
	v_cmp_eq_u32_e32 vcc_lo, 1, v67
	v_cndmask_b32_e64 v5, v64, 1, vcc_lo
	v_cmp_eq_u16_e32 vcc_lo, 0, v6
	s_delay_alu instid0(VALU_DEP_2) | instskip(NEXT) | instid1(VALU_DEP_1)
	v_dual_cndmask_b32 v3, v3, v63 :: v_dual_lshlrev_b32 v6, 16, v5
	v_and_b32_e32 v63, 0xffff, v3
	s_delay_alu instid0(VALU_DEP_1)
	v_or_b32_e32 v66, v6, v63
	v_mov_b32_e32 v6, v5
.LBB54_148:
	s_or_b32 exec_lo, exec_lo, s34
	v_cmp_gt_u32_e32 vcc_lo, 24, v65
	v_add_nc_u32_e32 v64, 8, v65
	s_mov_b32 s34, exec_lo
	s_waitcnt lgkmcnt(0)
	v_cndmask_b32_e64 v63, 0, 1, vcc_lo
	s_delay_alu instid0(VALU_DEP_1) | instskip(NEXT) | instid1(VALU_DEP_1)
	v_lshlrev_b32_e32 v63, 3, v63
	v_add_lshl_u32 v63, v63, v65, 2
	ds_bpermute_b32 v67, v63, v66
	v_cmpx_le_u32_e64 v64, v2
	s_cbranch_execz .LBB54_150
; %bb.149:
	s_waitcnt lgkmcnt(0)
	v_lshlrev_b32_e32 v5, 16, v67
	v_lshlrev_b32_e32 v68, 16, v3
	v_lshrrev_b32_e32 v66, 16, v67
	v_and_b32_e32 v69, 1, v6
	s_delay_alu instid0(VALU_DEP_3) | instskip(NEXT) | instid1(VALU_DEP_3)
	v_cmp_lt_f32_e32 vcc_lo, v5, v68
	v_dual_cndmask_b32 v67, v67, v3 :: v_dual_and_b32 v66, 1, v66
	s_delay_alu instid0(VALU_DEP_3) | instskip(NEXT) | instid1(VALU_DEP_2)
	v_cmp_eq_u32_e32 vcc_lo, 1, v69
	v_cndmask_b32_e64 v5, v66, 1, vcc_lo
	v_cmp_eq_u16_e32 vcc_lo, 0, v6
	s_delay_alu instid0(VALU_DEP_2) | instskip(NEXT) | instid1(VALU_DEP_1)
	v_dual_cndmask_b32 v3, v3, v67 :: v_dual_lshlrev_b32 v6, 16, v5
	v_and_b32_e32 v66, 0xffff, v3
	s_delay_alu instid0(VALU_DEP_1)
	v_or_b32_e32 v66, v6, v66
	v_mov_b32_e32 v6, v5
.LBB54_150:
	s_or_b32 exec_lo, exec_lo, s34
	v_cmp_gt_u32_e32 vcc_lo, 16, v65
	v_add_nc_u32_e32 v68, 16, v65
	s_mov_b32 s34, exec_lo
	s_waitcnt lgkmcnt(0)
	v_cndmask_b32_e64 v67, 0, 1, vcc_lo
	s_delay_alu instid0(VALU_DEP_1) | instskip(NEXT) | instid1(VALU_DEP_1)
	v_lshlrev_b32_e32 v67, 4, v67
	v_add_lshl_u32 v67, v67, v65, 2
	ds_bpermute_b32 v66, v67, v66
	v_cmpx_le_u32_e64 v68, v2
	s_cbranch_execz .LBB54_152
; %bb.151:
	s_waitcnt lgkmcnt(0)
	v_lshlrev_b32_e32 v2, 16, v66
	v_lshlrev_b32_e32 v5, 16, v3
	v_lshrrev_b32_e32 v65, 16, v66
	s_delay_alu instid0(VALU_DEP_2) | instskip(NEXT) | instid1(VALU_DEP_2)
	v_cmp_lt_f32_e32 vcc_lo, v2, v5
	v_and_b32_e32 v65, 1, v65
	v_dual_cndmask_b32 v2, v66, v3 :: v_dual_and_b32 v5, 1, v6
	v_cmp_eq_u16_e32 vcc_lo, 0, v6
	s_delay_alu instid0(VALU_DEP_2) | instskip(NEXT) | instid1(VALU_DEP_3)
	v_cndmask_b32_e32 v3, v3, v2, vcc_lo
	v_cmp_eq_u32_e32 vcc_lo, 1, v5
	v_cndmask_b32_e64 v5, v65, 1, vcc_lo
.LBB54_152:
	s_or_b32 exec_lo, exec_lo, s34
	v_mov_b32_e32 v2, 0
	s_branch .LBB54_154
.LBB54_153:                             ;   in Loop: Header=BB54_154 Depth=1
	s_or_b32 exec_lo, exec_lo, s34
	v_lshlrev_b32_e32 v5, 16, v3
	v_lshlrev_b32_e32 v6, 16, v66
	v_subrev_nc_u32_e32 v1, 32, v1
	s_delay_alu instid0(VALU_DEP_2) | instskip(SKIP_4) | instid1(VALU_DEP_3)
	v_cmp_lt_f32_e32 vcc_lo, v5, v6
	s_waitcnt lgkmcnt(0)
	v_and_b32_e32 v70, 0xff, v65
	v_and_b32_e32 v5, 1, v65
	v_dual_cndmask_b32 v3, v3, v66 :: v_dual_and_b32 v6, 1, v69
	v_cmp_eq_u16_e32 vcc_lo, 0, v70
	s_delay_alu instid0(VALU_DEP_2) | instskip(NEXT) | instid1(VALU_DEP_4)
	v_cndmask_b32_e32 v3, v66, v3, vcc_lo
	v_cmp_eq_u32_e32 vcc_lo, 1, v5
	s_delay_alu instid0(VALU_DEP_4)
	v_cndmask_b32_e64 v5, v6, 1, vcc_lo
.LBB54_154:                             ; =>This Loop Header: Depth=1
                                        ;     Child Loop BB54_157 Depth 2
	s_delay_alu instid0(VALU_DEP_1) | instskip(SKIP_2) | instid1(VALU_DEP_2)
	v_dual_mov_b32 v65, v5 :: v_dual_and_b32 v4, 0xff, v4
	s_waitcnt lgkmcnt(0)
	v_mov_b32_e32 v66, v3
	v_cmp_ne_u16_e32 vcc_lo, 2, v4
	v_cndmask_b32_e64 v4, 0, 1, vcc_lo
	;;#ASMSTART
	;;#ASMEND
	s_delay_alu instid0(VALU_DEP_1)
	v_cmp_ne_u32_e32 vcc_lo, 0, v4
	s_cmp_lg_u32 vcc_lo, exec_lo
	s_cbranch_scc1 .LBB54_169
; %bb.155:                              ;   in Loop: Header=BB54_154 Depth=1
	v_lshlrev_b64 v[3:4], 3, v[1:2]
	s_mov_b32 s34, exec_lo
	s_delay_alu instid0(VALU_DEP_1) | instskip(NEXT) | instid1(VALU_DEP_2)
	v_add_co_u32 v5, vcc_lo, s36, v3
	v_add_co_ci_u32_e32 v6, vcc_lo, s37, v4, vcc_lo
	global_load_b64 v[3:4], v[5:6], off glc
	s_waitcnt vmcnt(0)
	v_and_b32_e32 v69, 0xff, v4
	s_delay_alu instid0(VALU_DEP_1)
	v_cmpx_eq_u16_e32 0, v69
	s_cbranch_execz .LBB54_159
; %bb.156:                              ;   in Loop: Header=BB54_154 Depth=1
	s_mov_b32 s35, 0
.LBB54_157:                             ;   Parent Loop BB54_154 Depth=1
                                        ; =>  This Inner Loop Header: Depth=2
	global_load_b64 v[3:4], v[5:6], off glc
	s_waitcnt vmcnt(0)
	v_and_b32_e32 v69, 0xff, v4
	s_delay_alu instid0(VALU_DEP_1) | instskip(SKIP_1) | instid1(SALU_CYCLE_1)
	v_cmp_ne_u16_e32 vcc_lo, 0, v69
	s_or_b32 s35, vcc_lo, s35
	s_and_not1_b32 exec_lo, exec_lo, s35
	s_cbranch_execnz .LBB54_157
; %bb.158:                              ;   in Loop: Header=BB54_154 Depth=1
	s_or_b32 exec_lo, exec_lo, s35
.LBB54_159:                             ;   in Loop: Header=BB54_154 Depth=1
	s_delay_alu instid0(SALU_CYCLE_1)
	s_or_b32 exec_lo, exec_lo, s34
	v_and_b32_e32 v70, 0xffffff, v3
	v_and_b32_e32 v5, 0xff, v4
	v_lshrrev_b32_e32 v69, 16, v3
	v_bfe_u32 v6, v3, 16, 8
	s_mov_b32 s34, exec_lo
	ds_bpermute_b32 v71, v56, v70
	v_cmp_eq_u16_e32 vcc_lo, 2, v5
	v_and_or_b32 v5, vcc_lo, v57, 0x80000000
	s_delay_alu instid0(VALU_DEP_1) | instskip(NEXT) | instid1(VALU_DEP_1)
	v_ctz_i32_b32_e32 v5, v5
	v_cmpx_le_u32_e64 v58, v5
	s_cbranch_execz .LBB54_161
; %bb.160:                              ;   in Loop: Header=BB54_154 Depth=1
	v_and_b32_e32 v6, 0xff0000, v3
	s_waitcnt lgkmcnt(0)
	v_lshlrev_b32_e32 v69, 16, v71
	v_lshlrev_b32_e32 v72, 16, v3
	v_lshrrev_b32_e32 v70, 16, v71
	v_and_b32_e32 v73, 0x10000, v6
	s_delay_alu instid0(VALU_DEP_3) | instskip(NEXT) | instid1(VALU_DEP_3)
	v_cmp_lt_f32_e32 vcc_lo, v69, v72
	v_dual_cndmask_b32 v71, v71, v3 :: v_dual_and_b32 v70, 1, v70
	s_delay_alu instid0(VALU_DEP_3) | instskip(NEXT) | instid1(VALU_DEP_2)
	v_cmp_ne_u32_e32 vcc_lo, 0, v73
	v_cndmask_b32_e64 v69, v70, 1, vcc_lo
	v_cmp_eq_u32_e32 vcc_lo, 0, v6
	s_delay_alu instid0(VALU_DEP_2) | instskip(NEXT) | instid1(VALU_DEP_1)
	v_dual_cndmask_b32 v3, v3, v71 :: v_dual_lshlrev_b32 v6, 16, v69
	v_and_b32_e32 v70, 0xffff, v3
	s_delay_alu instid0(VALU_DEP_1)
	v_or_b32_e32 v70, v6, v70
	v_mov_b32_e32 v6, v69
.LBB54_161:                             ;   in Loop: Header=BB54_154 Depth=1
	s_or_b32 exec_lo, exec_lo, s34
	s_waitcnt lgkmcnt(0)
	ds_bpermute_b32 v71, v59, v70
	s_mov_b32 s34, exec_lo
	v_cmpx_le_u32_e64 v60, v5
	s_cbranch_execz .LBB54_163
; %bb.162:                              ;   in Loop: Header=BB54_154 Depth=1
	s_waitcnt lgkmcnt(0)
	v_lshlrev_b32_e32 v69, 16, v71
	v_lshlrev_b32_e32 v72, 16, v3
	v_lshrrev_b32_e32 v70, 16, v71
	v_and_b32_e32 v73, 1, v6
	s_delay_alu instid0(VALU_DEP_3) | instskip(NEXT) | instid1(VALU_DEP_3)
	v_cmp_lt_f32_e32 vcc_lo, v69, v72
	v_dual_cndmask_b32 v71, v71, v3 :: v_dual_and_b32 v70, 1, v70
	s_delay_alu instid0(VALU_DEP_3) | instskip(NEXT) | instid1(VALU_DEP_2)
	v_cmp_eq_u32_e32 vcc_lo, 1, v73
	v_cndmask_b32_e64 v69, v70, 1, vcc_lo
	v_cmp_eq_u16_e32 vcc_lo, 0, v6
	s_delay_alu instid0(VALU_DEP_2) | instskip(NEXT) | instid1(VALU_DEP_1)
	v_dual_cndmask_b32 v3, v3, v71 :: v_dual_lshlrev_b32 v6, 16, v69
	v_and_b32_e32 v70, 0xffff, v3
	s_delay_alu instid0(VALU_DEP_1)
	v_or_b32_e32 v70, v6, v70
	v_mov_b32_e32 v6, v69
.LBB54_163:                             ;   in Loop: Header=BB54_154 Depth=1
	s_or_b32 exec_lo, exec_lo, s34
	s_waitcnt lgkmcnt(0)
	ds_bpermute_b32 v71, v61, v70
	s_mov_b32 s34, exec_lo
	v_cmpx_le_u32_e64 v62, v5
	s_cbranch_execz .LBB54_165
; %bb.164:                              ;   in Loop: Header=BB54_154 Depth=1
	s_waitcnt lgkmcnt(0)
	v_lshlrev_b32_e32 v69, 16, v71
	v_lshlrev_b32_e32 v72, 16, v3
	v_lshrrev_b32_e32 v70, 16, v71
	v_and_b32_e32 v73, 1, v6
	s_delay_alu instid0(VALU_DEP_3) | instskip(NEXT) | instid1(VALU_DEP_3)
	v_cmp_lt_f32_e32 vcc_lo, v69, v72
	v_dual_cndmask_b32 v71, v71, v3 :: v_dual_and_b32 v70, 1, v70
	s_delay_alu instid0(VALU_DEP_3) | instskip(NEXT) | instid1(VALU_DEP_2)
	v_cmp_eq_u32_e32 vcc_lo, 1, v73
	v_cndmask_b32_e64 v69, v70, 1, vcc_lo
	v_cmp_eq_u16_e32 vcc_lo, 0, v6
	s_delay_alu instid0(VALU_DEP_2) | instskip(NEXT) | instid1(VALU_DEP_1)
	v_dual_cndmask_b32 v3, v3, v71 :: v_dual_lshlrev_b32 v6, 16, v69
	v_and_b32_e32 v70, 0xffff, v3
	s_delay_alu instid0(VALU_DEP_1)
	v_or_b32_e32 v70, v6, v70
	v_mov_b32_e32 v6, v69
.LBB54_165:                             ;   in Loop: Header=BB54_154 Depth=1
	;; [unrolled: 26-line block ×3, first 2 shown]
	s_or_b32 exec_lo, exec_lo, s34
	ds_bpermute_b32 v70, v67, v70
	s_mov_b32 s34, exec_lo
	v_cmpx_le_u32_e64 v68, v5
	s_cbranch_execz .LBB54_153
; %bb.168:                              ;   in Loop: Header=BB54_154 Depth=1
	s_waitcnt lgkmcnt(0)
	v_lshlrev_b32_e32 v5, 16, v70
	v_lshlrev_b32_e32 v69, 16, v3
	s_delay_alu instid0(VALU_DEP_1) | instskip(SKIP_4) | instid1(VALU_DEP_3)
	v_cmp_lt_f32_e32 vcc_lo, v5, v69
	v_and_b32_e32 v69, 1, v6
	v_cndmask_b32_e32 v5, v70, v3, vcc_lo
	v_cmp_eq_u16_e32 vcc_lo, 0, v6
	v_lshrrev_b32_e32 v70, 16, v70
	v_cndmask_b32_e32 v3, v3, v5, vcc_lo
	v_cmp_eq_u32_e32 vcc_lo, 1, v69
	s_delay_alu instid0(VALU_DEP_3)
	v_cndmask_b32_e64 v69, v70, 1, vcc_lo
	s_branch .LBB54_153
.LBB54_169:                             ;   in Loop: Header=BB54_154 Depth=1
                                        ; implicit-def: $vgpr5
                                        ; implicit-def: $vgpr3
	s_cbranch_execz .LBB54_154
; %bb.170:
	s_and_saveexec_b32 s34, s26
	s_cbranch_execz .LBB54_172
; %bb.171:
	s_and_b32 s26, s40, 0xff0000
	v_dual_mov_b32 v4, 0 :: v_dual_lshlrev_b32 v1, 16, v66
	s_cmp_eq_u32 s26, 0
	v_and_b32_e32 v2, 1, v65
	s_cselect_b32 vcc_lo, -1, 0
	s_lshl_b32 s26, s40, 16
	s_bitcmp0_b32 s40, 16
	v_cmp_gt_f32_e64 s26, s26, v1
	s_mov_b32 s41, 0
	v_lshlrev_b32_e32 v2, 16, v2
	s_delay_alu instid0(VALU_DEP_2) | instskip(NEXT) | instid1(VALU_DEP_1)
	v_cndmask_b32_e64 v1, v66, s40, s26
	v_cndmask_b32_e32 v1, s40, v1, vcc_lo
	s_cselect_b32 vcc_lo, -1, 0
	s_add_i32 s40, s15, 32
	v_cndmask_b32_e32 v3, 0x10000, v2, vcc_lo
	s_lshl_b64 s[40:41], s[40:41], 3
	v_dual_mov_b32 v2, 2 :: v_dual_and_b32 v1, 0xffff, v1
	s_add_u32 s40, s36, s40
	s_addc_u32 s41, s37, s41
	s_delay_alu instid0(VALU_DEP_1)
	v_or_b32_e32 v1, v3, v1
	global_store_b64 v4, v[1:2], s[40:41]
.LBB54_172:
	s_or_b32 exec_lo, exec_lo, s34
	s_delay_alu instid0(SALU_CYCLE_1)
	s_and_b32 exec_lo, exec_lo, s25
	s_cbranch_execz .LBB54_174
; %bb.173:
	v_mov_b32_e32 v1, 0
	ds_store_b16 v1, v66
	ds_store_b8 v1, v65 offset:2
.LBB54_174:
	s_or_b32 exec_lo, exec_lo, s27
	v_dual_mov_b32 v1, 0 :: v_dual_mov_b32 v2, v27
	s_waitcnt lgkmcnt(0)
	s_waitcnt_vscnt null, 0x0
	s_barrier
	buffer_gl0_inv
	ds_load_b32 v1, v1
	s_and_saveexec_b32 s15, s24
; %bb.175:
	v_lshlrev_b32_e32 v2, 16, v55
	s_delay_alu instid0(VALU_DEP_1) | instskip(SKIP_2) | instid1(VALU_DEP_2)
	v_cmp_lt_f32_e32 vcc_lo, v2, v52
	v_cndmask_b32_e32 v2, v55, v27, vcc_lo
	v_cmp_gt_u32_e32 vcc_lo, 0x10000, v27
	v_dual_cndmask_b32 v2, v27, v2 :: v_dual_and_b32 v3, 0x10000, v27
	s_delay_alu instid0(VALU_DEP_1)
	v_cmp_ne_u32_e32 vcc_lo, 0, v3
	v_cndmask_b32_e64 v53, v54, 1, vcc_lo
; %bb.176:
	s_or_b32 exec_lo, exec_lo, s15
	s_waitcnt lgkmcnt(0)
	v_lshlrev_b32_e32 v3, 16, v1
	v_lshlrev_b32_e32 v4, 16, v2
	v_and_b32_e32 v5, 0xff, v53
	s_delay_alu instid0(VALU_DEP_2) | instskip(SKIP_1) | instid1(VALU_DEP_3)
	v_cmp_lt_f32_e32 vcc_lo, v3, v4
	v_cndmask_b32_e32 v1, v1, v2, vcc_lo
	v_cmp_eq_u16_e32 vcc_lo, 0, v5
	s_delay_alu instid0(VALU_DEP_2) | instskip(NEXT) | instid1(VALU_DEP_1)
	v_cndmask_b32_e32 v5, v2, v1, vcc_lo
	v_lshlrev_b32_e32 v1, 16, v5
	s_delay_alu instid0(VALU_DEP_1) | instskip(SKIP_1) | instid1(VALU_DEP_1)
	v_cmp_lt_f32_e32 vcc_lo, v1, v49
	v_cndmask_b32_e32 v1, v5, v28, vcc_lo
	v_cndmask_b32_e64 v1, v28, v1, s23
	s_delay_alu instid0(VALU_DEP_1) | instskip(NEXT) | instid1(VALU_DEP_1)
	v_lshlrev_b32_e32 v2, 16, v1
	v_cmp_lt_f32_e32 vcc_lo, v2, v48
	v_cndmask_b32_e32 v2, v1, v29, vcc_lo
	s_delay_alu instid0(VALU_DEP_1) | instskip(NEXT) | instid1(VALU_DEP_1)
	v_cndmask_b32_e64 v2, v29, v2, s22
	v_lshlrev_b32_e32 v3, 16, v2
	s_delay_alu instid0(VALU_DEP_1) | instskip(SKIP_1) | instid1(VALU_DEP_1)
	v_cmp_lt_f32_e32 vcc_lo, v3, v26
	v_cndmask_b32_e32 v3, v2, v30, vcc_lo
	v_cndmask_b32_e64 v3, v30, v3, s21
	s_delay_alu instid0(VALU_DEP_1) | instskip(NEXT) | instid1(VALU_DEP_1)
	v_lshlrev_b32_e32 v4, 16, v3
	v_cmp_lt_f32_e32 vcc_lo, v4, v25
	v_cndmask_b32_e32 v4, v3, v31, vcc_lo
	s_delay_alu instid0(VALU_DEP_1) | instskip(NEXT) | instid1(VALU_DEP_1)
	v_cndmask_b32_e64 v4, v31, v4, s20
	;; [unrolled: 11-line block ×10, first 2 shown]
	v_lshlrev_b32_e32 v6, 16, v67
	s_delay_alu instid0(VALU_DEP_1) | instskip(SKIP_2) | instid1(VALU_DEP_1)
	v_cmp_lt_f32_e32 vcc_lo, v6, v8
	v_and_b32_e32 v6, 0xffff, v5
	v_cndmask_b32_e32 v68, v67, v7, vcc_lo
	v_cndmask_b32_e64 v68, v7, v68, s2
	s_branch .LBB54_221
.LBB54_177:
	s_or_b32 exec_lo, exec_lo, s24
                                        ; implicit-def: $vgpr29
	s_and_saveexec_b32 s24, s2
	s_cbranch_execz .LBB54_49
.LBB54_178:
	global_load_u16 v29, v[21:22], off offset:128
	s_or_b32 exec_lo, exec_lo, s24
                                        ; implicit-def: $vgpr30
	s_and_saveexec_b32 s2, s3
	s_cbranch_execnz .LBB54_50
.LBB54_179:
	s_or_b32 exec_lo, exec_lo, s2
                                        ; implicit-def: $vgpr31
	s_and_saveexec_b32 s2, s4
	s_cbranch_execz .LBB54_51
.LBB54_180:
	global_load_u16 v31, v[21:22], off offset:384
	s_or_b32 exec_lo, exec_lo, s2
                                        ; implicit-def: $vgpr32
	s_and_saveexec_b32 s2, s5
	s_cbranch_execnz .LBB54_52
.LBB54_181:
	s_or_b32 exec_lo, exec_lo, s2
                                        ; implicit-def: $vgpr33
	s_and_saveexec_b32 s2, s6
	s_cbranch_execz .LBB54_53
.LBB54_182:
	global_load_u16 v33, v[21:22], off offset:640
	s_or_b32 exec_lo, exec_lo, s2
                                        ; implicit-def: $vgpr34
	s_and_saveexec_b32 s2, s7
	s_cbranch_execnz .LBB54_54
.LBB54_183:
	s_or_b32 exec_lo, exec_lo, s2
                                        ; implicit-def: $vgpr35
	s_and_saveexec_b32 s2, s8
	s_cbranch_execz .LBB54_55
.LBB54_184:
	global_load_u16 v35, v[21:22], off offset:896
	s_or_b32 exec_lo, exec_lo, s2
                                        ; implicit-def: $vgpr36
	s_and_saveexec_b32 s2, s9
	s_cbranch_execnz .LBB54_56
.LBB54_185:
	s_or_b32 exec_lo, exec_lo, s2
                                        ; implicit-def: $vgpr37
	s_and_saveexec_b32 s2, s10
	s_cbranch_execz .LBB54_57
.LBB54_186:
	global_load_u16 v37, v[21:22], off offset:1152
	s_or_b32 exec_lo, exec_lo, s2
                                        ; implicit-def: $vgpr38
	s_and_saveexec_b32 s2, s11
	s_cbranch_execnz .LBB54_58
.LBB54_187:
	s_or_b32 exec_lo, exec_lo, s2
                                        ; implicit-def: $vgpr39
	s_and_saveexec_b32 s2, s12
	s_cbranch_execz .LBB54_59
.LBB54_188:
	global_load_u16 v39, v[21:22], off offset:1408
	s_or_b32 exec_lo, exec_lo, s2
                                        ; implicit-def: $vgpr40
	s_and_saveexec_b32 s2, s13
	s_cbranch_execnz .LBB54_60
.LBB54_189:
	s_or_b32 exec_lo, exec_lo, s2
                                        ; implicit-def: $vgpr41
	s_and_saveexec_b32 s2, s14
	s_cbranch_execz .LBB54_61
.LBB54_190:
	global_load_u16 v41, v[21:22], off offset:1664
	s_or_b32 exec_lo, exec_lo, s2
                                        ; implicit-def: $vgpr42
	s_and_saveexec_b32 s2, s16
	s_cbranch_execnz .LBB54_62
.LBB54_191:
	s_or_b32 exec_lo, exec_lo, s2
                                        ; implicit-def: $vgpr43
	s_and_saveexec_b32 s2, s17
	s_cbranch_execz .LBB54_63
.LBB54_192:
	global_load_u16 v43, v[21:22], off offset:1920
	s_or_b32 exec_lo, exec_lo, s2
                                        ; implicit-def: $vgpr44
	s_and_saveexec_b32 s2, s18
	s_cbranch_execnz .LBB54_64
.LBB54_193:
	s_or_b32 exec_lo, exec_lo, s2
                                        ; implicit-def: $vgpr45
	s_and_saveexec_b32 s2, s19
	s_cbranch_execz .LBB54_65
.LBB54_194:
	global_load_u16 v45, v[21:22], off offset:2176
	s_or_b32 exec_lo, exec_lo, s2
                                        ; implicit-def: $vgpr46
	s_and_saveexec_b32 s2, s20
	s_cbranch_execnz .LBB54_66
.LBB54_195:
	s_or_b32 exec_lo, exec_lo, s2
                                        ; implicit-def: $vgpr47
	s_and_saveexec_b32 s2, s21
	s_cbranch_execz .LBB54_67
.LBB54_196:
	global_load_u16 v47, v[21:22], off offset:2432
	s_or_b32 exec_lo, exec_lo, s2
                                        ; implicit-def: $vgpr49
	s_and_saveexec_b32 s2, s22
	s_cbranch_execz .LBB54_69
	s_branch .LBB54_68
.LBB54_197:
                                        ; implicit-def: $vgpr6
                                        ; implicit-def: $vgpr1
                                        ; implicit-def: $vgpr2
                                        ; implicit-def: $vgpr3
                                        ; implicit-def: $vgpr4
                                        ; implicit-def: $vgpr52
                                        ; implicit-def: $vgpr53
                                        ; implicit-def: $vgpr54
                                        ; implicit-def: $vgpr55
                                        ; implicit-def: $vgpr56
                                        ; implicit-def: $vgpr57
                                        ; implicit-def: $vgpr58
                                        ; implicit-def: $vgpr59
                                        ; implicit-def: $vgpr60
                                        ; implicit-def: $vgpr61
                                        ; implicit-def: $vgpr62
                                        ; implicit-def: $vgpr63
                                        ; implicit-def: $vgpr64
                                        ; implicit-def: $vgpr65
                                        ; implicit-def: $vgpr66
                                        ; implicit-def: $vgpr67
                                        ; implicit-def: $vgpr68
	s_cbranch_execz .LBB54_221
; %bb.198:
	v_cmp_eq_u32_e32 vcc_lo, 0, v0
	s_cmp_lg_u64 s[30:31], 0
	v_cmp_ne_u32_e64 s3, 0, v0
	s_cselect_b32 s2, -1, 0
	s_delay_alu instid0(SALU_CYCLE_1) | instskip(NEXT) | instid1(SALU_CYCLE_1)
	s_and_b32 s2, vcc_lo, s2
	s_and_saveexec_b32 s4, s2
	s_cbranch_execz .LBB54_200
; %bb.199:
	v_mov_b32_e32 v1, 0
	v_lshlrev_b32_e32 v3, 16, v27
	s_clause 0x1
	global_load_u16 v2, v1, s[30:31]
	global_load_u8 v1, v1, s[30:31] offset:2
	s_waitcnt vmcnt(1)
	v_lshlrev_b32_e32 v4, 16, v2
	s_waitcnt vmcnt(0)
	v_and_b32_e32 v1, 1, v1
	s_delay_alu instid0(VALU_DEP_2) | instskip(SKIP_1) | instid1(VALU_DEP_3)
	v_cmp_lt_f32_e64 s2, v4, v3
	v_and_b32_e32 v3, 0x10000, v27
	v_lshlrev_b32_e32 v1, 16, v1
	s_delay_alu instid0(VALU_DEP_3) | instskip(SKIP_1) | instid1(VALU_DEP_1)
	v_cndmask_b32_e64 v2, v2, v27, s2
	v_cmp_gt_u32_e64 s2, 0x10000, v27
	v_cndmask_b32_e64 v2, v27, v2, s2
	v_cmp_eq_u32_e64 s2, 0, v3
	s_delay_alu instid0(VALU_DEP_2) | instskip(NEXT) | instid1(VALU_DEP_2)
	v_and_b32_e32 v2, 0xffff, v2
	v_cndmask_b32_e64 v1, 0x10000, v1, s2
	s_delay_alu instid0(VALU_DEP_1)
	v_or_b32_e32 v27, v1, v2
.LBB54_200:
	s_or_b32 exec_lo, exec_lo, s4
	s_delay_alu instid0(VALU_DEP_1)
	v_lshlrev_b32_e32 v1, 16, v27
	v_cmp_gt_u32_e64 s22, 0x10000, v46
	v_cmp_gt_u32_e64 s23, 0x10000, v47
	v_add_lshl_u32 v5, v50, v0, 2
	s_mov_b32 s27, exec_lo
	v_cmp_lt_f32_e64 s2, v1, v49
	s_delay_alu instid0(VALU_DEP_1) | instskip(SKIP_1) | instid1(VALU_DEP_1)
	v_cndmask_b32_e64 v2, v27, v28, s2
	v_cmp_gt_u32_e64 s2, 0x10000, v28
	v_cndmask_b32_e64 v2, v28, v2, s2
	s_delay_alu instid0(VALU_DEP_1) | instskip(NEXT) | instid1(VALU_DEP_1)
	v_lshlrev_b32_e32 v3, 16, v2
	v_cmp_lt_f32_e64 s4, v3, v48
	s_delay_alu instid0(VALU_DEP_1) | instskip(SKIP_1) | instid1(VALU_DEP_1)
	v_cndmask_b32_e64 v2, v2, v29, s4
	v_cmp_gt_u32_e64 s4, 0x10000, v29
	v_cndmask_b32_e64 v2, v29, v2, s4
	s_delay_alu instid0(VALU_DEP_1) | instskip(NEXT) | instid1(VALU_DEP_1)
	v_lshlrev_b32_e32 v3, 16, v2
	;; [unrolled: 7-line block ×17, first 2 shown]
	v_cmp_lt_f32_e64 s20, v3, v11
	v_or3_b32 v3, v51, v43, v42
	s_delay_alu instid0(VALU_DEP_2) | instskip(SKIP_1) | instid1(VALU_DEP_3)
	v_cndmask_b32_e64 v2, v2, v45, s20
	v_cmp_gt_u32_e64 s20, 0x10000, v45
	v_or3_b32 v3, v3, v41, v40
	s_delay_alu instid0(VALU_DEP_2) | instskip(NEXT) | instid1(VALU_DEP_2)
	v_cndmask_b32_e64 v2, v45, v2, s20
	v_or3_b32 v3, v3, v39, v38
	s_delay_alu instid0(VALU_DEP_2) | instskip(NEXT) | instid1(VALU_DEP_2)
	v_lshlrev_b32_e32 v4, 16, v2
	v_or3_b32 v3, v3, v37, v36
	s_delay_alu instid0(VALU_DEP_2) | instskip(NEXT) | instid1(VALU_DEP_2)
	v_cmp_lt_f32_e64 s21, v4, v10
	v_or3_b32 v3, v3, v35, v34
	s_delay_alu instid0(VALU_DEP_2) | instskip(NEXT) | instid1(VALU_DEP_2)
	v_cndmask_b32_e64 v2, v2, v46, s21
	v_or3_b32 v3, v3, v33, v32
	s_delay_alu instid0(VALU_DEP_2) | instskip(NEXT) | instid1(VALU_DEP_2)
	v_cndmask_b32_e64 v2, v46, v2, s22
	v_or3_b32 v3, v3, v31, v30
	s_delay_alu instid0(VALU_DEP_2) | instskip(NEXT) | instid1(VALU_DEP_2)
	v_lshlrev_b32_e32 v4, 16, v2
	v_or3_b32 v3, v3, v29, v28
	s_delay_alu instid0(VALU_DEP_2) | instskip(NEXT) | instid1(VALU_DEP_2)
	v_cmp_lt_f32_e64 s21, v4, v9
	v_and_b32_e32 v3, 0x10000, v3
	s_delay_alu instid0(VALU_DEP_2) | instskip(NEXT) | instid1(VALU_DEP_2)
	v_cndmask_b32_e64 v2, v2, v47, s21
	v_cmp_ne_u32_e64 s24, 0, v3
	s_delay_alu instid0(VALU_DEP_2) | instskip(NEXT) | instid1(VALU_DEP_1)
	v_cndmask_b32_e64 v2, v47, v2, s23
	v_lshlrev_b32_e32 v4, 16, v2
	s_delay_alu instid0(VALU_DEP_1) | instskip(SKIP_1) | instid1(VALU_DEP_2)
	v_cmp_lt_f32_e64 s21, v4, v8
	v_lshrrev_b32_e32 v4, 16, v27
	v_cndmask_b32_e64 v2, v2, v7, s21
	v_cmp_gt_u32_e64 s21, 0x10000, v7
	s_delay_alu instid0(VALU_DEP_3) | instskip(NEXT) | instid1(VALU_DEP_2)
	v_cndmask_b32_e64 v3, v4, 1, s24
	v_cndmask_b32_e64 v2, v7, v2, s21
	ds_store_b16 v5, v2
	ds_store_b8 v5, v3 offset:2
	s_waitcnt lgkmcnt(0)
	s_barrier
	buffer_gl0_inv
	v_cmpx_gt_u32_e32 32, v0
	s_cbranch_execz .LBB54_212
; %bb.201:
	v_lshrrev_b32_e32 v4, 2, v0
	s_mov_b32 s30, exec_lo
	s_delay_alu instid0(VALU_DEP_1) | instskip(NEXT) | instid1(VALU_DEP_1)
	v_and_b32_e32 v4, 12, v4
	v_lshl_or_b32 v4, v0, 3, v4
	ds_load_b32 v50, v4
	ds_load_u16 v5, v4 offset:4
	ds_load_u8 v54, v4 offset:6
	s_waitcnt lgkmcnt(2)
	v_lshlrev_b32_e32 v52, 16, v50
	s_waitcnt lgkmcnt(1)
	v_lshlrev_b32_e32 v6, 16, v5
	s_waitcnt lgkmcnt(0)
	v_and_b32_e32 v55, 1, v54
	v_and_b32_e32 v51, 0x10000, v50
	v_cmp_eq_u16_e64 s25, 0, v54
	v_and_b32_e32 v53, 0xff000000, v50
	v_cmp_lt_f32_e64 s24, v52, v6
	v_mbcnt_lo_u32_b32 v54, -1, 0
	s_delay_alu instid0(VALU_DEP_2) | instskip(SKIP_1) | instid1(VALU_DEP_2)
	v_cndmask_b32_e64 v56, v50, v5, s24
	v_cmp_eq_u32_e64 s24, 1, v55
	v_cndmask_b32_e64 v55, v5, v56, s25
	s_delay_alu instid0(VALU_DEP_2) | instskip(SKIP_1) | instid1(VALU_DEP_3)
	v_cndmask_b32_e64 v57, v51, 0x10000, s24
	v_and_b32_e32 v56, 15, v54
	v_and_b32_e32 v59, 0xffff, v55
	s_delay_alu instid0(VALU_DEP_3) | instskip(NEXT) | instid1(VALU_DEP_1)
	v_or_b32_e32 v58, v57, v53
	v_or_b32_e32 v60, v58, v59
	v_lshrrev_b32_e32 v57, 16, v58
	s_delay_alu instid0(VALU_DEP_2)
	v_mov_b32_dpp v61, v60 row_shr:1 row_mask:0xf bank_mask:0xf
	v_cmpx_ne_u32_e32 0, v56
	s_cbranch_execz .LBB54_203
; %bb.202:
	s_delay_alu instid0(VALU_DEP_2) | instskip(SKIP_4) | instid1(VALU_DEP_4)
	v_lshlrev_b32_e32 v62, 16, v61
	v_lshlrev_b32_e32 v59, 16, v59
	v_lshrrev_b32_e32 v57, 16, v58
	v_lshrrev_b32_e32 v60, 16, v61
	v_and_b32_e32 v58, 0x10000, v58
	v_cmp_lt_f32_e64 s26, v62, v59
	s_delay_alu instid0(VALU_DEP_4) | instskip(NEXT) | instid1(VALU_DEP_4)
	v_and_b32_e32 v63, 0xff, v57
	v_and_b32_e32 v57, 1, v60
	s_delay_alu instid0(VALU_DEP_3) | instskip(SKIP_1) | instid1(VALU_DEP_1)
	v_cndmask_b32_e64 v59, v61, v55, s26
	v_cmp_ne_u32_e64 s26, 0, v58
	v_cndmask_b32_e64 v57, v57, 1, s26
	v_cmp_eq_u16_e64 s26, 0, v63
	s_delay_alu instid0(VALU_DEP_2) | instskip(NEXT) | instid1(VALU_DEP_2)
	v_lshlrev_b32_e32 v58, 16, v57
	v_cndmask_b32_e64 v55, v55, v59, s26
	s_delay_alu instid0(VALU_DEP_1) | instskip(NEXT) | instid1(VALU_DEP_1)
	v_and_b32_e32 v59, 0xffff, v55
	v_or3_b32 v60, v58, v59, v53
.LBB54_203:
	s_or_b32 exec_lo, exec_lo, s30
	s_delay_alu instid0(VALU_DEP_1)
	v_lshrrev_b32_e32 v59, 16, v60
	v_mov_b32_dpp v61, v60 row_shr:2 row_mask:0xf bank_mask:0xf
	v_mov_b32_e32 v58, v60
	s_mov_b32 s30, exec_lo
	v_cmpx_lt_u32_e32 1, v56
	s_cbranch_execz .LBB54_205
; %bb.204:
	v_lshlrev_b32_e32 v57, 16, v61
	v_lshlrev_b32_e32 v58, 16, v60
	v_lshrrev_b32_e32 v55, 16, v61
	v_and_b32_e32 v62, 0x10000, v60
	v_and_b32_e32 v59, 0xff, v59
	s_delay_alu instid0(VALU_DEP_4) | instskip(NEXT) | instid1(VALU_DEP_4)
	v_cmp_lt_f32_e64 s26, v57, v58
	v_and_b32_e32 v55, 1, v55
	s_delay_alu instid0(VALU_DEP_2) | instskip(SKIP_1) | instid1(VALU_DEP_1)
	v_cndmask_b32_e64 v58, v61, v60, s26
	v_cmp_ne_u32_e64 s26, 0, v62
	v_cndmask_b32_e64 v57, v55, 1, s26
	v_cmp_eq_u16_e64 s26, 0, v59
	s_delay_alu instid0(VALU_DEP_2) | instskip(NEXT) | instid1(VALU_DEP_2)
	v_lshlrev_b32_e32 v59, 16, v57
	v_cndmask_b32_e64 v55, v60, v58, s26
	s_delay_alu instid0(VALU_DEP_1) | instskip(SKIP_1) | instid1(VALU_DEP_2)
	v_and_b32_e32 v60, 0xffff, v55
	v_mov_b32_e32 v58, v55
	v_or3_b32 v60, v59, v60, v53
	v_mov_b32_e32 v59, v57
.LBB54_205:
	s_or_b32 exec_lo, exec_lo, s30
	s_delay_alu instid0(VALU_DEP_2)
	v_mov_b32_dpp v61, v60 row_shr:4 row_mask:0xf bank_mask:0xf
	s_mov_b32 s30, exec_lo
	v_cmpx_lt_u32_e32 3, v56
	s_cbranch_execz .LBB54_207
; %bb.206:
	s_delay_alu instid0(VALU_DEP_2) | instskip(SKIP_4) | instid1(VALU_DEP_4)
	v_lshlrev_b32_e32 v57, 16, v61
	v_lshlrev_b32_e32 v60, 16, v58
	v_lshrrev_b32_e32 v55, 16, v61
	v_and_b32_e32 v62, 0xff, v59
	v_and_b32_e32 v59, 1, v59
	v_cmp_lt_f32_e64 s26, v57, v60
	s_delay_alu instid0(VALU_DEP_4) | instskip(NEXT) | instid1(VALU_DEP_2)
	v_and_b32_e32 v55, 1, v55
	v_cndmask_b32_e64 v60, v61, v58, s26
	s_delay_alu instid0(VALU_DEP_4) | instskip(NEXT) | instid1(VALU_DEP_1)
	v_cmp_eq_u32_e64 s26, 1, v59
	v_cndmask_b32_e64 v57, v55, 1, s26
	v_cmp_eq_u16_e64 s26, 0, v62
	s_delay_alu instid0(VALU_DEP_2) | instskip(NEXT) | instid1(VALU_DEP_2)
	v_lshlrev_b32_e32 v59, 16, v57
	v_cndmask_b32_e64 v55, v58, v60, s26
	s_delay_alu instid0(VALU_DEP_1) | instskip(SKIP_1) | instid1(VALU_DEP_2)
	v_and_b32_e32 v60, 0xffff, v55
	v_mov_b32_e32 v58, v55
	v_or3_b32 v60, v59, v60, v53
	v_mov_b32_e32 v59, v57
.LBB54_207:
	s_or_b32 exec_lo, exec_lo, s30
	s_delay_alu instid0(VALU_DEP_2)
	v_mov_b32_dpp v61, v60 row_shr:8 row_mask:0xf bank_mask:0xf
	s_mov_b32 s30, exec_lo
	v_cmpx_lt_u32_e32 7, v56
	s_cbranch_execz .LBB54_209
; %bb.208:
	s_delay_alu instid0(VALU_DEP_2) | instskip(SKIP_4) | instid1(VALU_DEP_4)
	v_lshlrev_b32_e32 v56, 16, v61
	v_lshlrev_b32_e32 v57, 16, v58
	v_lshrrev_b32_e32 v55, 16, v61
	v_and_b32_e32 v60, 0xff, v59
	v_and_b32_e32 v59, 1, v59
	v_cmp_lt_f32_e64 s26, v56, v57
	s_delay_alu instid0(VALU_DEP_4) | instskip(NEXT) | instid1(VALU_DEP_2)
	v_and_b32_e32 v55, 1, v55
	v_cndmask_b32_e64 v56, v61, v58, s26
	s_delay_alu instid0(VALU_DEP_4) | instskip(NEXT) | instid1(VALU_DEP_1)
	v_cmp_eq_u32_e64 s26, 1, v59
	v_cndmask_b32_e64 v57, v55, 1, s26
	v_cmp_eq_u16_e64 s26, 0, v60
	s_delay_alu instid0(VALU_DEP_1) | instskip(NEXT) | instid1(VALU_DEP_3)
	v_cndmask_b32_e64 v55, v58, v56, s26
	v_lshlrev_b32_e32 v56, 16, v57
	s_delay_alu instid0(VALU_DEP_2) | instskip(NEXT) | instid1(VALU_DEP_1)
	v_dual_mov_b32 v58, v55 :: v_dual_and_b32 v59, 0xffff, v55
	v_or3_b32 v60, v56, v59, v53
	v_mov_b32_e32 v59, v57
.LBB54_209:
	s_or_b32 exec_lo, exec_lo, s30
	ds_swizzle_b32 v56, v60 offset:swizzle(BROADCAST,32,15)
	v_and_b32_e32 v60, 16, v54
	s_mov_b32 s30, exec_lo
	s_delay_alu instid0(VALU_DEP_1)
	v_cmpx_ne_u32_e32 0, v60
	s_cbranch_execz .LBB54_211
; %bb.210:
	s_waitcnt lgkmcnt(0)
	v_lshlrev_b32_e32 v57, 16, v56
	v_lshlrev_b32_e32 v60, 16, v58
	v_lshrrev_b32_e32 v55, 16, v56
	v_and_b32_e32 v61, 0xff, v59
	v_and_b32_e32 v59, 1, v59
	s_delay_alu instid0(VALU_DEP_4) | instskip(NEXT) | instid1(VALU_DEP_4)
	v_cmp_lt_f32_e64 s26, v57, v60
	v_and_b32_e32 v55, 1, v55
	s_delay_alu instid0(VALU_DEP_2) | instskip(NEXT) | instid1(VALU_DEP_4)
	v_cndmask_b32_e64 v56, v56, v58, s26
	v_cmp_eq_u32_e64 s26, 1, v59
	s_delay_alu instid0(VALU_DEP_1) | instskip(SKIP_1) | instid1(VALU_DEP_1)
	v_cndmask_b32_e64 v57, v55, 1, s26
	v_cmp_eq_u16_e64 s26, 0, v61
	v_cndmask_b32_e64 v55, v58, v56, s26
.LBB54_211:
	s_or_b32 exec_lo, exec_lo, s30
	s_waitcnt lgkmcnt(0)
	v_and_b32_e32 v56, 0xff, v57
	v_add_nc_u32_e32 v57, -1, v54
	v_and_b32_e32 v55, 0xffff, v55
	s_delay_alu instid0(VALU_DEP_3) | instskip(NEXT) | instid1(VALU_DEP_3)
	v_lshlrev_b32_e32 v56, 16, v56
	v_cmp_gt_i32_e64 s26, 0, v57
	s_delay_alu instid0(VALU_DEP_2) | instskip(NEXT) | instid1(VALU_DEP_2)
	v_or3_b32 v53, v56, v55, v53
	v_cndmask_b32_e64 v54, v57, v54, s26
	v_and_b32_e32 v55, 0xff0000, v50
	s_delay_alu instid0(VALU_DEP_2) | instskip(SKIP_3) | instid1(VALU_DEP_1)
	v_lshlrev_b32_e32 v54, 2, v54
	ds_bpermute_b32 v53, v54, v53
	s_waitcnt lgkmcnt(0)
	v_lshlrev_b32_e32 v54, 16, v53
	v_cmp_lt_f32_e64 s26, v54, v52
	s_delay_alu instid0(VALU_DEP_1) | instskip(SKIP_1) | instid1(VALU_DEP_1)
	v_cndmask_b32_e64 v52, v53, v50, s26
	v_cmp_eq_u32_e64 s26, 0, v55
	v_cndmask_b32_e64 v50, v50, v52, s26
	v_lshrrev_b32_e32 v52, 16, v53
	v_cmp_eq_u32_e64 s26, 0, v51
	s_delay_alu instid0(VALU_DEP_3) | instskip(NEXT) | instid1(VALU_DEP_3)
	v_cndmask_b32_e32 v50, v50, v2, vcc_lo
	v_and_b32_e32 v52, 1, v52
	s_delay_alu instid0(VALU_DEP_2) | instskip(NEXT) | instid1(VALU_DEP_2)
	v_lshlrev_b32_e32 v53, 16, v50
	v_cndmask_b32_e64 v51, 1, v52, s26
	s_delay_alu instid0(VALU_DEP_2) | instskip(NEXT) | instid1(VALU_DEP_2)
	v_cmp_lt_f32_e64 s26, v53, v6
	v_cndmask_b32_e32 v3, v51, v3, vcc_lo
	s_delay_alu instid0(VALU_DEP_2) | instskip(NEXT) | instid1(VALU_DEP_1)
	v_cndmask_b32_e64 v6, v50, v5, s26
	v_cndmask_b32_e64 v5, v5, v6, s25
	s_delay_alu instid0(VALU_DEP_3)
	v_cndmask_b32_e64 v6, v3, 1, s24
	ds_store_b16 v4, v50
	ds_store_b8 v4, v3 offset:2
	ds_store_b16 v4, v5 offset:4
	ds_store_b8 v4, v6 offset:6
.LBB54_212:
	s_or_b32 exec_lo, exec_lo, s27
	s_waitcnt lgkmcnt(0)
	s_barrier
	buffer_gl0_inv
	s_and_saveexec_b32 s24, s3
	s_cbranch_execz .LBB54_214
; %bb.213:
	v_add_nc_u32_e32 v2, -1, v0
	s_delay_alu instid0(VALU_DEP_1) | instskip(NEXT) | instid1(VALU_DEP_1)
	v_lshrrev_b32_e32 v3, 5, v2
	v_add_lshl_u32 v2, v3, v2, 2
	ds_load_u16 v2, v2
.LBB54_214:
	s_or_b32 exec_lo, exec_lo, s24
                                        ; implicit-def: $vgpr3
	s_and_saveexec_b32 s24, s3
	s_delay_alu instid0(SALU_CYCLE_1)
	s_xor_b32 s24, exec_lo, s24
	s_cbranch_execz .LBB54_216
; %bb.215:
	s_waitcnt lgkmcnt(0)
	v_lshlrev_b32_e32 v3, 16, v2
	s_delay_alu instid0(VALU_DEP_1) | instskip(NEXT) | instid1(VALU_DEP_1)
	v_cmp_lt_f32_e64 s3, v3, v1
	v_cndmask_b32_e64 v1, v2, v27, s3
	v_cmp_gt_u32_e64 s3, 0x10000, v27
	s_delay_alu instid0(VALU_DEP_1) | instskip(NEXT) | instid1(VALU_DEP_1)
	v_cndmask_b32_e64 v27, v27, v1, s3
	v_and_b32_e32 v3, 0xffff, v27
	s_or_saveexec_b32 s3, s24
	s_delay_alu instid0(VALU_DEP_1)
	v_mov_b32_e32 v6, v3
	s_xor_b32 exec_lo, exec_lo, s3
	s_cbranch_execnz .LBB54_217
	s_branch .LBB54_218
.LBB54_216:
	s_or_saveexec_b32 s3, s24
	v_mov_b32_e32 v6, v3
	s_xor_b32 exec_lo, exec_lo, s3
.LBB54_217:
	v_dual_mov_b32 v6, v27 :: v_dual_and_b32 v3, 0xffff, v27
.LBB54_218:
	s_or_b32 exec_lo, exec_lo, s3
	s_delay_alu instid0(VALU_DEP_1) | instskip(NEXT) | instid1(VALU_DEP_1)
	v_lshlrev_b32_e32 v1, 16, v3
	v_cmp_lt_f32_e64 s3, v1, v49
	s_delay_alu instid0(VALU_DEP_1) | instskip(NEXT) | instid1(VALU_DEP_1)
	v_cndmask_b32_e64 v1, v27, v28, s3
	v_cndmask_b32_e64 v1, v28, v1, s2
	s_waitcnt lgkmcnt(0)
	s_delay_alu instid0(VALU_DEP_1) | instskip(NEXT) | instid1(VALU_DEP_1)
	v_lshlrev_b32_e32 v2, 16, v1
	v_cmp_lt_f32_e64 s2, v2, v48
	s_delay_alu instid0(VALU_DEP_1) | instskip(NEXT) | instid1(VALU_DEP_1)
	v_cndmask_b32_e64 v2, v1, v29, s2
	v_cndmask_b32_e64 v2, v29, v2, s4
	s_delay_alu instid0(VALU_DEP_1) | instskip(NEXT) | instid1(VALU_DEP_1)
	v_lshlrev_b32_e32 v3, 16, v2
	v_cmp_lt_f32_e64 s2, v3, v26
	s_delay_alu instid0(VALU_DEP_1) | instskip(NEXT) | instid1(VALU_DEP_1)
	v_cndmask_b32_e64 v3, v2, v30, s2
	v_cndmask_b32_e64 v3, v30, v3, s5
	;; [unrolled: 6-line block ×19, first 2 shown]
	s_delay_alu instid0(VALU_DEP_1) | instskip(NEXT) | instid1(VALU_DEP_1)
	v_lshlrev_b32_e32 v5, 16, v67
	v_cmp_lt_f32_e64 s2, v5, v8
	s_delay_alu instid0(VALU_DEP_1)
	v_cndmask_b32_e64 v5, v67, v7, s2
	s_and_saveexec_b32 s2, vcc_lo
	s_cbranch_execz .LBB54_220
; %bb.219:
	v_mov_b32_e32 v10, 0
	ds_load_u8 v8, v10 offset:258
	ds_load_u16 v9, v10 offset:256
	s_waitcnt lgkmcnt(1)
	v_lshlrev_b32_e32 v8, 16, v8
	s_waitcnt lgkmcnt(0)
	s_delay_alu instid0(VALU_DEP_1)
	v_or_b32_e32 v8, v8, v9
	v_mov_b32_e32 v9, 2
	global_store_b64 v10, v[8:9], s[36:37] offset:256
.LBB54_220:
	s_or_b32 exec_lo, exec_lo, s2
	s_delay_alu instid0(VALU_DEP_1)
	v_cndmask_b32_e64 v68, v7, v5, s21
.LBB54_221:
	s_load_b64 s[0:1], s[0:1], 0x18
	v_mul_u32_u24_e32 v10, 22, v0
	v_perm_b32 v5, v3, v2, 0x5040100
	v_perm_b32 v6, v1, v6, 0x5040100
	v_perm_b32 v7, v54, v53, 0x5040100
	v_perm_b32 v8, v52, v4, 0x5040100
	v_perm_b32 v9, v58, v57, 0x5040100
	v_perm_b32 v11, v56, v55, 0x5040100
	v_perm_b32 v12, v62, v61, 0x5040100
	v_perm_b32 v13, v60, v59, 0x5040100
	v_perm_b32 v14, v66, v65, 0x5040100
	v_perm_b32 v15, v64, v63, 0x5040100
	v_perm_b32 v16, v68, v67, 0x5040100
	v_lshlrev_b32_e32 v4, 1, v0
	s_waitcnt lgkmcnt(0)
	s_add_u32 s0, s0, s28
	s_addc_u32 s1, s1, s29
	s_and_b32 vcc_lo, exec_lo, s39
	s_cbranch_vccz .LBB54_265
; %bb.222:
	v_lshlrev_b32_e32 v37, 1, v10
	s_waitcnt_vscnt null, 0x0
	s_barrier
	buffer_gl0_inv
	v_add_co_u32 v2, s2, s0, v4
	v_mad_i32_i24 v1, 0xffffffd6, v0, v37
	ds_store_2addr_b32 v37, v6, v5 offset1:1
	ds_store_2addr_b32 v37, v8, v7 offset0:2 offset1:3
	ds_store_2addr_b32 v37, v11, v9 offset0:4 offset1:5
	;; [unrolled: 1-line block ×4, first 2 shown]
	ds_store_b32 v37, v16 offset:40
	s_waitcnt lgkmcnt(0)
	s_barrier
	buffer_gl0_inv
	ds_load_u16 v38, v1 offset:128
	ds_load_u16 v36, v1 offset:256
	;; [unrolled: 1-line block ×21, first 2 shown]
	v_mov_b32_e32 v1, 0
	v_add_co_ci_u32_e64 v3, null, s1, 0, s2
	s_add_i32 s33, s33, s38
	s_mov_b32 s2, exec_lo
	v_cmpx_gt_u32_e64 s33, v0
	s_cbranch_execz .LBB54_224
; %bb.223:
	v_mul_i32_i24_e32 v39, 0xffffffd6, v0
	s_delay_alu instid0(VALU_DEP_1)
	v_add_nc_u32_e32 v37, v37, v39
	ds_load_u16 v37, v37
	s_waitcnt lgkmcnt(0)
	global_store_b16 v[2:3], v37, off
.LBB54_224:
	s_or_b32 exec_lo, exec_lo, s2
	v_or_b32_e32 v37, 64, v0
	s_mov_b32 s2, exec_lo
	s_delay_alu instid0(VALU_DEP_1)
	v_cmpx_gt_u32_e64 s33, v37
	s_cbranch_execz .LBB54_226
; %bb.225:
	s_waitcnt lgkmcnt(20)
	global_store_b16 v[2:3], v38, off offset:128
.LBB54_226:
	s_or_b32 exec_lo, exec_lo, s2
	v_or_b32_e32 v37, 0x80, v0
	s_mov_b32 s2, exec_lo
	s_delay_alu instid0(VALU_DEP_1)
	v_cmpx_gt_u32_e64 s33, v37
	s_cbranch_execz .LBB54_228
; %bb.227:
	s_waitcnt lgkmcnt(19)
	global_store_b16 v[2:3], v36, off offset:256
.LBB54_228:
	s_or_b32 exec_lo, exec_lo, s2
	s_waitcnt lgkmcnt(19)
	v_or_b32_e32 v36, 0xc0, v0
	s_mov_b32 s2, exec_lo
	s_delay_alu instid0(VALU_DEP_1)
	v_cmpx_gt_u32_e64 s33, v36
	s_cbranch_execz .LBB54_230
; %bb.229:
	s_waitcnt lgkmcnt(18)
	global_store_b16 v[2:3], v35, off offset:384
.LBB54_230:
	s_or_b32 exec_lo, exec_lo, s2
	s_waitcnt lgkmcnt(18)
	;; [unrolled: 11-line block ×18, first 2 shown]
	v_or_b32_e32 v19, 0x500, v0
	s_mov_b32 s2, exec_lo
	s_delay_alu instid0(VALU_DEP_1)
	v_cmpx_gt_u32_e64 s33, v19
	s_cbranch_execz .LBB54_264
; %bb.263:
	s_waitcnt lgkmcnt(1)
	global_store_b16 v[2:3], v18, off offset:2560
.LBB54_264:
	s_or_b32 exec_lo, exec_lo, s2
	v_or_b32_e32 v2, 0x540, v0
	s_delay_alu instid0(VALU_DEP_1)
	v_cmp_gt_u32_e64 s2, s33, v2
	s_branch .LBB54_267
.LBB54_265:
	s_mov_b32 s2, 0
                                        ; implicit-def: $vgpr17
	s_cbranch_execz .LBB54_267
; %bb.266:
	v_lshlrev_b32_e32 v1, 1, v10
	s_waitcnt lgkmcnt(0)
	s_waitcnt_vscnt null, 0x0
	s_barrier
	buffer_gl0_inv
	s_or_b32 s2, s2, exec_lo
	v_mad_i32_i24 v2, 0xffffffd6, v0, v1
	ds_store_2addr_b32 v1, v6, v5 offset1:1
	ds_store_2addr_b32 v1, v8, v7 offset0:2 offset1:3
	ds_store_2addr_b32 v1, v11, v9 offset0:4 offset1:5
	;; [unrolled: 1-line block ×4, first 2 shown]
	ds_store_b32 v1, v16 offset:40
	s_waitcnt lgkmcnt(0)
	s_barrier
	buffer_gl0_inv
	ds_load_u16 v3, v2
	ds_load_u16 v5, v2 offset:128
	ds_load_u16 v6, v2 offset:256
	;; [unrolled: 1-line block ×21, first 2 shown]
	v_mov_b32_e32 v1, 0
	s_waitcnt lgkmcnt(21)
	global_store_b16 v4, v3, s[0:1]
	s_waitcnt lgkmcnt(20)
	global_store_b16 v4, v5, s[0:1] offset:128
	s_waitcnt lgkmcnt(19)
	global_store_b16 v4, v6, s[0:1] offset:256
	;; [unrolled: 2-line block ×20, first 2 shown]
.LBB54_267:
	s_delay_alu instid0(VALU_DEP_1)
	s_and_saveexec_b32 s3, s2
	s_cbranch_execz .LBB54_269
; %bb.268:
	v_lshlrev_b64 v[0:1], 1, v[0:1]
	s_delay_alu instid0(VALU_DEP_1) | instskip(NEXT) | instid1(VALU_DEP_2)
	v_add_co_u32 v0, vcc_lo, s0, v0
	v_add_co_ci_u32_e32 v1, vcc_lo, s1, v1, vcc_lo
	s_waitcnt lgkmcnt(0)
	global_store_b16 v[0:1], v17, off offset:2688
	s_nop 0
	s_sendmsg sendmsg(MSG_DEALLOC_VGPRS)
	s_endpgm
.LBB54_269:
	s_nop 0
	s_sendmsg sendmsg(MSG_DEALLOC_VGPRS)
	s_endpgm
	.section	.rodata,"a",@progbits
	.p2align	6, 0x0
	.amdhsa_kernel _ZN7rocprim6detail25device_scan_by_key_kernelILNS0_25lookback_scan_determinismE0ELb0ENS0_26wrapped_scan_by_key_configINS_14default_configEi12hip_bfloat16EEPiN6hipcub22TransformInputIteratorIS5_NS8_6CastOpIS5_EEPS5_lEESC_S5_NS8_8EqualityENS8_3MaxENS0_19lookback_scan_stateINS_5tupleIJS5_bEEELb0ELb1EEES5_EEvT2_T3_T4_T5_T6_T7_T8_mmmPKNSH_IJT9_bEEE
		.amdhsa_group_segment_fixed_size 6144
		.amdhsa_private_segment_fixed_size 0
		.amdhsa_kernarg_size 80
		.amdhsa_user_sgpr_count 15
		.amdhsa_user_sgpr_dispatch_ptr 0
		.amdhsa_user_sgpr_queue_ptr 0
		.amdhsa_user_sgpr_kernarg_segment_ptr 1
		.amdhsa_user_sgpr_dispatch_id 0
		.amdhsa_user_sgpr_private_segment_size 0
		.amdhsa_wavefront_size32 1
		.amdhsa_uses_dynamic_stack 0
		.amdhsa_enable_private_segment 0
		.amdhsa_system_sgpr_workgroup_id_x 1
		.amdhsa_system_sgpr_workgroup_id_y 0
		.amdhsa_system_sgpr_workgroup_id_z 0
		.amdhsa_system_sgpr_workgroup_info 0
		.amdhsa_system_vgpr_workitem_id 0
		.amdhsa_next_free_vgpr 74
		.amdhsa_next_free_sgpr 44
		.amdhsa_reserve_vcc 1
		.amdhsa_float_round_mode_32 0
		.amdhsa_float_round_mode_16_64 0
		.amdhsa_float_denorm_mode_32 3
		.amdhsa_float_denorm_mode_16_64 3
		.amdhsa_dx10_clamp 1
		.amdhsa_ieee_mode 1
		.amdhsa_fp16_overflow 0
		.amdhsa_workgroup_processor_mode 1
		.amdhsa_memory_ordered 1
		.amdhsa_forward_progress 0
		.amdhsa_shared_vgpr_count 0
		.amdhsa_exception_fp_ieee_invalid_op 0
		.amdhsa_exception_fp_denorm_src 0
		.amdhsa_exception_fp_ieee_div_zero 0
		.amdhsa_exception_fp_ieee_overflow 0
		.amdhsa_exception_fp_ieee_underflow 0
		.amdhsa_exception_fp_ieee_inexact 0
		.amdhsa_exception_int_div_zero 0
	.end_amdhsa_kernel
	.section	.text._ZN7rocprim6detail25device_scan_by_key_kernelILNS0_25lookback_scan_determinismE0ELb0ENS0_26wrapped_scan_by_key_configINS_14default_configEi12hip_bfloat16EEPiN6hipcub22TransformInputIteratorIS5_NS8_6CastOpIS5_EEPS5_lEESC_S5_NS8_8EqualityENS8_3MaxENS0_19lookback_scan_stateINS_5tupleIJS5_bEEELb0ELb1EEES5_EEvT2_T3_T4_T5_T6_T7_T8_mmmPKNSH_IJT9_bEEE,"axG",@progbits,_ZN7rocprim6detail25device_scan_by_key_kernelILNS0_25lookback_scan_determinismE0ELb0ENS0_26wrapped_scan_by_key_configINS_14default_configEi12hip_bfloat16EEPiN6hipcub22TransformInputIteratorIS5_NS8_6CastOpIS5_EEPS5_lEESC_S5_NS8_8EqualityENS8_3MaxENS0_19lookback_scan_stateINS_5tupleIJS5_bEEELb0ELb1EEES5_EEvT2_T3_T4_T5_T6_T7_T8_mmmPKNSH_IJT9_bEEE,comdat
.Lfunc_end54:
	.size	_ZN7rocprim6detail25device_scan_by_key_kernelILNS0_25lookback_scan_determinismE0ELb0ENS0_26wrapped_scan_by_key_configINS_14default_configEi12hip_bfloat16EEPiN6hipcub22TransformInputIteratorIS5_NS8_6CastOpIS5_EEPS5_lEESC_S5_NS8_8EqualityENS8_3MaxENS0_19lookback_scan_stateINS_5tupleIJS5_bEEELb0ELb1EEES5_EEvT2_T3_T4_T5_T6_T7_T8_mmmPKNSH_IJT9_bEEE, .Lfunc_end54-_ZN7rocprim6detail25device_scan_by_key_kernelILNS0_25lookback_scan_determinismE0ELb0ENS0_26wrapped_scan_by_key_configINS_14default_configEi12hip_bfloat16EEPiN6hipcub22TransformInputIteratorIS5_NS8_6CastOpIS5_EEPS5_lEESC_S5_NS8_8EqualityENS8_3MaxENS0_19lookback_scan_stateINS_5tupleIJS5_bEEELb0ELb1EEES5_EEvT2_T3_T4_T5_T6_T7_T8_mmmPKNSH_IJT9_bEEE
                                        ; -- End function
	.section	.AMDGPU.csdata,"",@progbits
; Kernel info:
; codeLenInByte = 17504
; NumSgprs: 46
; NumVgprs: 74
; ScratchSize: 0
; MemoryBound: 0
; FloatMode: 240
; IeeeMode: 1
; LDSByteSize: 6144 bytes/workgroup (compile time only)
; SGPRBlocks: 5
; VGPRBlocks: 9
; NumSGPRsForWavesPerEU: 46
; NumVGPRsForWavesPerEU: 74
; Occupancy: 11
; WaveLimiterHint : 1
; COMPUTE_PGM_RSRC2:SCRATCH_EN: 0
; COMPUTE_PGM_RSRC2:USER_SGPR: 15
; COMPUTE_PGM_RSRC2:TRAP_HANDLER: 0
; COMPUTE_PGM_RSRC2:TGID_X_EN: 1
; COMPUTE_PGM_RSRC2:TGID_Y_EN: 0
; COMPUTE_PGM_RSRC2:TGID_Z_EN: 0
; COMPUTE_PGM_RSRC2:TIDIG_COMP_CNT: 0
	.section	.text._ZN7rocprim6detail25device_scan_by_key_kernelILNS0_25lookback_scan_determinismE0ELb0ENS0_26wrapped_scan_by_key_configINS_14default_configEiiEEPiN6hipcub22TransformInputIteratorIiNS7_6CastOpIiEES6_lEEPdiNS7_8EqualityENS7_3SumENS0_19lookback_scan_stateINS_5tupleIJibEEELb1ELb1EEEiEEvT2_T3_T4_T5_T6_T7_T8_mmmPKNSG_IJT9_bEEE,"axG",@progbits,_ZN7rocprim6detail25device_scan_by_key_kernelILNS0_25lookback_scan_determinismE0ELb0ENS0_26wrapped_scan_by_key_configINS_14default_configEiiEEPiN6hipcub22TransformInputIteratorIiNS7_6CastOpIiEES6_lEEPdiNS7_8EqualityENS7_3SumENS0_19lookback_scan_stateINS_5tupleIJibEEELb1ELb1EEEiEEvT2_T3_T4_T5_T6_T7_T8_mmmPKNSG_IJT9_bEEE,comdat
	.protected	_ZN7rocprim6detail25device_scan_by_key_kernelILNS0_25lookback_scan_determinismE0ELb0ENS0_26wrapped_scan_by_key_configINS_14default_configEiiEEPiN6hipcub22TransformInputIteratorIiNS7_6CastOpIiEES6_lEEPdiNS7_8EqualityENS7_3SumENS0_19lookback_scan_stateINS_5tupleIJibEEELb1ELb1EEEiEEvT2_T3_T4_T5_T6_T7_T8_mmmPKNSG_IJT9_bEEE ; -- Begin function _ZN7rocprim6detail25device_scan_by_key_kernelILNS0_25lookback_scan_determinismE0ELb0ENS0_26wrapped_scan_by_key_configINS_14default_configEiiEEPiN6hipcub22TransformInputIteratorIiNS7_6CastOpIiEES6_lEEPdiNS7_8EqualityENS7_3SumENS0_19lookback_scan_stateINS_5tupleIJibEEELb1ELb1EEEiEEvT2_T3_T4_T5_T6_T7_T8_mmmPKNSG_IJT9_bEEE
	.globl	_ZN7rocprim6detail25device_scan_by_key_kernelILNS0_25lookback_scan_determinismE0ELb0ENS0_26wrapped_scan_by_key_configINS_14default_configEiiEEPiN6hipcub22TransformInputIteratorIiNS7_6CastOpIiEES6_lEEPdiNS7_8EqualityENS7_3SumENS0_19lookback_scan_stateINS_5tupleIJibEEELb1ELb1EEEiEEvT2_T3_T4_T5_T6_T7_T8_mmmPKNSG_IJT9_bEEE
	.p2align	8
	.type	_ZN7rocprim6detail25device_scan_by_key_kernelILNS0_25lookback_scan_determinismE0ELb0ENS0_26wrapped_scan_by_key_configINS_14default_configEiiEEPiN6hipcub22TransformInputIteratorIiNS7_6CastOpIiEES6_lEEPdiNS7_8EqualityENS7_3SumENS0_19lookback_scan_stateINS_5tupleIJibEEELb1ELb1EEEiEEvT2_T3_T4_T5_T6_T7_T8_mmmPKNSG_IJT9_bEEE,@function
_ZN7rocprim6detail25device_scan_by_key_kernelILNS0_25lookback_scan_determinismE0ELb0ENS0_26wrapped_scan_by_key_configINS_14default_configEiiEEPiN6hipcub22TransformInputIteratorIiNS7_6CastOpIiEES6_lEEPdiNS7_8EqualityENS7_3SumENS0_19lookback_scan_stateINS_5tupleIJibEEELb1ELb1EEEiEEvT2_T3_T4_T5_T6_T7_T8_mmmPKNSG_IJT9_bEEE: ; @_ZN7rocprim6detail25device_scan_by_key_kernelILNS0_25lookback_scan_determinismE0ELb0ENS0_26wrapped_scan_by_key_configINS_14default_configEiiEEPiN6hipcub22TransformInputIteratorIiNS7_6CastOpIiEES6_lEEPdiNS7_8EqualityENS7_3SumENS0_19lookback_scan_stateINS_5tupleIJibEEELb1ELb1EEEiEEvT2_T3_T4_T5_T6_T7_T8_mmmPKNSG_IJT9_bEEE
; %bb.0:
	s_endpgm
	.section	.rodata,"a",@progbits
	.p2align	6, 0x0
	.amdhsa_kernel _ZN7rocprim6detail25device_scan_by_key_kernelILNS0_25lookback_scan_determinismE0ELb0ENS0_26wrapped_scan_by_key_configINS_14default_configEiiEEPiN6hipcub22TransformInputIteratorIiNS7_6CastOpIiEES6_lEEPdiNS7_8EqualityENS7_3SumENS0_19lookback_scan_stateINS_5tupleIJibEEELb1ELb1EEEiEEvT2_T3_T4_T5_T6_T7_T8_mmmPKNSG_IJT9_bEEE
		.amdhsa_group_segment_fixed_size 0
		.amdhsa_private_segment_fixed_size 0
		.amdhsa_kernarg_size 80
		.amdhsa_user_sgpr_count 15
		.amdhsa_user_sgpr_dispatch_ptr 0
		.amdhsa_user_sgpr_queue_ptr 0
		.amdhsa_user_sgpr_kernarg_segment_ptr 1
		.amdhsa_user_sgpr_dispatch_id 0
		.amdhsa_user_sgpr_private_segment_size 0
		.amdhsa_wavefront_size32 1
		.amdhsa_uses_dynamic_stack 0
		.amdhsa_enable_private_segment 0
		.amdhsa_system_sgpr_workgroup_id_x 1
		.amdhsa_system_sgpr_workgroup_id_y 0
		.amdhsa_system_sgpr_workgroup_id_z 0
		.amdhsa_system_sgpr_workgroup_info 0
		.amdhsa_system_vgpr_workitem_id 0
		.amdhsa_next_free_vgpr 1
		.amdhsa_next_free_sgpr 1
		.amdhsa_reserve_vcc 0
		.amdhsa_float_round_mode_32 0
		.amdhsa_float_round_mode_16_64 0
		.amdhsa_float_denorm_mode_32 3
		.amdhsa_float_denorm_mode_16_64 3
		.amdhsa_dx10_clamp 1
		.amdhsa_ieee_mode 1
		.amdhsa_fp16_overflow 0
		.amdhsa_workgroup_processor_mode 1
		.amdhsa_memory_ordered 1
		.amdhsa_forward_progress 0
		.amdhsa_shared_vgpr_count 0
		.amdhsa_exception_fp_ieee_invalid_op 0
		.amdhsa_exception_fp_denorm_src 0
		.amdhsa_exception_fp_ieee_div_zero 0
		.amdhsa_exception_fp_ieee_overflow 0
		.amdhsa_exception_fp_ieee_underflow 0
		.amdhsa_exception_fp_ieee_inexact 0
		.amdhsa_exception_int_div_zero 0
	.end_amdhsa_kernel
	.section	.text._ZN7rocprim6detail25device_scan_by_key_kernelILNS0_25lookback_scan_determinismE0ELb0ENS0_26wrapped_scan_by_key_configINS_14default_configEiiEEPiN6hipcub22TransformInputIteratorIiNS7_6CastOpIiEES6_lEEPdiNS7_8EqualityENS7_3SumENS0_19lookback_scan_stateINS_5tupleIJibEEELb1ELb1EEEiEEvT2_T3_T4_T5_T6_T7_T8_mmmPKNSG_IJT9_bEEE,"axG",@progbits,_ZN7rocprim6detail25device_scan_by_key_kernelILNS0_25lookback_scan_determinismE0ELb0ENS0_26wrapped_scan_by_key_configINS_14default_configEiiEEPiN6hipcub22TransformInputIteratorIiNS7_6CastOpIiEES6_lEEPdiNS7_8EqualityENS7_3SumENS0_19lookback_scan_stateINS_5tupleIJibEEELb1ELb1EEEiEEvT2_T3_T4_T5_T6_T7_T8_mmmPKNSG_IJT9_bEEE,comdat
.Lfunc_end55:
	.size	_ZN7rocprim6detail25device_scan_by_key_kernelILNS0_25lookback_scan_determinismE0ELb0ENS0_26wrapped_scan_by_key_configINS_14default_configEiiEEPiN6hipcub22TransformInputIteratorIiNS7_6CastOpIiEES6_lEEPdiNS7_8EqualityENS7_3SumENS0_19lookback_scan_stateINS_5tupleIJibEEELb1ELb1EEEiEEvT2_T3_T4_T5_T6_T7_T8_mmmPKNSG_IJT9_bEEE, .Lfunc_end55-_ZN7rocprim6detail25device_scan_by_key_kernelILNS0_25lookback_scan_determinismE0ELb0ENS0_26wrapped_scan_by_key_configINS_14default_configEiiEEPiN6hipcub22TransformInputIteratorIiNS7_6CastOpIiEES6_lEEPdiNS7_8EqualityENS7_3SumENS0_19lookback_scan_stateINS_5tupleIJibEEELb1ELb1EEEiEEvT2_T3_T4_T5_T6_T7_T8_mmmPKNSG_IJT9_bEEE
                                        ; -- End function
	.section	.AMDGPU.csdata,"",@progbits
; Kernel info:
; codeLenInByte = 4
; NumSgprs: 0
; NumVgprs: 0
; ScratchSize: 0
; MemoryBound: 0
; FloatMode: 240
; IeeeMode: 1
; LDSByteSize: 0 bytes/workgroup (compile time only)
; SGPRBlocks: 0
; VGPRBlocks: 0
; NumSGPRsForWavesPerEU: 1
; NumVGPRsForWavesPerEU: 1
; Occupancy: 16
; WaveLimiterHint : 0
; COMPUTE_PGM_RSRC2:SCRATCH_EN: 0
; COMPUTE_PGM_RSRC2:USER_SGPR: 15
; COMPUTE_PGM_RSRC2:TRAP_HANDLER: 0
; COMPUTE_PGM_RSRC2:TGID_X_EN: 1
; COMPUTE_PGM_RSRC2:TGID_Y_EN: 0
; COMPUTE_PGM_RSRC2:TGID_Z_EN: 0
; COMPUTE_PGM_RSRC2:TIDIG_COMP_CNT: 0
	.section	.text._ZN7rocprim6detail25device_scan_by_key_kernelILNS0_25lookback_scan_determinismE0ELb0ENS0_26wrapped_scan_by_key_configINS_14default_configEiiEEPiN6hipcub22TransformInputIteratorIiNS7_6CastOpIiEES6_lEEPdiNS7_8EqualityENS7_3SumENS0_19lookback_scan_stateINS_5tupleIJibEEELb0ELb1EEEiEEvT2_T3_T4_T5_T6_T7_T8_mmmPKNSG_IJT9_bEEE,"axG",@progbits,_ZN7rocprim6detail25device_scan_by_key_kernelILNS0_25lookback_scan_determinismE0ELb0ENS0_26wrapped_scan_by_key_configINS_14default_configEiiEEPiN6hipcub22TransformInputIteratorIiNS7_6CastOpIiEES6_lEEPdiNS7_8EqualityENS7_3SumENS0_19lookback_scan_stateINS_5tupleIJibEEELb0ELb1EEEiEEvT2_T3_T4_T5_T6_T7_T8_mmmPKNSG_IJT9_bEEE,comdat
	.protected	_ZN7rocprim6detail25device_scan_by_key_kernelILNS0_25lookback_scan_determinismE0ELb0ENS0_26wrapped_scan_by_key_configINS_14default_configEiiEEPiN6hipcub22TransformInputIteratorIiNS7_6CastOpIiEES6_lEEPdiNS7_8EqualityENS7_3SumENS0_19lookback_scan_stateINS_5tupleIJibEEELb0ELb1EEEiEEvT2_T3_T4_T5_T6_T7_T8_mmmPKNSG_IJT9_bEEE ; -- Begin function _ZN7rocprim6detail25device_scan_by_key_kernelILNS0_25lookback_scan_determinismE0ELb0ENS0_26wrapped_scan_by_key_configINS_14default_configEiiEEPiN6hipcub22TransformInputIteratorIiNS7_6CastOpIiEES6_lEEPdiNS7_8EqualityENS7_3SumENS0_19lookback_scan_stateINS_5tupleIJibEEELb0ELb1EEEiEEvT2_T3_T4_T5_T6_T7_T8_mmmPKNSG_IJT9_bEEE
	.globl	_ZN7rocprim6detail25device_scan_by_key_kernelILNS0_25lookback_scan_determinismE0ELb0ENS0_26wrapped_scan_by_key_configINS_14default_configEiiEEPiN6hipcub22TransformInputIteratorIiNS7_6CastOpIiEES6_lEEPdiNS7_8EqualityENS7_3SumENS0_19lookback_scan_stateINS_5tupleIJibEEELb0ELb1EEEiEEvT2_T3_T4_T5_T6_T7_T8_mmmPKNSG_IJT9_bEEE
	.p2align	8
	.type	_ZN7rocprim6detail25device_scan_by_key_kernelILNS0_25lookback_scan_determinismE0ELb0ENS0_26wrapped_scan_by_key_configINS_14default_configEiiEEPiN6hipcub22TransformInputIteratorIiNS7_6CastOpIiEES6_lEEPdiNS7_8EqualityENS7_3SumENS0_19lookback_scan_stateINS_5tupleIJibEEELb0ELb1EEEiEEvT2_T3_T4_T5_T6_T7_T8_mmmPKNSG_IJT9_bEEE,@function
_ZN7rocprim6detail25device_scan_by_key_kernelILNS0_25lookback_scan_determinismE0ELb0ENS0_26wrapped_scan_by_key_configINS_14default_configEiiEEPiN6hipcub22TransformInputIteratorIiNS7_6CastOpIiEES6_lEEPdiNS7_8EqualityENS7_3SumENS0_19lookback_scan_stateINS_5tupleIJibEEELb0ELb1EEEiEEvT2_T3_T4_T5_T6_T7_T8_mmmPKNSG_IJT9_bEEE: ; @_ZN7rocprim6detail25device_scan_by_key_kernelILNS0_25lookback_scan_determinismE0ELb0ENS0_26wrapped_scan_by_key_configINS_14default_configEiiEEPiN6hipcub22TransformInputIteratorIiNS7_6CastOpIiEES6_lEEPdiNS7_8EqualityENS7_3SumENS0_19lookback_scan_stateINS_5tupleIJibEEELb0ELb1EEEiEEvT2_T3_T4_T5_T6_T7_T8_mmmPKNSG_IJT9_bEEE
; %bb.0:
	s_clause 0x1
	s_load_b128 s[4:7], s[0:1], 0x0
	s_load_b256 s[16:23], s[0:1], 0x28
	s_mov_b32 s35, 0
	s_mul_i32 s34, s15, 0x900
	s_load_b64 s[12:13], s[0:1], 0x48
	s_lshl_b64 s[2:3], s[34:35], 2
	v_lshlrev_b32_e32 v29, 2, v0
	s_waitcnt lgkmcnt(0)
	s_add_u32 s38, s4, s2
	s_addc_u32 s39, s5, s3
	s_add_u32 s36, s6, s2
	s_addc_u32 s37, s7, s3
	;; [unrolled: 2-line block ×3, first 2 shown]
	s_add_u32 s4, s22, -1
	s_addc_u32 s5, s23, -1
	s_mul_i32 s19, s4, 0xfffff700
	v_cmp_ge_u64_e64 s22, s[2:3], s[4:5]
	s_delay_alu instid0(VALU_DEP_1)
	s_and_b32 vcc_lo, exec_lo, s22
	s_cbranch_vccz .LBB56_29
; %bb.1:
	s_load_b32 s10, s[38:39], 0x0
	s_add_i32 s14, s19, s18
	v_add_co_u32 v1, s2, s38, v29
	s_delay_alu instid0(VALU_DEP_1)
	v_add_co_ci_u32_e64 v2, null, s39, 0, s2
	v_cmp_gt_u32_e32 vcc_lo, s14, v0
	s_waitcnt lgkmcnt(0)
	v_mov_b32_e32 v3, s10
	s_and_saveexec_b32 s2, vcc_lo
	s_cbranch_execz .LBB56_3
; %bb.2:
	global_load_b32 v3, v[1:2], off
.LBB56_3:
	s_or_b32 exec_lo, exec_lo, s2
	v_or_b32_e32 v4, 0x100, v0
	s_delay_alu instid0(VALU_DEP_1) | instskip(SKIP_1) | instid1(VALU_DEP_2)
	v_cmp_gt_u32_e64 s2, s14, v4
	v_mov_b32_e32 v4, s10
	s_and_saveexec_b32 s3, s2
	s_cbranch_execz .LBB56_5
; %bb.4:
	global_load_b32 v4, v[1:2], off offset:1024
.LBB56_5:
	s_or_b32 exec_lo, exec_lo, s3
	v_or_b32_e32 v5, 0x200, v0
	s_delay_alu instid0(VALU_DEP_1) | instskip(SKIP_1) | instid1(VALU_DEP_2)
	v_cmp_gt_u32_e64 s3, s14, v5
	v_mov_b32_e32 v5, s10
	s_and_saveexec_b32 s4, s3
	s_cbranch_execz .LBB56_7
; %bb.6:
	global_load_b32 v5, v[1:2], off offset:2048
.LBB56_7:
	s_or_b32 exec_lo, exec_lo, s4
	v_or_b32_e32 v6, 0x300, v0
	s_delay_alu instid0(VALU_DEP_1) | instskip(SKIP_1) | instid1(VALU_DEP_2)
	v_cmp_gt_u32_e64 s4, s14, v6
	v_mov_b32_e32 v6, s10
	s_and_saveexec_b32 s5, s4
	s_cbranch_execz .LBB56_9
; %bb.8:
	global_load_b32 v6, v[1:2], off offset:3072
.LBB56_9:
	s_or_b32 exec_lo, exec_lo, s5
	v_or_b32_e32 v7, 0x400, v0
	s_delay_alu instid0(VALU_DEP_1) | instskip(SKIP_1) | instid1(VALU_DEP_2)
	v_cmp_gt_u32_e64 s5, s14, v7
	v_mov_b32_e32 v7, s10
	s_and_saveexec_b32 s7, s5
	s_cbranch_execz .LBB56_11
; %bb.10:
	v_add_co_u32 v7, s6, 0x1000, v1
	s_delay_alu instid0(VALU_DEP_1)
	v_add_co_ci_u32_e64 v8, s6, 0, v2, s6
	global_load_b32 v7, v[7:8], off
.LBB56_11:
	s_or_b32 exec_lo, exec_lo, s7
	v_or_b32_e32 v8, 0x500, v0
	s_delay_alu instid0(VALU_DEP_1) | instskip(SKIP_1) | instid1(VALU_DEP_2)
	v_cmp_gt_u32_e64 s6, s14, v8
	v_mov_b32_e32 v8, s10
	s_and_saveexec_b32 s8, s6
	s_cbranch_execz .LBB56_13
; %bb.12:
	v_add_co_u32 v8, s7, 0x1000, v1
	s_delay_alu instid0(VALU_DEP_1)
	v_add_co_ci_u32_e64 v9, s7, 0, v2, s7
	global_load_b32 v8, v[8:9], off offset:1024
.LBB56_13:
	s_or_b32 exec_lo, exec_lo, s8
	v_or_b32_e32 v9, 0x600, v0
	s_delay_alu instid0(VALU_DEP_1) | instskip(SKIP_1) | instid1(VALU_DEP_2)
	v_cmp_gt_u32_e64 s7, s14, v9
	v_mov_b32_e32 v9, s10
	s_and_saveexec_b32 s9, s7
	s_cbranch_execz .LBB56_15
; %bb.14:
	v_add_co_u32 v9, s8, 0x1000, v1
	s_delay_alu instid0(VALU_DEP_1)
	v_add_co_ci_u32_e64 v10, s8, 0, v2, s8
	global_load_b32 v9, v[9:10], off offset:2048
.LBB56_15:
	;; [unrolled: 13-line block ×3, first 2 shown]
	s_or_b32 exec_lo, exec_lo, s11
	v_or_b32_e32 v11, 0x800, v0
	s_delay_alu instid0(VALU_DEP_1) | instskip(SKIP_1) | instid1(VALU_DEP_2)
	v_cmp_gt_u32_e64 s9, s14, v11
	v_mov_b32_e32 v11, s10
	s_and_saveexec_b32 s11, s9
	s_cbranch_execz .LBB56_19
; %bb.18:
	v_add_co_u32 v1, s10, 0x2000, v1
	s_delay_alu instid0(VALU_DEP_1)
	v_add_co_ci_u32_e64 v2, s10, 0, v2, s10
	global_load_b32 v11, v[1:2], off
.LBB56_19:
	s_or_b32 exec_lo, exec_lo, s11
	s_sub_u32 s10, 0, s15
	s_subb_u32 s11, 0, 0
	s_waitcnt vmcnt(0)
	ds_store_2addr_stride64_b32 v29, v3, v4 offset1:4
	ds_store_2addr_stride64_b32 v29, v5, v6 offset0:8 offset1:12
	ds_store_2addr_stride64_b32 v29, v7, v8 offset0:16 offset1:20
	;; [unrolled: 1-line block ×3, first 2 shown]
	ds_store_b32 v29, v11 offset:8192
	s_cmp_eq_u64 s[10:11], s[20:21]
	s_waitcnt lgkmcnt(0)
	s_cselect_b32 s10, 0, -4
	s_cselect_b32 s11, 0, -1
	s_add_u32 s10, s38, s10
	s_addc_u32 s11, s39, s11
	s_barrier
	buffer_gl0_inv
	s_load_b32 s11, s[10:11], 0x0
	s_waitcnt lgkmcnt(0)
	v_dual_mov_b32 v26, s11 :: v_dual_lshlrev_b32 v1, 5, v0
	s_delay_alu instid0(VALU_DEP_1)
	v_add_nc_u32_e32 v28, v29, v1
	s_mov_b32 s11, exec_lo
	ds_load_b32 v30, v28 offset:32
	ds_load_2addr_b32 v[24:25], v28 offset1:1
	ds_load_2addr_b32 v[22:23], v28 offset0:2 offset1:3
	ds_load_2addr_b32 v[11:12], v28 offset0:4 offset1:5
	;; [unrolled: 1-line block ×3, first 2 shown]
	s_waitcnt lgkmcnt(4)
	ds_store_b32 v29, v30 offset:9216
	s_waitcnt lgkmcnt(0)
	s_barrier
	buffer_gl0_inv
	v_cmpx_ne_u32_e32 0, v0
	s_cbranch_execz .LBB56_21
; %bb.20:
	v_sub_nc_u32_e32 v1, 0, v1
	s_delay_alu instid0(VALU_DEP_1)
	v_add_nc_u32_e32 v1, v28, v1
	ds_load_b32 v26, v1 offset:9212
.LBB56_21:
	s_or_b32 exec_lo, exec_lo, s11
	v_add_co_u32 v1, s10, s36, v29
	s_delay_alu instid0(VALU_DEP_1)
	v_add_co_ci_u32_e64 v2, null, s37, 0, s10
	s_waitcnt lgkmcnt(0)
	s_barrier
	buffer_gl0_inv
                                        ; implicit-def: $vgpr3
	s_and_saveexec_b32 s10, vcc_lo
	s_cbranch_execz .LBB56_30
; %bb.22:
	global_load_b32 v3, v[1:2], off
	s_or_b32 exec_lo, exec_lo, s10
                                        ; implicit-def: $vgpr4
	s_and_saveexec_b32 s10, s2
	s_cbranch_execnz .LBB56_31
.LBB56_23:
	s_or_b32 exec_lo, exec_lo, s10
                                        ; implicit-def: $vgpr5
	s_and_saveexec_b32 s2, s3
	s_cbranch_execz .LBB56_32
.LBB56_24:
	global_load_b32 v5, v[1:2], off offset:2048
	s_or_b32 exec_lo, exec_lo, s2
                                        ; implicit-def: $vgpr6
	s_and_saveexec_b32 s2, s4
	s_cbranch_execnz .LBB56_33
.LBB56_25:
	s_or_b32 exec_lo, exec_lo, s2
                                        ; implicit-def: $vgpr7
	s_and_saveexec_b32 s2, s5
	s_cbranch_execz .LBB56_34
.LBB56_26:
	v_add_co_u32 v7, vcc_lo, 0x1000, v1
	v_add_co_ci_u32_e32 v8, vcc_lo, 0, v2, vcc_lo
	global_load_b32 v7, v[7:8], off
	s_or_b32 exec_lo, exec_lo, s2
                                        ; implicit-def: $vgpr8
	s_and_saveexec_b32 s2, s6
	s_cbranch_execnz .LBB56_35
.LBB56_27:
	s_or_b32 exec_lo, exec_lo, s2
                                        ; implicit-def: $vgpr13
	s_and_saveexec_b32 s2, s7
	s_cbranch_execz .LBB56_36
.LBB56_28:
	v_add_co_u32 v13, vcc_lo, 0x1000, v1
	v_add_co_ci_u32_e32 v14, vcc_lo, 0, v2, vcc_lo
	global_load_b32 v13, v[13:14], off offset:2048
	s_or_b32 exec_lo, exec_lo, s2
                                        ; implicit-def: $vgpr14
	s_and_saveexec_b32 s2, s8
	s_cbranch_execz .LBB56_38
	s_branch .LBB56_37
.LBB56_29:
	s_mov_b32 s3, s35
                                        ; implicit-def: $sgpr8
                                        ; implicit-def: $vgpr1_vgpr2_vgpr3_vgpr4_vgpr5_vgpr6_vgpr7_vgpr8
                                        ; implicit-def: $vgpr13
                                        ; implicit-def: $vgpr14_vgpr15
                                        ; implicit-def: $vgpr16_vgpr17
                                        ; implicit-def: $vgpr18_vgpr19
                                        ; implicit-def: $vgpr20_vgpr21
                                        ; implicit-def: $sgpr6_sgpr7
	v_lshlrev_b32_e32 v28, 5, v0
	v_cmp_ne_u32_e64 s2, 0, v0
	s_cbranch_execz .LBB56_60
	s_branch .LBB56_57
.LBB56_30:
	s_or_b32 exec_lo, exec_lo, s10
                                        ; implicit-def: $vgpr4
	s_and_saveexec_b32 s10, s2
	s_cbranch_execz .LBB56_23
.LBB56_31:
	global_load_b32 v4, v[1:2], off offset:1024
	s_or_b32 exec_lo, exec_lo, s10
                                        ; implicit-def: $vgpr5
	s_and_saveexec_b32 s2, s3
	s_cbranch_execnz .LBB56_24
.LBB56_32:
	s_or_b32 exec_lo, exec_lo, s2
                                        ; implicit-def: $vgpr6
	s_and_saveexec_b32 s2, s4
	s_cbranch_execz .LBB56_25
.LBB56_33:
	global_load_b32 v6, v[1:2], off offset:3072
	s_or_b32 exec_lo, exec_lo, s2
                                        ; implicit-def: $vgpr7
	s_and_saveexec_b32 s2, s5
	s_cbranch_execnz .LBB56_26
.LBB56_34:
	s_or_b32 exec_lo, exec_lo, s2
                                        ; implicit-def: $vgpr8
	s_and_saveexec_b32 s2, s6
	s_cbranch_execz .LBB56_27
.LBB56_35:
	v_add_co_u32 v13, vcc_lo, 0x1000, v1
	v_add_co_ci_u32_e32 v14, vcc_lo, 0, v2, vcc_lo
	global_load_b32 v8, v[13:14], off offset:1024
	s_or_b32 exec_lo, exec_lo, s2
                                        ; implicit-def: $vgpr13
	s_and_saveexec_b32 s2, s7
	s_cbranch_execnz .LBB56_28
.LBB56_36:
	s_or_b32 exec_lo, exec_lo, s2
                                        ; implicit-def: $vgpr14
	s_and_saveexec_b32 s2, s8
	s_cbranch_execz .LBB56_38
.LBB56_37:
	v_add_co_u32 v14, vcc_lo, 0x1000, v1
	v_add_co_ci_u32_e32 v15, vcc_lo, 0, v2, vcc_lo
	global_load_b32 v14, v[14:15], off offset:3072
.LBB56_38:
	s_or_b32 exec_lo, exec_lo, s2
	v_mul_u32_u24_e32 v31, 9, v0
                                        ; implicit-def: $vgpr15
	s_and_saveexec_b32 s2, s9
	s_cbranch_execz .LBB56_40
; %bb.39:
	v_add_co_u32 v1, vcc_lo, 0x2000, v1
	v_add_co_ci_u32_e32 v2, vcc_lo, 0, v2, vcc_lo
	global_load_b32 v15, v[1:2], off
.LBB56_40:
	s_or_b32 exec_lo, exec_lo, s2
	s_mov_b32 s4, 0
	s_waitcnt vmcnt(0)
	ds_store_2addr_stride64_b32 v29, v3, v4 offset1:4
	ds_store_2addr_stride64_b32 v29, v5, v6 offset0:8 offset1:12
	ds_store_2addr_stride64_b32 v29, v7, v8 offset0:16 offset1:20
	;; [unrolled: 1-line block ×3, first 2 shown]
	ds_store_b32 v29, v15 offset:8192
	s_mov_b32 s5, s4
	s_mov_b32 s6, s4
	;; [unrolled: 1-line block ×7, first 2 shown]
	v_dual_mov_b32 v14, 0 :: v_dual_mov_b32 v1, s4
	v_dual_mov_b32 v15, 0 :: v_dual_mov_b32 v2, s5
	;; [unrolled: 1-line block ×5, first 2 shown]
	s_delay_alu instid0(VALU_DEP_4)
	v_dual_mov_b32 v17, v15 :: v_dual_mov_b32 v16, v14
	v_dual_mov_b32 v19, v15 :: v_dual_mov_b32 v18, v14
	;; [unrolled: 1-line block ×3, first 2 shown]
	s_mov_b64 s[6:7], 0
	s_mov_b32 s3, 0
	s_mov_b32 s5, exec_lo
	s_waitcnt lgkmcnt(0)
	s_barrier
	buffer_gl0_inv
                                        ; implicit-def: $sgpr8
                                        ; implicit-def: $vgpr13
	v_cmpx_gt_u32_e64 s14, v31
	s_cbranch_execz .LBB56_56
; %bb.41:
	ds_load_b32 v14, v28
	s_mov_b32 s24, 0
	v_dual_mov_b32 v16, 0 :: v_dual_add_nc_u32 v1, 1, v31
	v_cmp_ne_u32_e32 vcc_lo, v26, v24
	s_mov_b32 s25, s24
	s_mov_b32 s26, s24
	;; [unrolled: 1-line block ×7, first 2 shown]
	v_mov_b32_e32 v17, 0
	v_cndmask_b32_e64 v15, 0, 1, vcc_lo
	v_cmp_gt_u32_e32 vcc_lo, s14, v1
	v_dual_mov_b32 v1, s24 :: v_dual_mov_b32 v4, s27
	s_delay_alu instid0(VALU_DEP_4)
	v_dual_mov_b32 v2, s25 :: v_dual_mov_b32 v19, v17
	v_dual_mov_b32 v21, v17 :: v_dual_mov_b32 v20, v16
	v_dual_mov_b32 v3, s26 :: v_dual_mov_b32 v6, s29
	v_dual_mov_b32 v5, s28 :: v_dual_mov_b32 v8, s31
	v_dual_mov_b32 v7, s30 :: v_dual_mov_b32 v18, v16
                                        ; implicit-def: $sgpr2
                                        ; implicit-def: $vgpr13
	s_and_saveexec_b32 s8, vcc_lo
	s_cbranch_execz .LBB56_55
; %bb.42:
	ds_load_2addr_b32 v[26:27], v28 offset0:1 offset1:2
	v_dual_mov_b32 v18, 0 :: v_dual_add_nc_u32 v13, 2, v31
	s_mov_b32 s25, s24
	s_mov_b32 s26, s24
	;; [unrolled: 1-line block ×7, first 2 shown]
	v_mov_b32_e32 v19, 0
	v_cmp_ne_u32_e32 vcc_lo, v24, v25
	v_dual_mov_b32 v1, s24 :: v_dual_mov_b32 v4, s27
	v_dual_mov_b32 v2, s25 :: v_dual_mov_b32 v3, s26
	v_mov_b32_e32 v6, s29
	v_cndmask_b32_e64 v17, 0, 1, vcc_lo
	v_dual_mov_b32 v5, s28 :: v_dual_mov_b32 v8, s31
	s_waitcnt lgkmcnt(0)
	v_dual_mov_b32 v7, s30 :: v_dual_mov_b32 v16, v26
	v_cmp_gt_u32_e32 vcc_lo, s14, v13
	v_dual_mov_b32 v21, v19 :: v_dual_mov_b32 v20, v18
                                        ; implicit-def: $sgpr2
                                        ; implicit-def: $vgpr13
	s_and_saveexec_b32 s9, vcc_lo
	s_cbranch_execz .LBB56_54
; %bb.43:
	v_dual_mov_b32 v18, v27 :: v_dual_add_nc_u32 v1, 3, v31
	v_cmp_ne_u32_e32 vcc_lo, v25, v22
	s_mov_b32 s25, s24
	s_mov_b32 s26, s24
	;; [unrolled: 1-line block ×7, first 2 shown]
	v_cndmask_b32_e64 v19, 0, 1, vcc_lo
	v_cmp_gt_u32_e32 vcc_lo, s14, v1
	v_dual_mov_b32 v20, 0 :: v_dual_mov_b32 v1, s24
	v_dual_mov_b32 v21, 0 :: v_dual_mov_b32 v2, s25
	;; [unrolled: 1-line block ×5, first 2 shown]
                                        ; implicit-def: $sgpr2
                                        ; implicit-def: $vgpr13
	s_and_saveexec_b32 s10, vcc_lo
	s_cbranch_execz .LBB56_53
; %bb.44:
	ds_load_2addr_b32 v[24:25], v28 offset0:3 offset1:4
	v_add_nc_u32_e32 v1, 4, v31
	v_cmp_ne_u32_e32 vcc_lo, v22, v23
	s_mov_b32 s25, s24
	s_mov_b32 s26, s24
	s_mov_b32 s27, s24
	s_mov_b32 s28, s24
	s_mov_b32 s29, s24
	s_mov_b32 s30, s24
	s_mov_b32 s31, s24
	v_cndmask_b32_e64 v21, 0, 1, vcc_lo
                                        ; implicit-def: $sgpr3
                                        ; implicit-def: $vgpr13
	s_waitcnt lgkmcnt(0)
	v_mov_b32_e32 v20, v24
	v_cmp_gt_u32_e32 vcc_lo, s14, v1
	v_dual_mov_b32 v1, s24 :: v_dual_mov_b32 v2, s25
	v_dual_mov_b32 v3, s26 :: v_dual_mov_b32 v4, s27
	;; [unrolled: 1-line block ×4, first 2 shown]
	s_and_saveexec_b32 s11, vcc_lo
	s_cbranch_execz .LBB56_52
; %bb.45:
	v_mov_b32_e32 v5, 0
	v_add_nc_u32_e32 v3, 5, v31
	v_cmp_ne_u32_e32 vcc_lo, v23, v11
	v_mov_b32_e32 v1, v25
	s_mov_b32 s2, 0
	v_mov_b32_e32 v4, v5
	v_mov_b32_e32 v6, v5
	v_cndmask_b32_e64 v2, 0, 1, vcc_lo
	v_cmp_gt_u32_e32 vcc_lo, s14, v3
	v_mov_b32_e32 v3, v5
	v_mov_b32_e32 v7, v5
	v_mov_b32_e32 v8, v5
                                        ; implicit-def: $sgpr3
                                        ; implicit-def: $vgpr13
	s_and_saveexec_b32 s23, vcc_lo
	s_cbranch_execz .LBB56_51
; %bb.46:
	ds_load_2addr_b32 v[22:23], v28 offset0:5 offset1:6
	v_dual_mov_b32 v6, v5 :: v_dual_add_nc_u32 v3, 6, v31
	v_cmp_ne_u32_e32 vcc_lo, v11, v12
	v_mov_b32_e32 v1, v25
	v_mov_b32_e32 v7, v5
                                        ; implicit-def: $sgpr3
                                        ; implicit-def: $vgpr13
	v_mov_b32_e32 v8, v5
	v_cndmask_b32_e64 v4, 0, 1, vcc_lo
	v_cmp_gt_u32_e32 vcc_lo, s14, v3
	s_waitcnt lgkmcnt(0)
	v_mov_b32_e32 v3, v22
	s_and_saveexec_b32 s24, vcc_lo
	s_cbranch_execz .LBB56_50
; %bb.47:
	v_dual_mov_b32 v8, s2 :: v_dual_add_nc_u32 v7, 7, v31
	v_cmp_ne_u32_e32 vcc_lo, v12, v9
	v_mov_b32_e32 v5, v23
                                        ; implicit-def: $sgpr3
                                        ; implicit-def: $vgpr13
	v_cndmask_b32_e64 v6, 0, 1, vcc_lo
	s_delay_alu instid0(VALU_DEP_4) | instskip(SKIP_2) | instid1(SALU_CYCLE_1)
	v_cmp_gt_u32_e32 vcc_lo, s14, v7
	v_mov_b32_e32 v7, s2
	s_and_saveexec_b32 s25, vcc_lo
	s_xor_b32 s25, exec_lo, s25
	s_cbranch_execz .LBB56_49
; %bb.48:
	ds_load_2addr_b32 v[12:13], v28 offset0:7 offset1:8
	v_add_nc_u32_e32 v7, 8, v31
	v_cmp_ne_u32_e64 s3, v9, v10
	v_cmp_ne_u32_e32 vcc_lo, v10, v30
	s_delay_alu instid0(VALU_DEP_3) | instskip(NEXT) | instid1(VALU_DEP_3)
	v_cmp_gt_u32_e64 s2, s14, v7
	v_cndmask_b32_e64 v8, 0, 1, s3
	s_and_b32 s3, vcc_lo, exec_lo
	s_delay_alu instid0(VALU_DEP_2)
	s_and_b32 s2, s2, exec_lo
	s_waitcnt lgkmcnt(0)
	v_mov_b32_e32 v7, v12
.LBB56_49:
	s_or_b32 exec_lo, exec_lo, s25
	s_delay_alu instid0(SALU_CYCLE_1)
	s_and_b32 s3, s3, exec_lo
	s_and_b32 s2, s2, exec_lo
.LBB56_50:
	s_or_b32 exec_lo, exec_lo, s24
	s_delay_alu instid0(SALU_CYCLE_1)
	s_and_b32 s3, s3, exec_lo
	s_and_b32 s2, s2, exec_lo
.LBB56_51:
	s_or_b32 exec_lo, exec_lo, s23
	s_delay_alu instid0(SALU_CYCLE_1)
	s_and_b32 s3, s3, exec_lo
	s_and_b32 s24, s2, exec_lo
.LBB56_52:
	s_or_b32 exec_lo, exec_lo, s11
	s_delay_alu instid0(SALU_CYCLE_1)
	s_and_b32 s2, s3, exec_lo
	s_and_b32 s24, s24, exec_lo
.LBB56_53:
	s_or_b32 exec_lo, exec_lo, s10
	s_delay_alu instid0(SALU_CYCLE_1)
	s_and_b32 s2, s2, exec_lo
	s_and_b32 s24, s24, exec_lo
.LBB56_54:
	s_or_b32 exec_lo, exec_lo, s9
	s_delay_alu instid0(SALU_CYCLE_1)
	s_and_b32 s2, s2, exec_lo
	s_and_b32 s24, s24, exec_lo
.LBB56_55:
	s_or_b32 exec_lo, exec_lo, s8
	s_delay_alu instid0(SALU_CYCLE_1)
	s_and_b32 s8, s2, exec_lo
	s_and_b32 s3, s24, exec_lo
.LBB56_56:
	s_or_b32 exec_lo, exec_lo, s5
	v_lshlrev_b32_e32 v28, 5, v0
	v_cmp_ne_u32_e64 s2, 0, v0
	s_and_b32 vcc_lo, exec_lo, s4
	s_cbranch_vccz .LBB56_60
.LBB56_57:
	v_add_co_u32 v3, s3, s38, v29
	s_delay_alu instid0(VALU_DEP_1)
	v_add_co_ci_u32_e64 v4, null, s39, 0, s3
	s_clause 0x1
	global_load_b32 v5, v29, s[38:39] offset:1024
	global_load_b32 v6, v29, s[38:39] offset:2048
	v_add_co_u32 v1, vcc_lo, 0x1000, v3
	v_add_co_ci_u32_e32 v2, vcc_lo, 0, v4, vcc_lo
	v_add_co_u32 v3, vcc_lo, v3, 0x2000
	v_add_co_ci_u32_e32 v4, vcc_lo, 0, v4, vcc_lo
	s_clause 0x6
	global_load_b32 v7, v29, s[38:39] offset:3072
	global_load_b32 v8, v[1:2], off offset:1024
	global_load_b32 v10, v[1:2], off offset:2048
	global_load_b32 v11, v29, s[38:39]
	global_load_b32 v12, v[3:4], off
	global_load_b32 v3, v[3:4], off offset:-4096
	global_load_b32 v1, v[1:2], off offset:3072
	s_sub_u32 s4, 0, s15
	s_subb_u32 s5, 0, 0
	v_add_nc_u32_e32 v9, v29, v28
	s_cmp_eq_u64 s[4:5], s[20:21]
	s_waitcnt vmcnt(3)
	ds_store_2addr_stride64_b32 v29, v11, v5 offset1:4
	ds_store_2addr_stride64_b32 v29, v6, v7 offset0:8 offset1:12
	s_waitcnt vmcnt(1)
	ds_store_2addr_stride64_b32 v29, v3, v8 offset0:16 offset1:20
	s_waitcnt vmcnt(0)
	ds_store_2addr_stride64_b32 v29, v10, v1 offset0:24 offset1:28
	ds_store_b32 v29, v12 offset:8192
	s_cselect_b32 s3, 0, -4
	s_cselect_b32 s5, 0, -1
	s_add_u32 s4, s38, s3
	s_addc_u32 s5, s39, s5
	s_waitcnt lgkmcnt(0)
	s_barrier
	buffer_gl0_inv
	s_load_b32 s4, s[4:5], 0x0
	ds_load_2addr_b32 v[5:6], v9 offset0:7 offset1:8
	ds_load_2addr_b32 v[7:8], v9 offset1:1
	ds_load_b32 v10, v9 offset:8
	ds_load_2addr_b32 v[3:4], v9 offset0:5 offset1:6
	ds_load_2addr_b32 v[1:2], v9 offset0:3 offset1:4
	s_mov_b32 s3, -1
	s_waitcnt lgkmcnt(0)
	ds_store_b32 v29, v6 offset:9216
	s_waitcnt lgkmcnt(0)
	s_barrier
	v_mov_b32_e32 v11, s4
	buffer_gl0_inv
	s_and_saveexec_b32 s4, s2
	s_cbranch_execz .LBB56_59
; %bb.58:
	v_sub_nc_u32_e32 v11, 0, v28
	s_delay_alu instid0(VALU_DEP_1)
	v_add_nc_u32_e32 v11, v9, v11
	ds_load_b32 v11, v11 offset:9212
.LBB56_59:
	s_or_b32 exec_lo, exec_lo, s4
	v_add_co_u32 v14, s2, s36, v29
	s_delay_alu instid0(VALU_DEP_1) | instskip(SKIP_1) | instid1(VALU_DEP_2)
	v_add_co_ci_u32_e64 v15, null, s37, 0, s2
	s_waitcnt lgkmcnt(0)
	v_add_co_u32 v12, vcc_lo, 0x1000, v14
	s_delay_alu instid0(VALU_DEP_2)
	v_add_co_ci_u32_e32 v13, vcc_lo, 0, v15, vcc_lo
	v_add_co_u32 v14, vcc_lo, v14, 0x2000
	v_add_co_ci_u32_e32 v15, vcc_lo, 0, v15, vcc_lo
	s_barrier
	buffer_gl0_inv
	s_clause 0x8
	global_load_b32 v16, v29, s[36:37] offset:1024
	global_load_b32 v17, v29, s[36:37] offset:2048
	;; [unrolled: 1-line block ×3, first 2 shown]
	global_load_b32 v19, v[12:13], off offset:1024
	global_load_b32 v20, v[12:13], off offset:2048
	global_load_b32 v21, v29, s[36:37]
	global_load_b32 v22, v[14:15], off
	global_load_b32 v14, v[14:15], off offset:-4096
	global_load_b32 v12, v[12:13], off offset:3072
	v_cmp_ne_u32_e32 vcc_lo, v11, v7
	v_cmp_ne_u32_e64 s8, v5, v6
                                        ; implicit-def: $sgpr6_sgpr7
	s_waitcnt vmcnt(3)
	ds_store_2addr_stride64_b32 v29, v21, v16 offset1:4
	ds_store_2addr_stride64_b32 v29, v17, v18 offset0:8 offset1:12
	s_waitcnt vmcnt(1)
	ds_store_2addr_stride64_b32 v29, v14, v19 offset0:16 offset1:20
	s_waitcnt vmcnt(0)
	ds_store_2addr_stride64_b32 v29, v20, v12 offset0:24 offset1:28
	ds_store_b32 v29, v22 offset:8192
	v_cndmask_b32_e64 v15, 0, 1, vcc_lo
	v_cmp_ne_u32_e32 vcc_lo, v7, v8
	s_waitcnt lgkmcnt(0)
	s_barrier
	buffer_gl0_inv
	ds_load_2addr_b32 v[22:23], v9 offset1:1
	v_cndmask_b32_e64 v17, 0, 1, vcc_lo
	v_cmp_ne_u32_e32 vcc_lo, v8, v10
	ds_load_2addr_b32 v[11:12], v9 offset0:2 offset1:3
	ds_load_2addr_b32 v[24:25], v9 offset0:6 offset1:7
	;; [unrolled: 1-line block ×3, first 2 shown]
	ds_load_b32 v13, v9 offset:32
	v_cndmask_b32_e64 v19, 0, 1, vcc_lo
	v_cmp_ne_u32_e32 vcc_lo, v10, v1
	v_cndmask_b32_e64 v21, 0, 1, vcc_lo
	v_cmp_ne_u32_e32 vcc_lo, v4, v5
	;; [unrolled: 2-line block ×3, first 2 shown]
	s_waitcnt lgkmcnt(4)
	v_mov_b32_e32 v14, v22
	v_mov_b32_e32 v16, v23
	s_waitcnt lgkmcnt(2)
	v_dual_mov_b32 v18, v11 :: v_dual_mov_b32 v5, v24
	v_cndmask_b32_e64 v6, 0, 1, vcc_lo
	v_cmp_ne_u32_e32 vcc_lo, v2, v3
	v_dual_mov_b32 v20, v12 :: v_dual_mov_b32 v7, v25
	s_waitcnt lgkmcnt(1)
	v_mov_b32_e32 v3, v27
	v_cndmask_b32_e64 v4, 0, 1, vcc_lo
	v_cmp_ne_u32_e32 vcc_lo, v1, v2
	v_mov_b32_e32 v1, v26
	v_cndmask_b32_e64 v2, 0, 1, vcc_lo
.LBB56_60:
	v_dual_mov_b32 v23, s7 :: v_dual_mov_b32 v22, s6
	s_and_saveexec_b32 s2, s3
	s_cbranch_execz .LBB56_62
; %bb.61:
	v_cndmask_b32_e64 v23, 0, 1, s8
	s_waitcnt lgkmcnt(0)
	v_mov_b32_e32 v22, v13
.LBB56_62:
	s_or_b32 exec_lo, exec_lo, s2
	v_mbcnt_lo_u32_b32 v29, -1, 0
	s_cmp_lg_u32 s15, 0
	s_mov_b32 s10, 0
	s_waitcnt lgkmcnt(0)
	s_barrier
	buffer_gl0_inv
	s_cbranch_scc0 .LBB56_98
; %bb.63:
	v_or_b32_e32 v10, v23, v8
	s_mov_b32 s11, 1
	s_delay_alu instid0(SALU_CYCLE_1) | instskip(SKIP_1) | instid1(VALU_DEP_3)
	v_cmp_gt_u64_e64 s2, s[10:11], v[16:17]
	v_cmp_gt_u64_e64 s3, s[10:11], v[18:19]
	v_or3_b32 v10, v10, v6, v4
	v_cmp_gt_u64_e64 s4, s[10:11], v[20:21]
	v_cmp_gt_u64_e64 s5, s[10:11], v[1:2]
	;; [unrolled: 1-line block ×3, first 2 shown]
	v_cndmask_b32_e64 v9, 0, v14, s2
	v_or3_b32 v10, v10, v2, v21
	v_cmp_gt_u64_e64 s7, s[10:11], v[5:6]
	v_cmp_gt_u64_e64 s8, s[10:11], v[7:8]
	;; [unrolled: 1-line block ×3, first 2 shown]
	s_mov_b32 s11, exec_lo
	v_or3_b32 v10, v10, v19, v17
	s_delay_alu instid0(VALU_DEP_1) | instskip(NEXT) | instid1(VALU_DEP_1)
	v_and_b32_e32 v10, 1, v10
	v_cmp_eq_u32_e32 vcc_lo, 1, v10
	v_cndmask_b32_e64 v10, v15, 1, vcc_lo
	s_delay_alu instid0(VALU_DEP_1) | instskip(SKIP_1) | instid1(VALU_DEP_2)
	v_and_b32_e32 v11, 0xff, v10
	v_and_b32_e32 v13, 1, v10
	v_mov_b32_dpp v12, v11 row_shr:1 row_mask:0xf bank_mask:0xf
	s_delay_alu instid0(VALU_DEP_2) | instskip(NEXT) | instid1(VALU_DEP_2)
	v_cmp_eq_u32_e32 vcc_lo, 1, v13
	v_and_b32_e32 v24, 1, v12
	v_and_b32_e32 v12, 15, v29
	s_delay_alu instid0(VALU_DEP_2) | instskip(SKIP_2) | instid1(VALU_DEP_2)
	v_cndmask_b32_e64 v24, v24, 1, vcc_lo
	v_add_nc_u32_e32 v9, v9, v16
	v_cmp_eq_u16_e32 vcc_lo, 0, v11
	v_cndmask_b32_e64 v9, 0, v9, s3
	s_delay_alu instid0(VALU_DEP_1) | instskip(NEXT) | instid1(VALU_DEP_1)
	v_add_nc_u32_e32 v9, v9, v18
	v_cndmask_b32_e64 v9, 0, v9, s4
	s_delay_alu instid0(VALU_DEP_1) | instskip(NEXT) | instid1(VALU_DEP_1)
	v_add_nc_u32_e32 v9, v9, v20
	;; [unrolled: 3-line block ×7, first 2 shown]
	v_mov_b32_dpp v25, v9 row_shr:1 row_mask:0xf bank_mask:0xf
	s_delay_alu instid0(VALU_DEP_1) | instskip(SKIP_2) | instid1(VALU_DEP_3)
	v_cndmask_b32_e32 v13, 0, v25, vcc_lo
	v_cmp_eq_u32_e32 vcc_lo, 0, v12
	v_dual_cndmask_b32 v10, v24, v10 :: v_dual_and_b32 v25, 0xffff, v24
	v_cndmask_b32_e64 v13, v13, 0, vcc_lo
	s_delay_alu instid0(VALU_DEP_2) | instskip(NEXT) | instid1(VALU_DEP_2)
	v_cndmask_b32_e32 v11, v25, v11, vcc_lo
	v_add_nc_u32_e32 v9, v13, v9
	s_delay_alu instid0(VALU_DEP_2) | instskip(SKIP_1) | instid1(VALU_DEP_3)
	v_mov_b32_dpp v26, v11 row_shr:2 row_mask:0xf bank_mask:0xf
	v_mov_b32_e32 v13, v11
	v_mov_b32_dpp v25, v9 row_shr:2 row_mask:0xf bank_mask:0xf
	v_cmpx_lt_u32_e32 1, v12
; %bb.64:
	v_cmp_eq_u16_e32 vcc_lo, 0, v24
	v_and_b32_e32 v10, 1, v24
	v_and_b32_e32 v11, 1, v26
	v_cndmask_b32_e32 v13, 0, v25, vcc_lo
	s_delay_alu instid0(VALU_DEP_3) | instskip(NEXT) | instid1(VALU_DEP_2)
	v_cmp_eq_u32_e32 vcc_lo, 1, v10
	v_add_nc_u32_e32 v9, v13, v9
	s_delay_alu instid0(VALU_DEP_4) | instskip(NEXT) | instid1(VALU_DEP_1)
	v_cndmask_b32_e64 v10, v11, 1, vcc_lo
	v_and_b32_e32 v13, 0xffff, v10
	v_mov_b32_e32 v11, v10
; %bb.65:
	s_or_b32 exec_lo, exec_lo, s11
	v_mov_b32_dpp v24, v9 row_shr:4 row_mask:0xf bank_mask:0xf
	s_delay_alu instid0(VALU_DEP_3)
	v_mov_b32_dpp v25, v13 row_shr:4 row_mask:0xf bank_mask:0xf
	s_mov_b32 s10, exec_lo
	v_cmpx_lt_u32_e32 3, v12
; %bb.66:
	v_cmp_eq_u16_e32 vcc_lo, 0, v11
	v_and_b32_e32 v10, 1, v11
	v_and_b32_e32 v13, 1, v25
	v_cndmask_b32_e32 v11, 0, v24, vcc_lo
	s_delay_alu instid0(VALU_DEP_3) | instskip(NEXT) | instid1(VALU_DEP_2)
	v_cmp_eq_u32_e32 vcc_lo, 1, v10
	v_add_nc_u32_e32 v9, v11, v9
	s_delay_alu instid0(VALU_DEP_4) | instskip(NEXT) | instid1(VALU_DEP_1)
	v_cndmask_b32_e64 v10, v13, 1, vcc_lo
	v_and_b32_e32 v13, 0xffff, v10
	v_mov_b32_e32 v11, v10
; %bb.67:
	s_or_b32 exec_lo, exec_lo, s10
	v_mov_b32_dpp v24, v9 row_shr:8 row_mask:0xf bank_mask:0xf
	s_delay_alu instid0(VALU_DEP_3)
	v_mov_b32_dpp v25, v13 row_shr:8 row_mask:0xf bank_mask:0xf
	s_mov_b32 s10, exec_lo
	v_cmpx_lt_u32_e32 7, v12
; %bb.68:
	v_cmp_eq_u16_e32 vcc_lo, 0, v11
	v_and_b32_e32 v10, 1, v11
	v_dual_cndmask_b32 v11, 0, v24 :: v_dual_and_b32 v12, 1, v25
	s_delay_alu instid0(VALU_DEP_2) | instskip(NEXT) | instid1(VALU_DEP_2)
	v_cmp_eq_u32_e32 vcc_lo, 1, v10
	v_add_nc_u32_e32 v9, v11, v9
	s_delay_alu instid0(VALU_DEP_3) | instskip(NEXT) | instid1(VALU_DEP_1)
	v_cndmask_b32_e64 v10, v12, 1, vcc_lo
	v_mov_b32_e32 v11, v10
	v_and_b32_e32 v13, 0xffff, v10
; %bb.69:
	s_or_b32 exec_lo, exec_lo, s10
	ds_swizzle_b32 v12, v9 offset:swizzle(BROADCAST,32,15)
	ds_swizzle_b32 v13, v13 offset:swizzle(BROADCAST,32,15)
	v_cmp_eq_u16_e32 vcc_lo, 0, v11
	v_bfe_i32 v24, v29, 4, 1
	v_and_b32_e32 v25, 16, v29
	v_or_b32_e32 v26, 31, v0
	s_mov_b32 s10, exec_lo
	s_waitcnt lgkmcnt(1)
	v_dual_cndmask_b32 v12, 0, v12 :: v_dual_and_b32 v11, 1, v11
	s_waitcnt lgkmcnt(0)
	v_and_b32_e32 v13, 1, v13
	s_delay_alu instid0(VALU_DEP_2) | instskip(NEXT) | instid1(VALU_DEP_3)
	v_cmp_eq_u32_e32 vcc_lo, 1, v11
	v_and_b32_e32 v12, v24, v12
	s_delay_alu instid0(VALU_DEP_3) | instskip(SKIP_2) | instid1(VALU_DEP_4)
	v_cndmask_b32_e64 v24, v13, 1, vcc_lo
	v_cmp_eq_u32_e32 vcc_lo, 0, v25
	v_lshrrev_b32_e32 v13, 5, v0
	v_add_nc_u32_e32 v11, v12, v9
	s_delay_alu instid0(VALU_DEP_4)
	v_cndmask_b32_e32 v12, v24, v10, vcc_lo
	v_cmpx_eq_u32_e64 v26, v0
	s_cbranch_execz .LBB56_71
; %bb.70:
	v_lshlrev_b32_e32 v9, 3, v13
	ds_store_b32 v9, v11
	ds_store_b8 v9, v12 offset:4
.LBB56_71:
	s_or_b32 exec_lo, exec_lo, s10
	s_delay_alu instid0(SALU_CYCLE_1)
	s_mov_b32 s11, exec_lo
	s_waitcnt lgkmcnt(0)
	s_barrier
	buffer_gl0_inv
	v_cmpx_gt_u32_e32 8, v0
	s_cbranch_execz .LBB56_77
; %bb.72:
	v_lshlrev_b32_e32 v24, 3, v0
	v_and_b32_e32 v25, 7, v29
	s_mov_b32 s10, exec_lo
	ds_load_b64 v[9:10], v24
	s_waitcnt lgkmcnt(0)
	v_dual_mov_b32 v27, v10 :: v_dual_and_b32 v26, 0xffffff00, v10
	v_mov_b32_dpp v30, v9 row_shr:1 row_mask:0xf bank_mask:0xf
	v_mov_b32_dpp v31, v10 row_shr:1 row_mask:0xf bank_mask:0xf
	v_cmpx_ne_u32_e32 0, v25
; %bb.73:
	v_and_b32_e32 v27, 1, v10
	s_delay_alu instid0(VALU_DEP_3) | instskip(SKIP_1) | instid1(VALU_DEP_3)
	v_and_b32_e32 v31, 1, v31
	v_and_b32_e32 v32, 0xff, v10
	v_cmp_eq_u32_e32 vcc_lo, 1, v27
	s_delay_alu instid0(VALU_DEP_3) | instskip(NEXT) | instid1(VALU_DEP_3)
	v_cndmask_b32_e64 v10, v31, 1, vcc_lo
	v_cmp_eq_u16_e32 vcc_lo, 0, v32
	v_cndmask_b32_e32 v27, 0, v30, vcc_lo
	s_delay_alu instid0(VALU_DEP_3) | instskip(NEXT) | instid1(VALU_DEP_2)
	v_and_b32_e32 v30, 0xffff, v10
	v_add_nc_u32_e32 v9, v27, v9
	s_delay_alu instid0(VALU_DEP_2)
	v_or_b32_e32 v27, v26, v30
; %bb.74:
	s_or_b32 exec_lo, exec_lo, s10
	s_delay_alu instid0(VALU_DEP_2) | instskip(NEXT) | instid1(VALU_DEP_2)
	v_mov_b32_dpp v30, v9 row_shr:2 row_mask:0xf bank_mask:0xf
	v_mov_b32_dpp v32, v27 row_shr:2 row_mask:0xf bank_mask:0xf
	v_mov_b32_e32 v31, v27
	s_mov_b32 s10, exec_lo
	v_cmpx_lt_u32_e32 1, v25
; %bb.75:
	v_and_b32_e32 v10, 1, v27
	v_and_b32_e32 v31, 1, v32
	;; [unrolled: 1-line block ×3, first 2 shown]
	s_delay_alu instid0(VALU_DEP_3) | instskip(NEXT) | instid1(VALU_DEP_3)
	v_cmp_eq_u32_e32 vcc_lo, 1, v10
	v_cndmask_b32_e64 v10, v31, 1, vcc_lo
	s_delay_alu instid0(VALU_DEP_3) | instskip(NEXT) | instid1(VALU_DEP_2)
	v_cmp_eq_u16_e32 vcc_lo, 0, v27
	v_mov_b32_e32 v31, v10
	v_cndmask_b32_e32 v27, 0, v30, vcc_lo
	v_and_b32_e32 v30, 0xffff, v10
	s_delay_alu instid0(VALU_DEP_2) | instskip(NEXT) | instid1(VALU_DEP_2)
	v_add_nc_u32_e32 v9, v27, v9
	v_or_b32_e32 v27, v26, v30
; %bb.76:
	s_or_b32 exec_lo, exec_lo, s10
	s_delay_alu instid0(VALU_DEP_1) | instskip(SKIP_2) | instid1(VALU_DEP_3)
	v_mov_b32_dpp v26, v27 row_shr:4 row_mask:0xf bank_mask:0xf
	v_and_b32_e32 v30, 1, v31
	v_and_b32_e32 v27, 0xff, v31
	;; [unrolled: 1-line block ×3, first 2 shown]
	s_delay_alu instid0(VALU_DEP_3) | instskip(NEXT) | instid1(VALU_DEP_3)
	v_cmp_eq_u32_e64 s10, 1, v30
	v_cmp_eq_u16_e32 vcc_lo, 0, v27
	s_delay_alu instid0(VALU_DEP_2) | instskip(SKIP_2) | instid1(VALU_DEP_2)
	v_cndmask_b32_e64 v26, v26, 1, s10
	v_cmp_lt_u32_e64 s10, 3, v25
	v_mov_b32_dpp v25, v9 row_shr:4 row_mask:0xf bank_mask:0xf
	s_and_b32 vcc_lo, s10, vcc_lo
	s_delay_alu instid0(VALU_DEP_3) | instskip(NEXT) | instid1(VALU_DEP_2)
	v_cndmask_b32_e64 v10, v10, v26, s10
	v_cndmask_b32_e32 v25, 0, v25, vcc_lo
	s_delay_alu instid0(VALU_DEP_1)
	v_add_nc_u32_e32 v9, v25, v9
	ds_store_b32 v24, v9
	ds_store_b8 v24, v10 offset:4
.LBB56_77:
	s_or_b32 exec_lo, exec_lo, s11
	v_cmp_gt_u32_e32 vcc_lo, 32, v0
	v_dual_mov_b32 v30, 0 :: v_dual_mov_b32 v31, 0
	s_mov_b32 s11, exec_lo
	s_waitcnt lgkmcnt(0)
	s_barrier
	buffer_gl0_inv
	v_cmpx_lt_u32_e32 31, v0
	s_cbranch_execz .LBB56_79
; %bb.78:
	v_lshl_add_u32 v9, v13, 3, -8
	v_and_b32_e32 v10, 1, v12
	ds_load_b32 v30, v9
	ds_load_u8 v31, v9 offset:4
	v_and_b32_e32 v9, 0xff, v12
	s_delay_alu instid0(VALU_DEP_1) | instskip(SKIP_1) | instid1(VALU_DEP_1)
	v_cmp_eq_u16_e64 s10, 0, v9
	s_waitcnt lgkmcnt(1)
	v_cndmask_b32_e64 v9, 0, v30, s10
	v_cmp_eq_u32_e64 s10, 1, v10
	s_delay_alu instid0(VALU_DEP_2) | instskip(SKIP_1) | instid1(VALU_DEP_2)
	v_add_nc_u32_e32 v11, v9, v11
	s_waitcnt lgkmcnt(0)
	v_cndmask_b32_e64 v12, v31, 1, s10
.LBB56_79:
	s_or_b32 exec_lo, exec_lo, s11
	v_add_nc_u32_e32 v9, -1, v29
	s_delay_alu instid0(VALU_DEP_2) | instskip(NEXT) | instid1(VALU_DEP_2)
	v_and_b32_e32 v10, 0xff, v12
	v_cmp_gt_i32_e64 s10, 0, v9
	s_delay_alu instid0(VALU_DEP_1) | instskip(SKIP_1) | instid1(VALU_DEP_2)
	v_cndmask_b32_e64 v9, v9, v29, s10
	v_cmp_eq_u32_e64 s10, 0, v29
	v_lshlrev_b32_e32 v9, 2, v9
	ds_bpermute_b32 v32, v9, v11
	ds_bpermute_b32 v33, v9, v10
	s_and_saveexec_b32 s14, vcc_lo
	s_cbranch_execz .LBB56_97
; %bb.80:
	v_mov_b32_e32 v12, 0
	ds_load_b64 v[9:10], v12 offset:56
	s_waitcnt lgkmcnt(0)
	v_readfirstlane_b32 s23, v10
	s_and_saveexec_b32 s11, s10
	s_cbranch_execz .LBB56_82
; %bb.81:
	s_add_i32 s20, s15, 32
	s_mov_b32 s21, 0
	v_mov_b32_e32 v11, 1
	s_lshl_b64 s[24:25], s[20:21], 4
	s_mov_b32 s26, s21
	s_add_u32 s24, s16, s24
	s_addc_u32 s25, s17, s25
	s_and_b32 s27, s23, 0xff000000
	s_and_b32 s29, s23, 0xff0000
	s_mov_b32 s28, s21
	v_dual_mov_b32 v24, s24 :: v_dual_mov_b32 v25, s25
	s_or_b64 s[26:27], s[28:29], s[26:27]
	s_and_b32 s29, s23, 0xff00
	s_delay_alu instid0(SALU_CYCLE_1) | instskip(SKIP_1) | instid1(SALU_CYCLE_1)
	s_or_b64 s[26:27], s[26:27], s[28:29]
	s_and_b32 s29, s23, 0xff
	s_or_b64 s[20:21], s[26:27], s[28:29]
	s_delay_alu instid0(SALU_CYCLE_1)
	v_mov_b32_e32 v10, s21
	;;#ASMSTART
	global_store_dwordx4 v[24:25], v[9:12] off	
s_waitcnt vmcnt(0)
	;;#ASMEND
.LBB56_82:
	s_or_b32 exec_lo, exec_lo, s11
	v_xad_u32 v24, v29, -1, s15
	s_mov_b32 s20, 0
	s_mov_b32 s11, exec_lo
	s_delay_alu instid0(VALU_DEP_1) | instskip(NEXT) | instid1(VALU_DEP_1)
	v_add_nc_u32_e32 v11, 32, v24
	v_lshlrev_b64 v[10:11], 4, v[11:12]
	s_delay_alu instid0(VALU_DEP_1) | instskip(NEXT) | instid1(VALU_DEP_2)
	v_add_co_u32 v25, vcc_lo, s16, v10
	v_add_co_ci_u32_e32 v26, vcc_lo, s17, v11, vcc_lo
	;;#ASMSTART
	global_load_dwordx4 v[10:13], v[25:26] off glc	
s_waitcnt vmcnt(0)
	;;#ASMEND
	v_and_b32_e32 v13, 0xff, v12
	s_delay_alu instid0(VALU_DEP_1)
	v_cmpx_eq_u16_e32 0, v13
	s_cbranch_execz .LBB56_85
.LBB56_83:                              ; =>This Inner Loop Header: Depth=1
	;;#ASMSTART
	global_load_dwordx4 v[10:13], v[25:26] off glc	
s_waitcnt vmcnt(0)
	;;#ASMEND
	v_and_b32_e32 v13, 0xff, v12
	s_delay_alu instid0(VALU_DEP_1) | instskip(SKIP_1) | instid1(SALU_CYCLE_1)
	v_cmp_ne_u16_e32 vcc_lo, 0, v13
	s_or_b32 s20, vcc_lo, s20
	s_and_not1_b32 exec_lo, exec_lo, s20
	s_cbranch_execnz .LBB56_83
; %bb.84:
	s_or_b32 exec_lo, exec_lo, s20
.LBB56_85:
	s_delay_alu instid0(SALU_CYCLE_1)
	s_or_b32 exec_lo, exec_lo, s11
	v_cmp_ne_u32_e32 vcc_lo, 31, v29
	v_and_b32_e32 v26, 0xff, v11
	v_and_b32_e32 v25, 0xff, v12
	v_lshlrev_b32_e64 v35, v29, -1
	v_and_b32_e32 v11, 1, v11
	v_add_co_ci_u32_e32 v13, vcc_lo, 0, v29, vcc_lo
	s_delay_alu instid0(VALU_DEP_4) | instskip(SKIP_2) | instid1(VALU_DEP_2)
	v_cmp_eq_u16_e32 vcc_lo, 2, v25
	s_mov_b32 s20, 0
	s_mov_b32 s21, 1
	v_lshlrev_b32_e32 v34, 2, v13
	v_add_nc_u32_e32 v46, 16, v29
	v_and_or_b32 v25, vcc_lo, v35, 0x80000000
	v_cmp_gt_u32_e32 vcc_lo, 30, v29
	ds_bpermute_b32 v13, v34, v26
	v_cndmask_b32_e64 v27, 0, 1, vcc_lo
	v_cmp_eq_u32_e32 vcc_lo, 1, v11
	s_waitcnt lgkmcnt(0)
	v_and_b32_e32 v13, 1, v13
	s_delay_alu instid0(VALU_DEP_1) | instskip(SKIP_2) | instid1(VALU_DEP_3)
	v_cndmask_b32_e64 v11, v13, 1, vcc_lo
	v_ctz_i32_b32_e32 v13, v25
	v_lshlrev_b32_e32 v25, 1, v27
	v_and_b32_e32 v27, 0xffff, v11
	s_delay_alu instid0(VALU_DEP_2) | instskip(SKIP_1) | instid1(VALU_DEP_1)
	v_add_lshl_u32 v37, v25, v29, 2
	v_dual_mov_b32 v25, v10 :: v_dual_add_nc_u32 v36, 1, v29
	v_cmp_gt_u64_e64 s11, s[20:21], v[25:26]
	s_delay_alu instid0(VALU_DEP_2)
	v_cmp_gt_u32_e32 vcc_lo, v36, v13
	v_cndmask_b32_e32 v27, v27, v26, vcc_lo
	v_cndmask_b32_e32 v11, v11, v26, vcc_lo
	ds_bpermute_b32 v38, v34, v10
	ds_bpermute_b32 v39, v37, v27
	v_and_b32_e32 v26, 1, v11
	s_waitcnt lgkmcnt(1)
	v_cndmask_b32_e64 v25, 0, v38, s11
	v_cmp_eq_u16_e64 s11, 0, v11
	s_waitcnt lgkmcnt(0)
	v_and_b32_e32 v38, 1, v39
	s_delay_alu instid0(VALU_DEP_3) | instskip(SKIP_3) | instid1(VALU_DEP_2)
	v_cndmask_b32_e64 v25, v25, 0, vcc_lo
	v_cmp_gt_u32_e32 vcc_lo, 28, v29
	v_cndmask_b32_e64 v39, 0, 1, vcc_lo
	v_cmp_eq_u32_e32 vcc_lo, 1, v26
	v_lshlrev_b32_e32 v39, 2, v39
	v_cndmask_b32_e64 v26, v38, 1, vcc_lo
	v_add_nc_u32_e32 v38, 2, v29
	s_delay_alu instid0(VALU_DEP_3) | instskip(NEXT) | instid1(VALU_DEP_3)
	v_add_lshl_u32 v39, v39, v29, 2
	v_and_b32_e32 v40, 0xffff, v26
	s_delay_alu instid0(VALU_DEP_3) | instskip(NEXT) | instid1(VALU_DEP_2)
	v_cmp_gt_u32_e32 vcc_lo, v38, v13
	v_dual_cndmask_b32 v27, v40, v27 :: v_dual_add_nc_u32 v10, v25, v10
	ds_bpermute_b32 v25, v37, v10
	v_cndmask_b32_e32 v26, v26, v11, vcc_lo
	v_add_nc_u32_e32 v40, 4, v29
	s_delay_alu instid0(VALU_DEP_2)
	v_and_b32_e32 v41, 1, v26
	s_waitcnt lgkmcnt(0)
	v_cndmask_b32_e64 v11, 0, v25, s11
	ds_bpermute_b32 v25, v39, v27
	v_cmp_eq_u16_e64 s11, 0, v26
	v_cndmask_b32_e64 v11, v11, 0, vcc_lo
	v_cmp_gt_u32_e32 vcc_lo, 24, v29
	s_delay_alu instid0(VALU_DEP_2)
	v_add_nc_u32_e32 v10, v11, v10
	v_cndmask_b32_e64 v42, 0, 1, vcc_lo
	v_cmp_eq_u32_e32 vcc_lo, 1, v41
	ds_bpermute_b32 v11, v39, v10
	v_lshlrev_b32_e32 v41, 3, v42
	s_waitcnt lgkmcnt(1)
	v_and_b32_e32 v25, 1, v25
	s_delay_alu instid0(VALU_DEP_2) | instskip(NEXT) | instid1(VALU_DEP_2)
	v_add_lshl_u32 v41, v41, v29, 2
	v_cndmask_b32_e64 v25, v25, 1, vcc_lo
	v_cmp_gt_u32_e32 vcc_lo, v40, v13
	s_delay_alu instid0(VALU_DEP_2) | instskip(SKIP_2) | instid1(VALU_DEP_2)
	v_dual_cndmask_b32 v25, v25, v26 :: v_dual_and_b32 v42, 0xffff, v25
	s_waitcnt lgkmcnt(0)
	v_cndmask_b32_e64 v11, 0, v11, s11
	v_dual_cndmask_b32 v26, v42, v27 :: v_dual_and_b32 v43, 1, v25
	v_add_nc_u32_e32 v42, 8, v29
	s_delay_alu instid0(VALU_DEP_3)
	v_cndmask_b32_e64 v11, v11, 0, vcc_lo
	ds_bpermute_b32 v27, v41, v26
	v_cmp_gt_u32_e32 vcc_lo, 16, v29
	v_add_nc_u32_e32 v10, v11, v10
	v_cndmask_b32_e64 v44, 0, 1, vcc_lo
	v_cmp_eq_u32_e32 vcc_lo, 1, v43
	ds_bpermute_b32 v11, v41, v10
	v_lshlrev_b32_e32 v43, 4, v44
	s_delay_alu instid0(VALU_DEP_1) | instskip(SKIP_2) | instid1(VALU_DEP_1)
	v_add_lshl_u32 v45, v43, v29, 2
	s_waitcnt lgkmcnt(1)
	v_and_b32_e32 v27, 1, v27
	v_cndmask_b32_e64 v27, v27, 1, vcc_lo
	v_cmp_eq_u16_e32 vcc_lo, 0, v25
	s_delay_alu instid0(VALU_DEP_2) | instskip(SKIP_3) | instid1(VALU_DEP_2)
	v_and_b32_e32 v44, 0xffff, v27
	s_waitcnt lgkmcnt(0)
	v_cndmask_b32_e32 v11, 0, v11, vcc_lo
	v_cmp_gt_u32_e32 vcc_lo, v42, v13
	v_cndmask_b32_e64 v11, v11, 0, vcc_lo
	v_dual_cndmask_b32 v26, v44, v26 :: v_dual_cndmask_b32 v25, v27, v25
	s_delay_alu instid0(VALU_DEP_2)
	v_add_nc_u32_e32 v10, v11, v10
	ds_bpermute_b32 v11, v45, v26
	v_and_b32_e32 v27, 0xff, v25
	v_and_b32_e32 v43, 1, v25
	ds_bpermute_b32 v26, v45, v10
	v_cmp_eq_u16_e32 vcc_lo, 0, v27
	s_waitcnt lgkmcnt(0)
	v_dual_cndmask_b32 v26, 0, v26 :: v_dual_and_b32 v11, 1, v11
	v_cmp_eq_u32_e32 vcc_lo, 1, v43
	s_delay_alu instid0(VALU_DEP_2) | instskip(SKIP_1) | instid1(VALU_DEP_4)
	v_cndmask_b32_e64 v11, v11, 1, vcc_lo
	v_cmp_gt_u32_e32 vcc_lo, v46, v13
	v_cndmask_b32_e64 v13, v26, 0, vcc_lo
	s_delay_alu instid0(VALU_DEP_3) | instskip(NEXT) | instid1(VALU_DEP_2)
	v_cndmask_b32_e32 v11, v11, v25, vcc_lo
	v_dual_mov_b32 v25, 0 :: v_dual_add_nc_u32 v10, v13, v10
	s_branch .LBB56_87
.LBB56_86:                              ;   in Loop: Header=BB56_87 Depth=1
	s_or_b32 exec_lo, exec_lo, s11
	v_and_b32_e32 v27, 0xff, v11
	v_and_b32_e32 v26, 0xff, v12
	;; [unrolled: 1-line block ×3, first 2 shown]
	ds_bpermute_b32 v47, v34, v10
	v_subrev_nc_u32_e32 v24, 32, v24
	ds_bpermute_b32 v13, v34, v27
	v_cmp_eq_u16_e32 vcc_lo, 2, v26
	v_and_or_b32 v26, vcc_lo, v35, 0x80000000
	v_cmp_eq_u32_e32 vcc_lo, 1, v11
	s_waitcnt lgkmcnt(0)
	v_and_b32_e32 v13, 1, v13
	s_delay_alu instid0(VALU_DEP_1) | instskip(SKIP_2) | instid1(VALU_DEP_3)
	v_cndmask_b32_e64 v11, v13, 1, vcc_lo
	v_ctz_i32_b32_e32 v13, v26
	v_mov_b32_e32 v26, v10
	v_and_b32_e32 v48, 0xffff, v11
	s_delay_alu instid0(VALU_DEP_3) | instskip(NEXT) | instid1(VALU_DEP_3)
	v_cmp_gt_u32_e32 vcc_lo, v36, v13
	v_cmp_gt_u64_e64 s11, s[20:21], v[26:27]
	s_delay_alu instid0(VALU_DEP_3) | instskip(SKIP_1) | instid1(VALU_DEP_3)
	v_cndmask_b32_e32 v48, v48, v27, vcc_lo
	v_cndmask_b32_e32 v11, v11, v27, vcc_lo
	v_cndmask_b32_e64 v26, 0, v47, s11
	ds_bpermute_b32 v27, v37, v48
	v_and_b32_e32 v47, 1, v11
	v_cndmask_b32_e64 v26, v26, 0, vcc_lo
	v_cmp_eq_u16_e64 s11, 0, v11
	s_delay_alu instid0(VALU_DEP_3) | instskip(SKIP_2) | instid1(VALU_DEP_1)
	v_cmp_eq_u32_e32 vcc_lo, 1, v47
	s_waitcnt lgkmcnt(0)
	v_and_b32_e32 v27, 1, v27
	v_cndmask_b32_e64 v27, v27, 1, vcc_lo
	v_cmp_gt_u32_e32 vcc_lo, v38, v13
	v_add_nc_u32_e32 v10, v26, v10
	s_delay_alu instid0(VALU_DEP_3) | instskip(SKIP_4) | instid1(VALU_DEP_1)
	v_and_b32_e32 v47, 0xffff, v27
	v_cndmask_b32_e32 v11, v27, v11, vcc_lo
	ds_bpermute_b32 v26, v37, v10
	s_waitcnt lgkmcnt(0)
	v_cndmask_b32_e64 v26, 0, v26, s11
	v_cndmask_b32_e64 v26, v26, 0, vcc_lo
	v_dual_cndmask_b32 v27, v47, v48 :: v_dual_and_b32 v48, 1, v11
	s_delay_alu instid0(VALU_DEP_2)
	v_add_nc_u32_e32 v10, v26, v10
	ds_bpermute_b32 v47, v39, v27
	v_cmp_eq_u32_e32 vcc_lo, 1, v48
	ds_bpermute_b32 v26, v39, v10
	s_waitcnt lgkmcnt(1)
	v_and_b32_e32 v47, 1, v47
	s_delay_alu instid0(VALU_DEP_1) | instskip(SKIP_1) | instid1(VALU_DEP_2)
	v_cndmask_b32_e64 v47, v47, 1, vcc_lo
	v_cmp_eq_u16_e32 vcc_lo, 0, v11
	v_and_b32_e32 v48, 0xffff, v47
	s_waitcnt lgkmcnt(0)
	v_cndmask_b32_e32 v26, 0, v26, vcc_lo
	v_cmp_gt_u32_e32 vcc_lo, v40, v13
	s_delay_alu instid0(VALU_DEP_2) | instskip(SKIP_1) | instid1(VALU_DEP_2)
	v_cndmask_b32_e64 v26, v26, 0, vcc_lo
	v_cndmask_b32_e32 v11, v47, v11, vcc_lo
	v_dual_cndmask_b32 v27, v48, v27 :: v_dual_add_nc_u32 v10, v26, v10
	s_delay_alu instid0(VALU_DEP_2)
	v_and_b32_e32 v48, 1, v11
	ds_bpermute_b32 v26, v41, v27
	v_cmp_eq_u16_e32 vcc_lo, 0, v11
	ds_bpermute_b32 v47, v41, v10
	s_waitcnt lgkmcnt(0)
	v_dual_cndmask_b32 v47, 0, v47 :: v_dual_and_b32 v26, 1, v26
	v_cmp_eq_u32_e32 vcc_lo, 1, v48
	s_delay_alu instid0(VALU_DEP_2) | instskip(SKIP_1) | instid1(VALU_DEP_2)
	v_cndmask_b32_e64 v26, v26, 1, vcc_lo
	v_cmp_gt_u32_e32 vcc_lo, v42, v13
	v_dual_cndmask_b32 v11, v26, v11 :: v_dual_and_b32 v26, 0xffff, v26
	v_cndmask_b32_e64 v47, v47, 0, vcc_lo
	s_delay_alu instid0(VALU_DEP_2) | instskip(NEXT) | instid1(VALU_DEP_2)
	v_cndmask_b32_e32 v26, v26, v27, vcc_lo
	v_add_nc_u32_e32 v10, v47, v10
	s_delay_alu instid0(VALU_DEP_4)
	v_and_b32_e32 v47, 0xff, v11
	v_and_b32_e32 v48, 1, v11
	ds_bpermute_b32 v26, v45, v26
	ds_bpermute_b32 v27, v45, v10
	v_cmp_eq_u16_e32 vcc_lo, 0, v47
	s_waitcnt lgkmcnt(0)
	v_cndmask_b32_e32 v27, 0, v27, vcc_lo
	v_cmp_eq_u32_e32 vcc_lo, 1, v48
	v_cndmask_b32_e64 v26, v26, 1, vcc_lo
	v_cmp_gt_u32_e32 vcc_lo, v46, v13
	s_delay_alu instid0(VALU_DEP_2) | instskip(SKIP_2) | instid1(VALU_DEP_3)
	v_cndmask_b32_e32 v11, v26, v11, vcc_lo
	v_cndmask_b32_e64 v13, v27, 0, vcc_lo
	v_and_b32_e32 v26, 0xff, v43
	v_and_b32_e32 v11, 1, v11
	s_delay_alu instid0(VALU_DEP_3) | instskip(NEXT) | instid1(VALU_DEP_3)
	v_add_nc_u32_e32 v10, v13, v10
	v_cmp_eq_u16_e32 vcc_lo, 0, v26
	s_delay_alu instid0(VALU_DEP_2) | instskip(NEXT) | instid1(VALU_DEP_1)
	v_dual_cndmask_b32 v10, 0, v10 :: v_dual_and_b32 v13, 1, v43
	v_cmp_eq_u32_e32 vcc_lo, 1, v13
	s_delay_alu instid0(VALU_DEP_2)
	v_add_nc_u32_e32 v10, v10, v44
	v_cndmask_b32_e64 v11, v11, 1, vcc_lo
.LBB56_87:                              ; =>This Loop Header: Depth=1
                                        ;     Child Loop BB56_90 Depth 2
	s_delay_alu instid0(VALU_DEP_1) | instskip(NEXT) | instid1(VALU_DEP_2)
	v_dual_mov_b32 v43, v11 :: v_dual_and_b32 v12, 0xff, v12
	v_mov_b32_e32 v44, v10
	s_delay_alu instid0(VALU_DEP_2) | instskip(SKIP_2) | instid1(VALU_DEP_1)
	v_cmp_ne_u16_e32 vcc_lo, 2, v12
	v_cndmask_b32_e64 v12, 0, 1, vcc_lo
	;;#ASMSTART
	;;#ASMEND
	v_cmp_ne_u32_e32 vcc_lo, 0, v12
	s_cmp_lg_u32 vcc_lo, exec_lo
	s_cbranch_scc1 .LBB56_92
; %bb.88:                               ;   in Loop: Header=BB56_87 Depth=1
	v_lshlrev_b64 v[10:11], 4, v[24:25]
	s_mov_b32 s11, exec_lo
	s_delay_alu instid0(VALU_DEP_1) | instskip(NEXT) | instid1(VALU_DEP_2)
	v_add_co_u32 v26, vcc_lo, s16, v10
	v_add_co_ci_u32_e32 v27, vcc_lo, s17, v11, vcc_lo
	;;#ASMSTART
	global_load_dwordx4 v[10:13], v[26:27] off glc	
s_waitcnt vmcnt(0)
	;;#ASMEND
	v_and_b32_e32 v13, 0xff, v12
	s_delay_alu instid0(VALU_DEP_1)
	v_cmpx_eq_u16_e32 0, v13
	s_cbranch_execz .LBB56_86
; %bb.89:                               ;   in Loop: Header=BB56_87 Depth=1
	s_mov_b32 s24, 0
.LBB56_90:                              ;   Parent Loop BB56_87 Depth=1
                                        ; =>  This Inner Loop Header: Depth=2
	;;#ASMSTART
	global_load_dwordx4 v[10:13], v[26:27] off glc	
s_waitcnt vmcnt(0)
	;;#ASMEND
	v_and_b32_e32 v13, 0xff, v12
	s_delay_alu instid0(VALU_DEP_1) | instskip(SKIP_1) | instid1(SALU_CYCLE_1)
	v_cmp_ne_u16_e32 vcc_lo, 0, v13
	s_or_b32 s24, vcc_lo, s24
	s_and_not1_b32 exec_lo, exec_lo, s24
	s_cbranch_execnz .LBB56_90
; %bb.91:                               ;   in Loop: Header=BB56_87 Depth=1
	s_or_b32 exec_lo, exec_lo, s24
	s_branch .LBB56_86
.LBB56_92:                              ;   in Loop: Header=BB56_87 Depth=1
                                        ; implicit-def: $vgpr11
                                        ; implicit-def: $vgpr10
                                        ; implicit-def: $vgpr12
	s_cbranch_execz .LBB56_87
; %bb.93:
	s_and_saveexec_b32 s11, s10
	s_cbranch_execz .LBB56_95
; %bb.94:
	s_and_b32 s20, s23, 0xff
	s_mov_b32 s21, 0
	s_cmp_eq_u32 s20, 0
	v_and_b32_e32 v11, 1, v43
	s_cselect_b32 vcc_lo, -1, 0
	s_bitcmp1_b32 s23, 0
	v_cndmask_b32_e32 v10, 0, v44, vcc_lo
	s_cselect_b32 s23, -1, 0
	s_add_i32 s20, s15, 32
	v_mov_b32_e32 v12, 0
	s_lshl_b64 s[20:21], s[20:21], 4
	v_add_nc_u32_e32 v9, v10, v9
	s_add_u32 s20, s16, s20
	s_addc_u32 s21, s17, s21
	v_cndmask_b32_e64 v10, v11, 1, s23
	v_mov_b32_e32 v25, s21
	v_dual_mov_b32 v11, 2 :: v_dual_mov_b32 v24, s20
	;;#ASMSTART
	global_store_dwordx4 v[24:25], v[9:12] off	
s_waitcnt vmcnt(0)
	;;#ASMEND
.LBB56_95:
	s_or_b32 exec_lo, exec_lo, s11
	v_cmp_eq_u32_e32 vcc_lo, 0, v0
	s_and_b32 exec_lo, exec_lo, vcc_lo
	s_cbranch_execz .LBB56_97
; %bb.96:
	v_mov_b32_e32 v9, 0
	ds_store_b32 v9, v44 offset:56
	ds_store_b8 v9, v43 offset:60
.LBB56_97:
	s_or_b32 exec_lo, exec_lo, s14
	s_waitcnt lgkmcnt(0)
	v_cndmask_b32_e64 v9, v33, v31, s10
	v_dual_mov_b32 v10, 0 :: v_dual_and_b32 v11, 1, v15
	s_barrier
	s_delay_alu instid0(VALU_DEP_2)
	v_and_b32_e32 v9, 1, v9
	buffer_gl0_inv
	v_cmp_eq_u32_e32 vcc_lo, 1, v11
	ds_load_b32 v10, v10 offset:56
	s_mov_b32 s14, 0
	s_mov_b32 s15, 1
	v_cndmask_b32_e64 v11, v32, v30, s10
	v_cndmask_b32_e64 v9, v9, 1, vcc_lo
	v_cmp_eq_u32_e32 vcc_lo, 0, v0
	v_cmp_gt_u64_e64 s10, s[14:15], v[14:15]
	s_delay_alu instid0(VALU_DEP_3) | instskip(NEXT) | instid1(VALU_DEP_2)
	v_cndmask_b32_e32 v9, v9, v15, vcc_lo
	v_cndmask_b32_e64 v11, 0, v11, s10
	s_delay_alu instid0(VALU_DEP_2) | instskip(NEXT) | instid1(VALU_DEP_2)
	v_and_b32_e32 v9, 0xff, v9
	v_cndmask_b32_e64 v11, v11, 0, vcc_lo
	s_delay_alu instid0(VALU_DEP_2) | instskip(SKIP_2) | instid1(VALU_DEP_1)
	v_cmp_eq_u16_e32 vcc_lo, 0, v9
	s_waitcnt lgkmcnt(0)
	v_cndmask_b32_e32 v9, 0, v10, vcc_lo
	v_add3_u32 v9, v11, v14, v9
	s_delay_alu instid0(VALU_DEP_1) | instskip(NEXT) | instid1(VALU_DEP_1)
	v_cndmask_b32_e64 v10, 0, v9, s2
	v_add_nc_u32_e32 v24, v10, v16
	s_delay_alu instid0(VALU_DEP_1) | instskip(NEXT) | instid1(VALU_DEP_1)
	v_cndmask_b32_e64 v10, 0, v24, s3
	v_add_nc_u32_e32 v25, v10, v18
	;; [unrolled: 3-line block ×8, first 2 shown]
	s_branch .LBB56_122
.LBB56_98:
                                        ; implicit-def: $vgpr9_vgpr10
                                        ; implicit-def: $vgpr24
                                        ; implicit-def: $vgpr25
                                        ; implicit-def: $vgpr26
                                        ; implicit-def: $vgpr27
                                        ; implicit-def: $vgpr30
                                        ; implicit-def: $vgpr31
                                        ; implicit-def: $vgpr32
                                        ; implicit-def: $vgpr33
	s_cbranch_execz .LBB56_122
; %bb.99:
	v_cmp_eq_u32_e32 vcc_lo, 0, v0
	s_cmp_lg_u64 s[12:13], 0
	v_cmp_ne_u32_e64 s2, 0, v0
	s_cselect_b32 s3, -1, 0
	s_mov_b32 s14, 0
	s_and_b32 s3, vcc_lo, s3
	s_delay_alu instid0(SALU_CYCLE_1)
	s_and_saveexec_b32 s4, s3
	s_cbranch_execz .LBB56_101
; %bb.100:
	v_dual_mov_b32 v9, 0 :: v_dual_and_b32 v10, 1, v15
	s_mov_b32 s15, 1
	s_load_b32 s5, s[12:13], 0x0
	v_cmp_gt_u64_e64 s3, s[14:15], v[14:15]
	global_load_u8 v11, v9, s[12:13] offset:4
	s_waitcnt lgkmcnt(0)
	v_cndmask_b32_e64 v12, 0, s5, s3
	v_cmp_eq_u64_e64 s3, 0, v[9:10]
	s_delay_alu instid0(VALU_DEP_2) | instskip(SKIP_2) | instid1(VALU_DEP_1)
	v_add_nc_u32_e32 v14, v12, v14
	s_waitcnt vmcnt(0)
	v_and_b32_e32 v11, 1, v11
	v_cndmask_b32_e64 v15, 1, v11, s3
.LBB56_101:
	s_or_b32 exec_lo, exec_lo, s4
	s_mov_b32 s15, 1
	v_and_b32_e32 v12, 1, v4
	v_cmp_gt_u64_e64 s3, s[14:15], v[16:17]
	v_cmp_gt_u64_e64 s4, s[14:15], v[18:19]
	;; [unrolled: 1-line block ×4, first 2 shown]
	s_mov_b32 s13, exec_lo
	s_delay_alu instid0(VALU_DEP_4) | instskip(NEXT) | instid1(VALU_DEP_1)
	v_cndmask_b32_e64 v9, 0, v14, s3
	v_dual_mov_b32 v9, 0 :: v_dual_add_nc_u32 v24, v9, v16
	v_and_b32_e32 v10, 1, v2
	v_and_b32_e32 v27, 1, v6
	v_and_b32_e32 v31, 1, v8
	s_delay_alu instid0(VALU_DEP_4)
	v_cndmask_b32_e64 v13, 0, v24, s4
	v_mov_b32_e32 v30, v9
	v_mov_b32_e32 v11, v9
	;; [unrolled: 1-line block ×3, first 2 shown]
	v_cmp_ne_u64_e64 s5, 0, v[9:10]
	v_add_nc_u32_e32 v25, v13, v18
	s_delay_alu instid0(VALU_DEP_4) | instskip(NEXT) | instid1(VALU_DEP_3)
	v_cmp_ne_u64_e64 s6, 0, v[11:12]
	v_cndmask_b32_e64 v9, 0, 1, s5
	v_cmp_gt_u64_e64 s5, s[14:15], v[20:21]
	s_delay_alu instid0(VALU_DEP_3) | instskip(SKIP_1) | instid1(VALU_DEP_3)
	v_cndmask_b32_e64 v11, 0, 1, s6
	v_cmp_ne_u64_e64 s6, 0, v[26:27]
	v_cndmask_b32_e64 v10, 0, v25, s5
	s_delay_alu instid0(VALU_DEP_3) | instskip(NEXT) | instid1(VALU_DEP_3)
	v_lshlrev_b16 v11, 1, v11
	v_cndmask_b32_e64 v12, 0, 1, s6
	v_cmp_ne_u64_e64 s6, 0, v[30:31]
	s_delay_alu instid0(VALU_DEP_4) | instskip(NEXT) | instid1(VALU_DEP_4)
	v_add_nc_u32_e32 v26, v10, v20
	v_or_b32_e32 v9, v9, v11
	s_delay_alu instid0(VALU_DEP_4) | instskip(NEXT) | instid1(VALU_DEP_4)
	v_lshlrev_b16 v12, 2, v12
	v_cndmask_b32_e64 v10, 0, 1, s6
	v_cmp_gt_u64_e64 s6, s[14:15], v[1:2]
	s_delay_alu instid0(VALU_DEP_4) | instskip(NEXT) | instid1(VALU_DEP_3)
	v_and_b32_e32 v9, 3, v9
	v_lshlrev_b16 v10, 3, v10
	s_delay_alu instid0(VALU_DEP_3) | instskip(NEXT) | instid1(VALU_DEP_1)
	v_cndmask_b32_e64 v2, 0, v26, s6
	v_add_nc_u32_e32 v27, v2, v1
	s_delay_alu instid0(VALU_DEP_3) | instskip(SKIP_1) | instid1(VALU_DEP_3)
	v_or_b32_e32 v2, v10, v12
	v_or3_b32 v10, v23, v21, v19
	v_cndmask_b32_e64 v4, 0, v27, s7
	s_delay_alu instid0(VALU_DEP_3) | instskip(SKIP_1) | instid1(VALU_DEP_3)
	v_or_b32_e32 v2, v9, v2
	v_and_b32_e32 v9, 1, v17
	v_add_nc_u32_e32 v30, v4, v3
	v_and_b32_e32 v4, 1, v10
	s_delay_alu instid0(VALU_DEP_4) | instskip(NEXT) | instid1(VALU_DEP_4)
	v_and_b32_e32 v2, 15, v2
	v_cmp_eq_u32_e64 s11, 1, v9
	s_delay_alu instid0(VALU_DEP_4) | instskip(NEXT) | instid1(VALU_DEP_4)
	v_cndmask_b32_e64 v6, 0, v30, s8
	v_cmp_eq_u32_e64 s9, 1, v4
	s_delay_alu instid0(VALU_DEP_4) | instskip(NEXT) | instid1(VALU_DEP_3)
	v_cmp_ne_u16_e64 s10, 0, v2
	v_add_nc_u32_e32 v31, v6, v5
	s_delay_alu instid0(VALU_DEP_2) | instskip(SKIP_2) | instid1(SALU_CYCLE_1)
	s_or_b32 s10, s9, s10
	v_cmp_gt_u64_e64 s9, s[14:15], v[7:8]
	s_or_b32 s10, s10, s11
	v_cndmask_b32_e64 v6, v15, 1, s10
	v_cmp_gt_u64_e64 s10, s[14:15], v[22:23]
	s_delay_alu instid0(VALU_DEP_3) | instskip(NEXT) | instid1(VALU_DEP_1)
	v_cndmask_b32_e64 v2, 0, v31, s9
	v_add_nc_u32_e32 v32, v2, v7
	s_delay_alu instid0(VALU_DEP_4) | instskip(NEXT) | instid1(VALU_DEP_2)
	v_and_b32_e32 v2, 0xff, v6
	v_cndmask_b32_e64 v4, 0, v32, s10
	s_delay_alu instid0(VALU_DEP_2) | instskip(NEXT) | instid1(VALU_DEP_2)
	v_mov_b32_dpp v8, v2 row_shr:1 row_mask:0xf bank_mask:0xf
	v_add_nc_u32_e32 v33, v4, v22
	v_and_b32_e32 v4, 1, v6
	s_delay_alu instid0(VALU_DEP_3) | instskip(SKIP_1) | instid1(VALU_DEP_4)
	v_and_b32_e32 v9, 1, v8
	v_and_b32_e32 v8, 15, v29
	v_mov_b32_dpp v11, v33 row_shr:1 row_mask:0xf bank_mask:0xf
	s_delay_alu instid0(VALU_DEP_4) | instskip(NEXT) | instid1(VALU_DEP_1)
	v_cmp_eq_u32_e64 s11, 1, v4
	v_cndmask_b32_e64 v10, v9, 1, s11
	v_cmp_eq_u16_e64 s11, 0, v2
	s_delay_alu instid0(VALU_DEP_2) | instskip(NEXT) | instid1(VALU_DEP_2)
	v_and_b32_e32 v9, 0xffff, v10
	v_cndmask_b32_e64 v4, 0, v11, s11
	v_cmp_eq_u32_e64 s11, 0, v8
	s_delay_alu instid0(VALU_DEP_1) | instskip(NEXT) | instid1(VALU_DEP_4)
	v_cndmask_b32_e64 v11, v4, 0, s11
	v_cndmask_b32_e64 v4, v9, v2, s11
	;; [unrolled: 1-line block ×3, first 2 shown]
	s_delay_alu instid0(VALU_DEP_3) | instskip(NEXT) | instid1(VALU_DEP_3)
	v_add_nc_u32_e32 v2, v33, v11
	v_mov_b32_dpp v12, v4 row_shr:2 row_mask:0xf bank_mask:0xf
	v_mov_b32_e32 v9, v4
	s_delay_alu instid0(VALU_DEP_3)
	v_mov_b32_dpp v11, v2 row_shr:2 row_mask:0xf bank_mask:0xf
	v_cmpx_lt_u32_e32 1, v8
; %bb.102:
	v_and_b32_e32 v4, 1, v10
	v_cmp_eq_u16_e64 s11, 0, v10
	v_and_b32_e32 v6, 1, v12
	s_delay_alu instid0(VALU_DEP_2) | instskip(NEXT) | instid1(VALU_DEP_4)
	v_cndmask_b32_e64 v9, 0, v11, s11
	v_cmp_eq_u32_e64 s11, 1, v4
	s_delay_alu instid0(VALU_DEP_2) | instskip(NEXT) | instid1(VALU_DEP_2)
	v_add_nc_u32_e32 v2, v2, v9
	v_cndmask_b32_e64 v6, v6, 1, s11
	s_delay_alu instid0(VALU_DEP_1)
	v_dual_mov_b32 v4, v6 :: v_dual_and_b32 v9, 0xffff, v6
; %bb.103:
	s_or_b32 exec_lo, exec_lo, s13
	s_delay_alu instid0(VALU_DEP_3) | instskip(NEXT) | instid1(VALU_DEP_2)
	v_mov_b32_dpp v10, v2 row_shr:4 row_mask:0xf bank_mask:0xf
	v_mov_b32_dpp v11, v9 row_shr:4 row_mask:0xf bank_mask:0xf
	s_mov_b32 s12, exec_lo
	v_cmpx_lt_u32_e32 3, v8
; %bb.104:
	v_and_b32_e32 v6, 1, v4
	v_cmp_eq_u16_e64 s11, 0, v4
	v_and_b32_e32 v9, 1, v11
	s_delay_alu instid0(VALU_DEP_2) | instskip(NEXT) | instid1(VALU_DEP_4)
	v_cndmask_b32_e64 v4, 0, v10, s11
	v_cmp_eq_u32_e64 s11, 1, v6
	s_delay_alu instid0(VALU_DEP_2) | instskip(NEXT) | instid1(VALU_DEP_2)
	v_add_nc_u32_e32 v2, v4, v2
	v_cndmask_b32_e64 v6, v9, 1, s11
	s_delay_alu instid0(VALU_DEP_1)
	v_dual_mov_b32 v4, v6 :: v_dual_and_b32 v9, 0xffff, v6
; %bb.105:
	s_or_b32 exec_lo, exec_lo, s12
	s_delay_alu instid0(VALU_DEP_3) | instskip(NEXT) | instid1(VALU_DEP_2)
	v_mov_b32_dpp v10, v2 row_shr:8 row_mask:0xf bank_mask:0xf
	v_mov_b32_dpp v11, v9 row_shr:8 row_mask:0xf bank_mask:0xf
	s_mov_b32 s12, exec_lo
	v_cmpx_lt_u32_e32 7, v8
; %bb.106:
	v_and_b32_e32 v6, 1, v4
	v_cmp_eq_u16_e64 s11, 0, v4
	v_and_b32_e32 v8, 1, v11
	s_delay_alu instid0(VALU_DEP_2) | instskip(NEXT) | instid1(VALU_DEP_4)
	v_cndmask_b32_e64 v4, 0, v10, s11
	v_cmp_eq_u32_e64 s11, 1, v6
	s_delay_alu instid0(VALU_DEP_2) | instskip(NEXT) | instid1(VALU_DEP_2)
	v_add_nc_u32_e32 v2, v4, v2
	v_cndmask_b32_e64 v6, v8, 1, s11
	s_delay_alu instid0(VALU_DEP_1)
	v_dual_mov_b32 v4, v6 :: v_dual_and_b32 v9, 0xffff, v6
; %bb.107:
	s_or_b32 exec_lo, exec_lo, s12
	ds_swizzle_b32 v8, v2 offset:swizzle(BROADCAST,32,15)
	ds_swizzle_b32 v9, v9 offset:swizzle(BROADCAST,32,15)
	v_cmp_eq_u16_e64 s11, 0, v4
	v_and_b32_e32 v4, 1, v4
	v_bfe_i32 v10, v29, 4, 1
	v_and_b32_e32 v11, 16, v29
	s_mov_b32 s12, exec_lo
	s_waitcnt lgkmcnt(1)
	v_cndmask_b32_e64 v8, 0, v8, s11
	s_waitcnt lgkmcnt(0)
	v_and_b32_e32 v9, 1, v9
	v_cmp_eq_u32_e64 s11, 1, v4
	v_lshrrev_b32_e32 v4, 5, v0
	v_and_b32_e32 v8, v10, v8
	v_or_b32_e32 v10, 31, v0
	s_delay_alu instid0(VALU_DEP_4) | instskip(SKIP_1) | instid1(VALU_DEP_4)
	v_cndmask_b32_e64 v9, v9, 1, s11
	v_cmp_eq_u32_e64 s11, 0, v11
	v_add_nc_u32_e32 v2, v8, v2
	s_delay_alu instid0(VALU_DEP_2)
	v_cndmask_b32_e64 v6, v9, v6, s11
	v_cmpx_eq_u32_e64 v10, v0
	s_cbranch_execz .LBB56_109
; %bb.108:
	v_lshlrev_b32_e32 v8, 3, v4
	ds_store_b32 v8, v2
	ds_store_b8 v8, v6 offset:4
.LBB56_109:
	s_or_b32 exec_lo, exec_lo, s12
	s_delay_alu instid0(SALU_CYCLE_1)
	s_mov_b32 s13, exec_lo
	s_waitcnt lgkmcnt(0)
	s_barrier
	buffer_gl0_inv
	v_cmpx_gt_u32_e32 8, v0
	s_cbranch_execz .LBB56_115
; %bb.110:
	v_lshlrev_b32_e32 v10, 3, v0
	v_and_b32_e32 v11, 7, v29
	s_mov_b32 s12, exec_lo
	ds_load_b64 v[8:9], v10
	s_waitcnt lgkmcnt(0)
	v_dual_mov_b32 v13, v9 :: v_dual_and_b32 v12, 0xffffff00, v9
	v_mov_b32_dpp v17, v8 row_shr:1 row_mask:0xf bank_mask:0xf
	v_mov_b32_dpp v19, v9 row_shr:1 row_mask:0xf bank_mask:0xf
	v_cmpx_ne_u32_e32 0, v11
; %bb.111:
	v_and_b32_e32 v13, 1, v9
	s_delay_alu instid0(VALU_DEP_3) | instskip(SKIP_1) | instid1(VALU_DEP_3)
	v_and_b32_e32 v19, 1, v19
	v_and_b32_e32 v21, 0xff, v9
	v_cmp_eq_u32_e64 s11, 1, v13
	s_delay_alu instid0(VALU_DEP_1) | instskip(NEXT) | instid1(VALU_DEP_3)
	v_cndmask_b32_e64 v9, v19, 1, s11
	v_cmp_eq_u16_e64 s11, 0, v21
	s_delay_alu instid0(VALU_DEP_1) | instskip(NEXT) | instid1(VALU_DEP_3)
	v_cndmask_b32_e64 v13, 0, v17, s11
	v_and_b32_e32 v17, 0xffff, v9
	s_delay_alu instid0(VALU_DEP_2) | instskip(NEXT) | instid1(VALU_DEP_2)
	v_add_nc_u32_e32 v8, v13, v8
	v_or_b32_e32 v13, v12, v17
; %bb.112:
	s_or_b32 exec_lo, exec_lo, s12
	s_delay_alu instid0(VALU_DEP_2) | instskip(NEXT) | instid1(VALU_DEP_2)
	v_mov_b32_dpp v17, v8 row_shr:2 row_mask:0xf bank_mask:0xf
	v_mov_b32_dpp v21, v13 row_shr:2 row_mask:0xf bank_mask:0xf
	v_mov_b32_e32 v19, v13
	s_mov_b32 s12, exec_lo
	v_cmpx_lt_u32_e32 1, v11
; %bb.113:
	v_and_b32_e32 v9, 1, v13
	v_and_b32_e32 v19, 1, v21
	;; [unrolled: 1-line block ×3, first 2 shown]
	s_delay_alu instid0(VALU_DEP_3) | instskip(NEXT) | instid1(VALU_DEP_1)
	v_cmp_eq_u32_e64 s11, 1, v9
	v_cndmask_b32_e64 v9, v19, 1, s11
	s_delay_alu instid0(VALU_DEP_3) | instskip(NEXT) | instid1(VALU_DEP_2)
	v_cmp_eq_u16_e64 s11, 0, v13
	v_mov_b32_e32 v19, v9
	s_delay_alu instid0(VALU_DEP_2) | instskip(SKIP_1) | instid1(VALU_DEP_2)
	v_cndmask_b32_e64 v13, 0, v17, s11
	v_and_b32_e32 v17, 0xffff, v9
	v_add_nc_u32_e32 v8, v13, v8
	s_delay_alu instid0(VALU_DEP_2)
	v_or_b32_e32 v13, v12, v17
; %bb.114:
	s_or_b32 exec_lo, exec_lo, s12
	s_delay_alu instid0(VALU_DEP_1) | instskip(SKIP_2) | instid1(VALU_DEP_3)
	v_mov_b32_dpp v12, v13 row_shr:4 row_mask:0xf bank_mask:0xf
	v_and_b32_e32 v17, 1, v19
	v_and_b32_e32 v13, 0xff, v19
	v_and_b32_e32 v12, 1, v12
	s_delay_alu instid0(VALU_DEP_3) | instskip(NEXT) | instid1(VALU_DEP_3)
	v_cmp_eq_u32_e64 s12, 1, v17
	v_cmp_eq_u16_e64 s11, 0, v13
	s_delay_alu instid0(VALU_DEP_2) | instskip(SKIP_2) | instid1(VALU_DEP_2)
	v_cndmask_b32_e64 v12, v12, 1, s12
	v_cmp_lt_u32_e64 s12, 3, v11
	v_mov_b32_dpp v11, v8 row_shr:4 row_mask:0xf bank_mask:0xf
	s_and_b32 s11, s12, s11
	s_delay_alu instid0(VALU_DEP_3) | instskip(NEXT) | instid1(VALU_DEP_2)
	v_cndmask_b32_e64 v9, v9, v12, s12
	v_cndmask_b32_e64 v11, 0, v11, s11
	s_delay_alu instid0(VALU_DEP_1)
	v_add_nc_u32_e32 v8, v11, v8
	ds_store_b32 v10, v8
	ds_store_b8 v10, v9 offset:4
.LBB56_115:
	s_or_b32 exec_lo, exec_lo, s13
	v_mov_b32_e32 v8, 0
	s_mov_b32 s12, exec_lo
	s_waitcnt lgkmcnt(0)
	s_barrier
	buffer_gl0_inv
	v_cmpx_lt_u32_e32 31, v0
	s_cbranch_execz .LBB56_117
; %bb.116:
	v_lshl_add_u32 v4, v4, 3, -8
	ds_load_b32 v8, v4
	v_and_b32_e32 v4, 0xff, v6
	s_delay_alu instid0(VALU_DEP_1) | instskip(SKIP_1) | instid1(VALU_DEP_1)
	v_cmp_eq_u16_e64 s11, 0, v4
	s_waitcnt lgkmcnt(0)
	v_cndmask_b32_e64 v4, 0, v8, s11
	s_delay_alu instid0(VALU_DEP_1)
	v_add_nc_u32_e32 v2, v4, v2
.LBB56_117:
	s_or_b32 exec_lo, exec_lo, s12
	v_add_nc_u32_e32 v4, -1, v29
	s_mov_b32 s12, 0
	s_delay_alu instid0(VALU_DEP_1) | instskip(NEXT) | instid1(VALU_DEP_1)
	v_cmp_gt_i32_e64 s11, 0, v4
	v_cndmask_b32_e64 v4, v4, v29, s11
	s_delay_alu instid0(VALU_DEP_1)
	v_lshlrev_b32_e32 v4, 2, v4
	ds_bpermute_b32 v2, v4, v2
	s_and_saveexec_b32 s11, s2
	s_cbranch_execz .LBB56_119
; %bb.118:
	v_cmp_eq_u32_e64 s2, 0, v29
	s_mov_b32 s13, 1
	s_waitcnt lgkmcnt(0)
	s_delay_alu instid0(VALU_DEP_1) | instskip(SKIP_1) | instid1(VALU_DEP_1)
	v_cndmask_b32_e64 v2, v2, v8, s2
	v_cmp_gt_u64_e64 s2, s[12:13], v[14:15]
	v_cndmask_b32_e64 v2, 0, v2, s2
	s_delay_alu instid0(VALU_DEP_1) | instskip(NEXT) | instid1(VALU_DEP_1)
	v_add_nc_u32_e32 v14, v2, v14
	v_cndmask_b32_e64 v2, 0, v14, s3
	s_delay_alu instid0(VALU_DEP_1) | instskip(NEXT) | instid1(VALU_DEP_1)
	v_add_nc_u32_e32 v24, v2, v16
	;; [unrolled: 3-line block ×8, first 2 shown]
	v_cndmask_b32_e64 v1, 0, v32, s10
	s_delay_alu instid0(VALU_DEP_1)
	v_add_nc_u32_e32 v33, v1, v22
.LBB56_119:
	s_or_b32 exec_lo, exec_lo, s11
	s_and_saveexec_b32 s2, vcc_lo
	s_cbranch_execz .LBB56_121
; %bb.120:
	v_dual_mov_b32 v4, 0 :: v_dual_mov_b32 v3, 2
	s_add_u32 s4, s16, 0x200
	s_addc_u32 s5, s17, 0
	ds_load_b32 v1, v4 offset:56
	s_waitcnt lgkmcnt(1)
	ds_load_u8 v2, v4 offset:60
	v_dual_mov_b32 v6, s5 :: v_dual_mov_b32 v5, s4
	s_waitcnt lgkmcnt(0)
	;;#ASMSTART
	global_store_dwordx4 v[5:6], v[1:4] off	
s_waitcnt vmcnt(0)
	;;#ASMEND
.LBB56_121:
	s_or_b32 exec_lo, exec_lo, s2
	v_dual_mov_b32 v9, v14 :: v_dual_mov_b32 v10, v15
.LBB56_122:
	s_load_b64 s[0:1], s[0:1], 0x18
	s_lshl_b64 s[2:3], s[34:35], 3
	v_lshlrev_b32_e32 v8, 3, v0
	s_waitcnt lgkmcnt(0)
	s_add_u32 s0, s0, s2
	s_addc_u32 s1, s1, s3
	s_and_b32 vcc_lo, exec_lo, s22
	s_cbranch_vccz .LBB56_140
; %bb.123:
	v_mul_u32_u24_e32 v1, 9, v0
	s_barrier
	buffer_gl0_inv
	v_add_co_u32 v4, s2, s0, v8
	v_lshlrev_b32_e32 v14, 2, v1
	v_add_co_ci_u32_e64 v5, null, s1, 0, s2
	s_add_i32 s19, s19, s18
	ds_store_2addr_b32 v14, v9, v24 offset1:1
	ds_store_2addr_b32 v14, v25, v26 offset0:2 offset1:3
	ds_store_2addr_b32 v14, v27, v30 offset0:4 offset1:5
	;; [unrolled: 1-line block ×3, first 2 shown]
	v_sub_nc_u32_e32 v1, v14, v28
	ds_store_b32 v14, v33 offset:32
	s_waitcnt lgkmcnt(0)
	s_barrier
	buffer_gl0_inv
	ds_load_2addr_stride64_b32 v[12:13], v1 offset0:4 offset1:8
	ds_load_2addr_stride64_b32 v[10:11], v1 offset0:12 offset1:16
	;; [unrolled: 1-line block ×4, first 2 shown]
	v_mov_b32_e32 v1, 0
	s_mov_b32 s2, exec_lo
	v_cmpx_gt_u32_e64 s19, v0
	s_cbranch_execz .LBB56_125
; %bb.124:
	v_sub_nc_u32_e32 v15, 0, v28
	s_delay_alu instid0(VALU_DEP_1)
	v_add_nc_u32_e32 v14, v14, v15
	ds_load_b32 v14, v14
	s_waitcnt lgkmcnt(0)
	v_cvt_f64_i32_e32 v[14:15], v14
	global_store_b64 v[4:5], v[14:15], off
.LBB56_125:
	s_or_b32 exec_lo, exec_lo, s2
	v_or_b32_e32 v14, 0x100, v0
	s_mov_b32 s2, exec_lo
	s_delay_alu instid0(VALU_DEP_1)
	v_cmpx_gt_u32_e64 s19, v14
	s_cbranch_execz .LBB56_127
; %bb.126:
	s_waitcnt lgkmcnt(3)
	v_cvt_f64_i32_e32 v[14:15], v12
	global_store_b64 v[4:5], v[14:15], off offset:2048
.LBB56_127:
	s_or_b32 exec_lo, exec_lo, s2
	s_waitcnt lgkmcnt(3)
	v_or_b32_e32 v12, 0x200, v0
	s_mov_b32 s2, exec_lo
	s_delay_alu instid0(VALU_DEP_1)
	v_cmpx_gt_u32_e64 s19, v12
	s_cbranch_execz .LBB56_129
; %bb.128:
	v_cvt_f64_i32_e32 v[12:13], v13
	v_add_co_u32 v14, vcc_lo, 0x1000, v4
	v_add_co_ci_u32_e32 v15, vcc_lo, 0, v5, vcc_lo
	global_store_b64 v[14:15], v[12:13], off
.LBB56_129:
	s_or_b32 exec_lo, exec_lo, s2
	v_or_b32_e32 v12, 0x300, v0
	s_mov_b32 s2, exec_lo
	s_delay_alu instid0(VALU_DEP_1)
	v_cmpx_gt_u32_e64 s19, v12
	s_cbranch_execz .LBB56_131
; %bb.130:
	s_waitcnt lgkmcnt(2)
	v_cvt_f64_i32_e32 v[12:13], v10
	v_add_co_u32 v14, vcc_lo, 0x1000, v4
	v_add_co_ci_u32_e32 v15, vcc_lo, 0, v5, vcc_lo
	global_store_b64 v[14:15], v[12:13], off offset:2048
.LBB56_131:
	s_or_b32 exec_lo, exec_lo, s2
	s_waitcnt lgkmcnt(2)
	v_or_b32_e32 v10, 0x400, v0
	s_mov_b32 s2, exec_lo
	s_delay_alu instid0(VALU_DEP_1)
	v_cmpx_gt_u32_e64 s19, v10
	s_cbranch_execz .LBB56_133
; %bb.132:
	v_cvt_f64_i32_e32 v[10:11], v11
	v_add_co_u32 v12, vcc_lo, 0x2000, v4
	v_add_co_ci_u32_e32 v13, vcc_lo, 0, v5, vcc_lo
	global_store_b64 v[12:13], v[10:11], off
.LBB56_133:
	s_or_b32 exec_lo, exec_lo, s2
	v_or_b32_e32 v10, 0x500, v0
	s_mov_b32 s2, exec_lo
	s_delay_alu instid0(VALU_DEP_1)
	v_cmpx_gt_u32_e64 s19, v10
	s_cbranch_execz .LBB56_135
; %bb.134:
	s_waitcnt lgkmcnt(1)
	v_cvt_f64_i32_e32 v[10:11], v6
	v_add_co_u32 v12, vcc_lo, 0x2000, v4
	v_add_co_ci_u32_e32 v13, vcc_lo, 0, v5, vcc_lo
	global_store_b64 v[12:13], v[10:11], off offset:2048
.LBB56_135:
	;; [unrolled: 26-line block ×3, first 2 shown]
	s_or_b32 exec_lo, exec_lo, s2
	s_waitcnt lgkmcnt(0)
	v_or_b32_e32 v2, 0x800, v0
	s_delay_alu instid0(VALU_DEP_1)
	v_cmp_gt_u32_e64 s2, s19, v2
	s_branch .LBB56_142
.LBB56_140:
	s_mov_b32 s2, 0
                                        ; implicit-def: $vgpr3
	s_cbranch_execz .LBB56_142
; %bb.141:
	v_mul_u32_u24_e32 v1, 36, v0
	s_waitcnt_vscnt null, 0x0
	s_barrier
	buffer_gl0_inv
	s_or_b32 s2, s2, exec_lo
	v_sub_nc_u32_e32 v23, v1, v28
	ds_store_2addr_b32 v1, v9, v24 offset1:1
	ds_store_2addr_b32 v1, v25, v26 offset0:2 offset1:3
	ds_store_2addr_b32 v1, v27, v30 offset0:4 offset1:5
	;; [unrolled: 1-line block ×3, first 2 shown]
	ds_store_b32 v1, v33 offset:32
	s_waitcnt lgkmcnt(0)
	s_barrier
	buffer_gl0_inv
	ds_load_2addr_stride64_b32 v[1:2], v23 offset1:4
	ds_load_2addr_stride64_b32 v[3:4], v23 offset0:8 offset1:12
	ds_load_2addr_stride64_b32 v[5:6], v23 offset0:16 offset1:20
	;; [unrolled: 1-line block ×3, first 2 shown]
	s_waitcnt lgkmcnt(3)
	v_cvt_f64_i32_e32 v[11:12], v2
	s_waitcnt lgkmcnt(2)
	v_cvt_f64_i32_e32 v[13:14], v3
	v_cvt_f64_i32_e32 v[15:16], v1
	s_waitcnt lgkmcnt(1)
	v_cvt_f64_i32_e32 v[17:18], v5
	v_cvt_f64_i32_e32 v[4:5], v4
	;; [unrolled: 1-line block ×3, first 2 shown]
	s_waitcnt lgkmcnt(0)
	v_cvt_f64_i32_e32 v[19:20], v9
	v_cvt_f64_i32_e32 v[9:10], v10
	ds_load_b32 v3, v23 offset:8192
	v_add_co_u32 v2, s3, s0, v8
	s_delay_alu instid0(VALU_DEP_1) | instskip(SKIP_1) | instid1(VALU_DEP_3)
	v_add_co_ci_u32_e64 v28, null, s1, 0, s3
	v_mov_b32_e32 v1, 0
	v_add_co_u32 v21, vcc_lo, 0x1000, v2
	s_delay_alu instid0(VALU_DEP_3)
	v_add_co_ci_u32_e32 v22, vcc_lo, 0, v28, vcc_lo
	v_add_co_u32 v23, vcc_lo, v2, 0x2000
	v_add_co_ci_u32_e32 v24, vcc_lo, 0, v28, vcc_lo
	v_add_co_u32 v25, vcc_lo, 0x2000, v2
	;; [unrolled: 2-line block ×3, first 2 shown]
	v_add_co_ci_u32_e32 v28, vcc_lo, 0, v28, vcc_lo
	s_clause 0x7
	global_store_b64 v8, v[11:12], s[0:1] offset:2048
	global_store_b64 v[23:24], v[13:14], off offset:-4096
	global_store_b64 v8, v[15:16], s[0:1]
	global_store_b64 v[23:24], v[17:18], off
	global_store_b64 v[21:22], v[4:5], off offset:2048
	global_store_b64 v[25:26], v[6:7], off offset:2048
	global_store_b64 v[27:28], v[19:20], off
	global_store_b64 v[27:28], v[9:10], off offset:2048
.LBB56_142:
	s_delay_alu instid0(VALU_DEP_1)
	s_and_saveexec_b32 s3, s2
	s_cbranch_execz .LBB56_144
; %bb.143:
	s_waitcnt lgkmcnt(0)
	v_cvt_f64_i32_e32 v[2:3], v3
	v_lshlrev_b64 v[0:1], 3, v[0:1]
	s_delay_alu instid0(VALU_DEP_1) | instskip(NEXT) | instid1(VALU_DEP_2)
	v_add_co_u32 v0, vcc_lo, s0, v0
	v_add_co_ci_u32_e32 v1, vcc_lo, s1, v1, vcc_lo
	s_delay_alu instid0(VALU_DEP_2) | instskip(NEXT) | instid1(VALU_DEP_2)
	v_add_co_u32 v0, vcc_lo, 0x4000, v0
	v_add_co_ci_u32_e32 v1, vcc_lo, 0, v1, vcc_lo
	global_store_b64 v[0:1], v[2:3], off
	s_nop 0
	s_sendmsg sendmsg(MSG_DEALLOC_VGPRS)
	s_endpgm
.LBB56_144:
	s_nop 0
	s_sendmsg sendmsg(MSG_DEALLOC_VGPRS)
	s_endpgm
	.section	.rodata,"a",@progbits
	.p2align	6, 0x0
	.amdhsa_kernel _ZN7rocprim6detail25device_scan_by_key_kernelILNS0_25lookback_scan_determinismE0ELb0ENS0_26wrapped_scan_by_key_configINS_14default_configEiiEEPiN6hipcub22TransformInputIteratorIiNS7_6CastOpIiEES6_lEEPdiNS7_8EqualityENS7_3SumENS0_19lookback_scan_stateINS_5tupleIJibEEELb0ELb1EEEiEEvT2_T3_T4_T5_T6_T7_T8_mmmPKNSG_IJT9_bEEE
		.amdhsa_group_segment_fixed_size 11264
		.amdhsa_private_segment_fixed_size 0
		.amdhsa_kernarg_size 80
		.amdhsa_user_sgpr_count 15
		.amdhsa_user_sgpr_dispatch_ptr 0
		.amdhsa_user_sgpr_queue_ptr 0
		.amdhsa_user_sgpr_kernarg_segment_ptr 1
		.amdhsa_user_sgpr_dispatch_id 0
		.amdhsa_user_sgpr_private_segment_size 0
		.amdhsa_wavefront_size32 1
		.amdhsa_uses_dynamic_stack 0
		.amdhsa_enable_private_segment 0
		.amdhsa_system_sgpr_workgroup_id_x 1
		.amdhsa_system_sgpr_workgroup_id_y 0
		.amdhsa_system_sgpr_workgroup_id_z 0
		.amdhsa_system_sgpr_workgroup_info 0
		.amdhsa_system_vgpr_workitem_id 0
		.amdhsa_next_free_vgpr 49
		.amdhsa_next_free_sgpr 40
		.amdhsa_reserve_vcc 1
		.amdhsa_float_round_mode_32 0
		.amdhsa_float_round_mode_16_64 0
		.amdhsa_float_denorm_mode_32 3
		.amdhsa_float_denorm_mode_16_64 3
		.amdhsa_dx10_clamp 1
		.amdhsa_ieee_mode 1
		.amdhsa_fp16_overflow 0
		.amdhsa_workgroup_processor_mode 1
		.amdhsa_memory_ordered 1
		.amdhsa_forward_progress 0
		.amdhsa_shared_vgpr_count 0
		.amdhsa_exception_fp_ieee_invalid_op 0
		.amdhsa_exception_fp_denorm_src 0
		.amdhsa_exception_fp_ieee_div_zero 0
		.amdhsa_exception_fp_ieee_overflow 0
		.amdhsa_exception_fp_ieee_underflow 0
		.amdhsa_exception_fp_ieee_inexact 0
		.amdhsa_exception_int_div_zero 0
	.end_amdhsa_kernel
	.section	.text._ZN7rocprim6detail25device_scan_by_key_kernelILNS0_25lookback_scan_determinismE0ELb0ENS0_26wrapped_scan_by_key_configINS_14default_configEiiEEPiN6hipcub22TransformInputIteratorIiNS7_6CastOpIiEES6_lEEPdiNS7_8EqualityENS7_3SumENS0_19lookback_scan_stateINS_5tupleIJibEEELb0ELb1EEEiEEvT2_T3_T4_T5_T6_T7_T8_mmmPKNSG_IJT9_bEEE,"axG",@progbits,_ZN7rocprim6detail25device_scan_by_key_kernelILNS0_25lookback_scan_determinismE0ELb0ENS0_26wrapped_scan_by_key_configINS_14default_configEiiEEPiN6hipcub22TransformInputIteratorIiNS7_6CastOpIiEES6_lEEPdiNS7_8EqualityENS7_3SumENS0_19lookback_scan_stateINS_5tupleIJibEEELb0ELb1EEEiEEvT2_T3_T4_T5_T6_T7_T8_mmmPKNSG_IJT9_bEEE,comdat
.Lfunc_end56:
	.size	_ZN7rocprim6detail25device_scan_by_key_kernelILNS0_25lookback_scan_determinismE0ELb0ENS0_26wrapped_scan_by_key_configINS_14default_configEiiEEPiN6hipcub22TransformInputIteratorIiNS7_6CastOpIiEES6_lEEPdiNS7_8EqualityENS7_3SumENS0_19lookback_scan_stateINS_5tupleIJibEEELb0ELb1EEEiEEvT2_T3_T4_T5_T6_T7_T8_mmmPKNSG_IJT9_bEEE, .Lfunc_end56-_ZN7rocprim6detail25device_scan_by_key_kernelILNS0_25lookback_scan_determinismE0ELb0ENS0_26wrapped_scan_by_key_configINS_14default_configEiiEEPiN6hipcub22TransformInputIteratorIiNS7_6CastOpIiEES6_lEEPdiNS7_8EqualityENS7_3SumENS0_19lookback_scan_stateINS_5tupleIJibEEELb0ELb1EEEiEEvT2_T3_T4_T5_T6_T7_T8_mmmPKNSG_IJT9_bEEE
                                        ; -- End function
	.section	.AMDGPU.csdata,"",@progbits
; Kernel info:
; codeLenInByte = 9868
; NumSgprs: 42
; NumVgprs: 49
; ScratchSize: 0
; MemoryBound: 0
; FloatMode: 240
; IeeeMode: 1
; LDSByteSize: 11264 bytes/workgroup (compile time only)
; SGPRBlocks: 5
; VGPRBlocks: 6
; NumSGPRsForWavesPerEU: 42
; NumVGPRsForWavesPerEU: 49
; Occupancy: 16
; WaveLimiterHint : 1
; COMPUTE_PGM_RSRC2:SCRATCH_EN: 0
; COMPUTE_PGM_RSRC2:USER_SGPR: 15
; COMPUTE_PGM_RSRC2:TRAP_HANDLER: 0
; COMPUTE_PGM_RSRC2:TGID_X_EN: 1
; COMPUTE_PGM_RSRC2:TGID_Y_EN: 0
; COMPUTE_PGM_RSRC2:TGID_Z_EN: 0
; COMPUTE_PGM_RSRC2:TIDIG_COMP_CNT: 0
	.section	.text._ZN7rocprim6detail25device_scan_by_key_kernelILNS0_25lookback_scan_determinismE0ELb0ENS0_26wrapped_scan_by_key_configINS_14default_configEiiEEPiN6hipcub22TransformInputIteratorIsNS7_6CastOpIsEEPslEEPfsNS7_8EqualityENS7_3SumENS0_19lookback_scan_stateINS_5tupleIJibEEELb1ELb1EEEiEEvT2_T3_T4_T5_T6_T7_T8_mmmPKNSH_IJT9_bEEE,"axG",@progbits,_ZN7rocprim6detail25device_scan_by_key_kernelILNS0_25lookback_scan_determinismE0ELb0ENS0_26wrapped_scan_by_key_configINS_14default_configEiiEEPiN6hipcub22TransformInputIteratorIsNS7_6CastOpIsEEPslEEPfsNS7_8EqualityENS7_3SumENS0_19lookback_scan_stateINS_5tupleIJibEEELb1ELb1EEEiEEvT2_T3_T4_T5_T6_T7_T8_mmmPKNSH_IJT9_bEEE,comdat
	.protected	_ZN7rocprim6detail25device_scan_by_key_kernelILNS0_25lookback_scan_determinismE0ELb0ENS0_26wrapped_scan_by_key_configINS_14default_configEiiEEPiN6hipcub22TransformInputIteratorIsNS7_6CastOpIsEEPslEEPfsNS7_8EqualityENS7_3SumENS0_19lookback_scan_stateINS_5tupleIJibEEELb1ELb1EEEiEEvT2_T3_T4_T5_T6_T7_T8_mmmPKNSH_IJT9_bEEE ; -- Begin function _ZN7rocprim6detail25device_scan_by_key_kernelILNS0_25lookback_scan_determinismE0ELb0ENS0_26wrapped_scan_by_key_configINS_14default_configEiiEEPiN6hipcub22TransformInputIteratorIsNS7_6CastOpIsEEPslEEPfsNS7_8EqualityENS7_3SumENS0_19lookback_scan_stateINS_5tupleIJibEEELb1ELb1EEEiEEvT2_T3_T4_T5_T6_T7_T8_mmmPKNSH_IJT9_bEEE
	.globl	_ZN7rocprim6detail25device_scan_by_key_kernelILNS0_25lookback_scan_determinismE0ELb0ENS0_26wrapped_scan_by_key_configINS_14default_configEiiEEPiN6hipcub22TransformInputIteratorIsNS7_6CastOpIsEEPslEEPfsNS7_8EqualityENS7_3SumENS0_19lookback_scan_stateINS_5tupleIJibEEELb1ELb1EEEiEEvT2_T3_T4_T5_T6_T7_T8_mmmPKNSH_IJT9_bEEE
	.p2align	8
	.type	_ZN7rocprim6detail25device_scan_by_key_kernelILNS0_25lookback_scan_determinismE0ELb0ENS0_26wrapped_scan_by_key_configINS_14default_configEiiEEPiN6hipcub22TransformInputIteratorIsNS7_6CastOpIsEEPslEEPfsNS7_8EqualityENS7_3SumENS0_19lookback_scan_stateINS_5tupleIJibEEELb1ELb1EEEiEEvT2_T3_T4_T5_T6_T7_T8_mmmPKNSH_IJT9_bEEE,@function
_ZN7rocprim6detail25device_scan_by_key_kernelILNS0_25lookback_scan_determinismE0ELb0ENS0_26wrapped_scan_by_key_configINS_14default_configEiiEEPiN6hipcub22TransformInputIteratorIsNS7_6CastOpIsEEPslEEPfsNS7_8EqualityENS7_3SumENS0_19lookback_scan_stateINS_5tupleIJibEEELb1ELb1EEEiEEvT2_T3_T4_T5_T6_T7_T8_mmmPKNSH_IJT9_bEEE: ; @_ZN7rocprim6detail25device_scan_by_key_kernelILNS0_25lookback_scan_determinismE0ELb0ENS0_26wrapped_scan_by_key_configINS_14default_configEiiEEPiN6hipcub22TransformInputIteratorIsNS7_6CastOpIsEEPslEEPfsNS7_8EqualityENS7_3SumENS0_19lookback_scan_stateINS_5tupleIJibEEELb1ELb1EEEiEEvT2_T3_T4_T5_T6_T7_T8_mmmPKNSH_IJT9_bEEE
; %bb.0:
	s_endpgm
	.section	.rodata,"a",@progbits
	.p2align	6, 0x0
	.amdhsa_kernel _ZN7rocprim6detail25device_scan_by_key_kernelILNS0_25lookback_scan_determinismE0ELb0ENS0_26wrapped_scan_by_key_configINS_14default_configEiiEEPiN6hipcub22TransformInputIteratorIsNS7_6CastOpIsEEPslEEPfsNS7_8EqualityENS7_3SumENS0_19lookback_scan_stateINS_5tupleIJibEEELb1ELb1EEEiEEvT2_T3_T4_T5_T6_T7_T8_mmmPKNSH_IJT9_bEEE
		.amdhsa_group_segment_fixed_size 0
		.amdhsa_private_segment_fixed_size 0
		.amdhsa_kernarg_size 80
		.amdhsa_user_sgpr_count 15
		.amdhsa_user_sgpr_dispatch_ptr 0
		.amdhsa_user_sgpr_queue_ptr 0
		.amdhsa_user_sgpr_kernarg_segment_ptr 1
		.amdhsa_user_sgpr_dispatch_id 0
		.amdhsa_user_sgpr_private_segment_size 0
		.amdhsa_wavefront_size32 1
		.amdhsa_uses_dynamic_stack 0
		.amdhsa_enable_private_segment 0
		.amdhsa_system_sgpr_workgroup_id_x 1
		.amdhsa_system_sgpr_workgroup_id_y 0
		.amdhsa_system_sgpr_workgroup_id_z 0
		.amdhsa_system_sgpr_workgroup_info 0
		.amdhsa_system_vgpr_workitem_id 0
		.amdhsa_next_free_vgpr 1
		.amdhsa_next_free_sgpr 1
		.amdhsa_reserve_vcc 0
		.amdhsa_float_round_mode_32 0
		.amdhsa_float_round_mode_16_64 0
		.amdhsa_float_denorm_mode_32 3
		.amdhsa_float_denorm_mode_16_64 3
		.amdhsa_dx10_clamp 1
		.amdhsa_ieee_mode 1
		.amdhsa_fp16_overflow 0
		.amdhsa_workgroup_processor_mode 1
		.amdhsa_memory_ordered 1
		.amdhsa_forward_progress 0
		.amdhsa_shared_vgpr_count 0
		.amdhsa_exception_fp_ieee_invalid_op 0
		.amdhsa_exception_fp_denorm_src 0
		.amdhsa_exception_fp_ieee_div_zero 0
		.amdhsa_exception_fp_ieee_overflow 0
		.amdhsa_exception_fp_ieee_underflow 0
		.amdhsa_exception_fp_ieee_inexact 0
		.amdhsa_exception_int_div_zero 0
	.end_amdhsa_kernel
	.section	.text._ZN7rocprim6detail25device_scan_by_key_kernelILNS0_25lookback_scan_determinismE0ELb0ENS0_26wrapped_scan_by_key_configINS_14default_configEiiEEPiN6hipcub22TransformInputIteratorIsNS7_6CastOpIsEEPslEEPfsNS7_8EqualityENS7_3SumENS0_19lookback_scan_stateINS_5tupleIJibEEELb1ELb1EEEiEEvT2_T3_T4_T5_T6_T7_T8_mmmPKNSH_IJT9_bEEE,"axG",@progbits,_ZN7rocprim6detail25device_scan_by_key_kernelILNS0_25lookback_scan_determinismE0ELb0ENS0_26wrapped_scan_by_key_configINS_14default_configEiiEEPiN6hipcub22TransformInputIteratorIsNS7_6CastOpIsEEPslEEPfsNS7_8EqualityENS7_3SumENS0_19lookback_scan_stateINS_5tupleIJibEEELb1ELb1EEEiEEvT2_T3_T4_T5_T6_T7_T8_mmmPKNSH_IJT9_bEEE,comdat
.Lfunc_end57:
	.size	_ZN7rocprim6detail25device_scan_by_key_kernelILNS0_25lookback_scan_determinismE0ELb0ENS0_26wrapped_scan_by_key_configINS_14default_configEiiEEPiN6hipcub22TransformInputIteratorIsNS7_6CastOpIsEEPslEEPfsNS7_8EqualityENS7_3SumENS0_19lookback_scan_stateINS_5tupleIJibEEELb1ELb1EEEiEEvT2_T3_T4_T5_T6_T7_T8_mmmPKNSH_IJT9_bEEE, .Lfunc_end57-_ZN7rocprim6detail25device_scan_by_key_kernelILNS0_25lookback_scan_determinismE0ELb0ENS0_26wrapped_scan_by_key_configINS_14default_configEiiEEPiN6hipcub22TransformInputIteratorIsNS7_6CastOpIsEEPslEEPfsNS7_8EqualityENS7_3SumENS0_19lookback_scan_stateINS_5tupleIJibEEELb1ELb1EEEiEEvT2_T3_T4_T5_T6_T7_T8_mmmPKNSH_IJT9_bEEE
                                        ; -- End function
	.section	.AMDGPU.csdata,"",@progbits
; Kernel info:
; codeLenInByte = 4
; NumSgprs: 0
; NumVgprs: 0
; ScratchSize: 0
; MemoryBound: 0
; FloatMode: 240
; IeeeMode: 1
; LDSByteSize: 0 bytes/workgroup (compile time only)
; SGPRBlocks: 0
; VGPRBlocks: 0
; NumSGPRsForWavesPerEU: 1
; NumVGPRsForWavesPerEU: 1
; Occupancy: 16
; WaveLimiterHint : 0
; COMPUTE_PGM_RSRC2:SCRATCH_EN: 0
; COMPUTE_PGM_RSRC2:USER_SGPR: 15
; COMPUTE_PGM_RSRC2:TRAP_HANDLER: 0
; COMPUTE_PGM_RSRC2:TGID_X_EN: 1
; COMPUTE_PGM_RSRC2:TGID_Y_EN: 0
; COMPUTE_PGM_RSRC2:TGID_Z_EN: 0
; COMPUTE_PGM_RSRC2:TIDIG_COMP_CNT: 0
	.section	.text._ZN7rocprim6detail25device_scan_by_key_kernelILNS0_25lookback_scan_determinismE0ELb0ENS0_26wrapped_scan_by_key_configINS_14default_configEiiEEPiN6hipcub22TransformInputIteratorIsNS7_6CastOpIsEEPslEEPfsNS7_8EqualityENS7_3SumENS0_19lookback_scan_stateINS_5tupleIJibEEELb0ELb1EEEiEEvT2_T3_T4_T5_T6_T7_T8_mmmPKNSH_IJT9_bEEE,"axG",@progbits,_ZN7rocprim6detail25device_scan_by_key_kernelILNS0_25lookback_scan_determinismE0ELb0ENS0_26wrapped_scan_by_key_configINS_14default_configEiiEEPiN6hipcub22TransformInputIteratorIsNS7_6CastOpIsEEPslEEPfsNS7_8EqualityENS7_3SumENS0_19lookback_scan_stateINS_5tupleIJibEEELb0ELb1EEEiEEvT2_T3_T4_T5_T6_T7_T8_mmmPKNSH_IJT9_bEEE,comdat
	.protected	_ZN7rocprim6detail25device_scan_by_key_kernelILNS0_25lookback_scan_determinismE0ELb0ENS0_26wrapped_scan_by_key_configINS_14default_configEiiEEPiN6hipcub22TransformInputIteratorIsNS7_6CastOpIsEEPslEEPfsNS7_8EqualityENS7_3SumENS0_19lookback_scan_stateINS_5tupleIJibEEELb0ELb1EEEiEEvT2_T3_T4_T5_T6_T7_T8_mmmPKNSH_IJT9_bEEE ; -- Begin function _ZN7rocprim6detail25device_scan_by_key_kernelILNS0_25lookback_scan_determinismE0ELb0ENS0_26wrapped_scan_by_key_configINS_14default_configEiiEEPiN6hipcub22TransformInputIteratorIsNS7_6CastOpIsEEPslEEPfsNS7_8EqualityENS7_3SumENS0_19lookback_scan_stateINS_5tupleIJibEEELb0ELb1EEEiEEvT2_T3_T4_T5_T6_T7_T8_mmmPKNSH_IJT9_bEEE
	.globl	_ZN7rocprim6detail25device_scan_by_key_kernelILNS0_25lookback_scan_determinismE0ELb0ENS0_26wrapped_scan_by_key_configINS_14default_configEiiEEPiN6hipcub22TransformInputIteratorIsNS7_6CastOpIsEEPslEEPfsNS7_8EqualityENS7_3SumENS0_19lookback_scan_stateINS_5tupleIJibEEELb0ELb1EEEiEEvT2_T3_T4_T5_T6_T7_T8_mmmPKNSH_IJT9_bEEE
	.p2align	8
	.type	_ZN7rocprim6detail25device_scan_by_key_kernelILNS0_25lookback_scan_determinismE0ELb0ENS0_26wrapped_scan_by_key_configINS_14default_configEiiEEPiN6hipcub22TransformInputIteratorIsNS7_6CastOpIsEEPslEEPfsNS7_8EqualityENS7_3SumENS0_19lookback_scan_stateINS_5tupleIJibEEELb0ELb1EEEiEEvT2_T3_T4_T5_T6_T7_T8_mmmPKNSH_IJT9_bEEE,@function
_ZN7rocprim6detail25device_scan_by_key_kernelILNS0_25lookback_scan_determinismE0ELb0ENS0_26wrapped_scan_by_key_configINS_14default_configEiiEEPiN6hipcub22TransformInputIteratorIsNS7_6CastOpIsEEPslEEPfsNS7_8EqualityENS7_3SumENS0_19lookback_scan_stateINS_5tupleIJibEEELb0ELb1EEEiEEvT2_T3_T4_T5_T6_T7_T8_mmmPKNSH_IJT9_bEEE: ; @_ZN7rocprim6detail25device_scan_by_key_kernelILNS0_25lookback_scan_determinismE0ELb0ENS0_26wrapped_scan_by_key_configINS_14default_configEiiEEPiN6hipcub22TransformInputIteratorIsNS7_6CastOpIsEEPslEEPfsNS7_8EqualityENS7_3SumENS0_19lookback_scan_stateINS_5tupleIJibEEELb0ELb1EEEiEEvT2_T3_T4_T5_T6_T7_T8_mmmPKNSH_IJT9_bEEE
; %bb.0:
	s_clause 0x1
	s_load_b128 s[4:7], s[0:1], 0x0
	s_load_b256 s[16:23], s[0:1], 0x28
	s_mov_b32 s3, 0
	s_mul_i32 s2, s15, 0x900
	s_load_b64 s[12:13], s[0:1], 0x48
	s_lshl_b64 s[34:35], s[2:3], 2
	v_lshlrev_b32_e32 v28, 2, v0
	s_waitcnt lgkmcnt(0)
	s_add_u32 s38, s4, s34
	s_addc_u32 s39, s5, s35
	s_lshl_b64 s[4:5], s[2:3], 1
	s_delay_alu instid0(SALU_CYCLE_1)
	s_add_u32 s36, s6, s4
	s_addc_u32 s37, s7, s5
	s_add_u32 s4, s15, s20
	s_addc_u32 s5, 0, s21
	s_add_u32 s6, s22, -1
	s_addc_u32 s7, s23, -1
	s_mul_i32 s19, s6, 0xfffff700
	v_cmp_ge_u64_e64 s22, s[4:5], s[6:7]
	s_delay_alu instid0(VALU_DEP_1)
	s_and_b32 vcc_lo, exec_lo, s22
	s_cbranch_vccz .LBB58_29
; %bb.1:
	s_load_b32 s10, s[38:39], 0x0
	s_add_i32 s14, s19, s18
	v_add_co_u32 v1, s2, s38, v28
	s_delay_alu instid0(VALU_DEP_1)
	v_add_co_ci_u32_e64 v2, null, s39, 0, s2
	v_cmp_gt_u32_e32 vcc_lo, s14, v0
	s_waitcnt lgkmcnt(0)
	v_mov_b32_e32 v3, s10
	s_and_saveexec_b32 s2, vcc_lo
	s_cbranch_execz .LBB58_3
; %bb.2:
	global_load_b32 v3, v[1:2], off
.LBB58_3:
	s_or_b32 exec_lo, exec_lo, s2
	v_or_b32_e32 v4, 0x100, v0
	s_delay_alu instid0(VALU_DEP_1) | instskip(SKIP_1) | instid1(VALU_DEP_2)
	v_cmp_gt_u32_e64 s2, s14, v4
	v_mov_b32_e32 v4, s10
	s_and_saveexec_b32 s3, s2
	s_cbranch_execz .LBB58_5
; %bb.4:
	global_load_b32 v4, v[1:2], off offset:1024
.LBB58_5:
	s_or_b32 exec_lo, exec_lo, s3
	v_or_b32_e32 v5, 0x200, v0
	s_delay_alu instid0(VALU_DEP_1) | instskip(SKIP_1) | instid1(VALU_DEP_2)
	v_cmp_gt_u32_e64 s3, s14, v5
	v_mov_b32_e32 v5, s10
	s_and_saveexec_b32 s4, s3
	s_cbranch_execz .LBB58_7
; %bb.6:
	global_load_b32 v5, v[1:2], off offset:2048
.LBB58_7:
	;; [unrolled: 10-line block ×3, first 2 shown]
	s_or_b32 exec_lo, exec_lo, s5
	v_or_b32_e32 v7, 0x400, v0
	s_delay_alu instid0(VALU_DEP_1) | instskip(SKIP_1) | instid1(VALU_DEP_2)
	v_cmp_gt_u32_e64 s5, s14, v7
	v_mov_b32_e32 v7, s10
	s_and_saveexec_b32 s7, s5
	s_cbranch_execz .LBB58_11
; %bb.10:
	v_add_co_u32 v7, s6, 0x1000, v1
	s_delay_alu instid0(VALU_DEP_1)
	v_add_co_ci_u32_e64 v8, s6, 0, v2, s6
	global_load_b32 v7, v[7:8], off
.LBB58_11:
	s_or_b32 exec_lo, exec_lo, s7
	v_or_b32_e32 v8, 0x500, v0
	s_delay_alu instid0(VALU_DEP_1) | instskip(SKIP_1) | instid1(VALU_DEP_2)
	v_cmp_gt_u32_e64 s6, s14, v8
	v_mov_b32_e32 v8, s10
	s_and_saveexec_b32 s8, s6
	s_cbranch_execz .LBB58_13
; %bb.12:
	v_add_co_u32 v8, s7, 0x1000, v1
	s_delay_alu instid0(VALU_DEP_1)
	v_add_co_ci_u32_e64 v9, s7, 0, v2, s7
	global_load_b32 v8, v[8:9], off offset:1024
.LBB58_13:
	s_or_b32 exec_lo, exec_lo, s8
	v_or_b32_e32 v9, 0x600, v0
	s_delay_alu instid0(VALU_DEP_1) | instskip(SKIP_1) | instid1(VALU_DEP_2)
	v_cmp_gt_u32_e64 s7, s14, v9
	v_mov_b32_e32 v9, s10
	s_and_saveexec_b32 s9, s7
	s_cbranch_execz .LBB58_15
; %bb.14:
	v_add_co_u32 v9, s8, 0x1000, v1
	s_delay_alu instid0(VALU_DEP_1)
	v_add_co_ci_u32_e64 v10, s8, 0, v2, s8
	global_load_b32 v9, v[9:10], off offset:2048
.LBB58_15:
	;; [unrolled: 13-line block ×3, first 2 shown]
	s_or_b32 exec_lo, exec_lo, s11
	v_or_b32_e32 v11, 0x800, v0
	s_delay_alu instid0(VALU_DEP_1) | instskip(SKIP_1) | instid1(VALU_DEP_2)
	v_cmp_gt_u32_e64 s9, s14, v11
	v_mov_b32_e32 v11, s10
	s_and_saveexec_b32 s11, s9
	s_cbranch_execz .LBB58_19
; %bb.18:
	v_add_co_u32 v1, s10, 0x2000, v1
	s_delay_alu instid0(VALU_DEP_1)
	v_add_co_ci_u32_e64 v2, s10, 0, v2, s10
	global_load_b32 v11, v[1:2], off
.LBB58_19:
	s_or_b32 exec_lo, exec_lo, s11
	s_sub_u32 s10, 0, s15
	s_subb_u32 s11, 0, 0
	v_lshlrev_b32_e32 v1, 5, v0
	s_cmp_eq_u64 s[10:11], s[20:21]
	s_waitcnt vmcnt(0)
	ds_store_2addr_stride64_b32 v28, v3, v4 offset1:4
	ds_store_2addr_stride64_b32 v28, v5, v6 offset0:8 offset1:12
	ds_store_2addr_stride64_b32 v28, v7, v8 offset0:16 offset1:20
	;; [unrolled: 1-line block ×3, first 2 shown]
	ds_store_b32 v28, v11 offset:8192
	s_cselect_b32 s10, 0, -4
	s_cselect_b32 s11, 0, -1
	s_add_u32 s10, s38, s10
	s_addc_u32 s11, s39, s11
	s_waitcnt lgkmcnt(0)
	s_barrier
	buffer_gl0_inv
	s_load_b32 s11, s[10:11], 0x0
	v_add_nc_u32_e32 v11, v28, v1
	ds_load_b32 v29, v11 offset:32
	ds_load_2addr_b32 v[26:27], v11 offset1:1
	ds_load_2addr_b32 v[24:25], v11 offset0:2 offset1:3
	ds_load_2addr_b32 v[22:23], v11 offset0:4 offset1:5
	;; [unrolled: 1-line block ×3, first 2 shown]
	s_waitcnt lgkmcnt(0)
	v_mov_b32_e32 v13, s11
	s_mov_b32 s11, exec_lo
	ds_store_b32 v28, v29 offset:9216
	s_waitcnt lgkmcnt(0)
	s_barrier
	buffer_gl0_inv
	v_cmpx_ne_u32_e32 0, v0
	s_cbranch_execz .LBB58_21
; %bb.20:
	v_sub_nc_u32_e32 v1, 0, v1
	s_delay_alu instid0(VALU_DEP_1)
	v_add_nc_u32_e32 v1, v11, v1
	ds_load_b32 v13, v1 offset:9212
.LBB58_21:
	s_or_b32 exec_lo, exec_lo, s11
	v_lshlrev_b32_e32 v1, 1, v0
	s_waitcnt lgkmcnt(0)
	s_barrier
	buffer_gl0_inv
                                        ; implicit-def: $vgpr3
	v_add_co_u32 v1, s10, s36, v1
	s_delay_alu instid0(VALU_DEP_1)
	v_add_co_ci_u32_e64 v2, null, s37, 0, s10
	s_and_saveexec_b32 s10, vcc_lo
	s_cbranch_execz .LBB58_30
; %bb.22:
	global_load_i16 v3, v[1:2], off
	s_or_b32 exec_lo, exec_lo, s10
                                        ; implicit-def: $vgpr4
	s_and_saveexec_b32 s10, s2
	s_cbranch_execnz .LBB58_31
.LBB58_23:
	s_or_b32 exec_lo, exec_lo, s10
                                        ; implicit-def: $vgpr5
	s_and_saveexec_b32 s2, s3
	s_cbranch_execz .LBB58_32
.LBB58_24:
	global_load_i16 v5, v[1:2], off offset:1024
	s_or_b32 exec_lo, exec_lo, s2
                                        ; implicit-def: $vgpr6
	s_and_saveexec_b32 s2, s4
	s_cbranch_execnz .LBB58_33
.LBB58_25:
	s_or_b32 exec_lo, exec_lo, s2
                                        ; implicit-def: $vgpr7
	s_and_saveexec_b32 s2, s5
	s_cbranch_execz .LBB58_34
.LBB58_26:
	global_load_i16 v7, v[1:2], off offset:2048
	s_or_b32 exec_lo, exec_lo, s2
                                        ; implicit-def: $vgpr8
	s_and_saveexec_b32 s2, s6
	s_cbranch_execnz .LBB58_35
.LBB58_27:
	s_or_b32 exec_lo, exec_lo, s2
                                        ; implicit-def: $vgpr12
	s_and_saveexec_b32 s2, s7
	s_cbranch_execz .LBB58_36
.LBB58_28:
	global_load_i16 v12, v[1:2], off offset:3072
	s_or_b32 exec_lo, exec_lo, s2
                                        ; implicit-def: $vgpr14
	s_and_saveexec_b32 s2, s8
	s_cbranch_execz .LBB58_38
	s_branch .LBB58_37
.LBB58_29:
                                        ; implicit-def: $sgpr8
                                        ; implicit-def: $vgpr1_vgpr2_vgpr3_vgpr4_vgpr5_vgpr6_vgpr7_vgpr8
                                        ; implicit-def: $vgpr12
                                        ; implicit-def: $vgpr14_vgpr15
                                        ; implicit-def: $vgpr16_vgpr17
                                        ; implicit-def: $vgpr18_vgpr19
                                        ; implicit-def: $vgpr20_vgpr21
                                        ; implicit-def: $sgpr6_sgpr7
	v_lshlrev_b32_e32 v29, 5, v0
	v_cmp_ne_u32_e64 s2, 0, v0
	s_cbranch_execz .LBB58_60
	s_branch .LBB58_57
.LBB58_30:
	s_or_b32 exec_lo, exec_lo, s10
                                        ; implicit-def: $vgpr4
	s_and_saveexec_b32 s10, s2
	s_cbranch_execz .LBB58_23
.LBB58_31:
	global_load_i16 v4, v[1:2], off offset:512
	s_or_b32 exec_lo, exec_lo, s10
                                        ; implicit-def: $vgpr5
	s_and_saveexec_b32 s2, s3
	s_cbranch_execnz .LBB58_24
.LBB58_32:
	s_or_b32 exec_lo, exec_lo, s2
                                        ; implicit-def: $vgpr6
	s_and_saveexec_b32 s2, s4
	s_cbranch_execz .LBB58_25
.LBB58_33:
	global_load_i16 v6, v[1:2], off offset:1536
	s_or_b32 exec_lo, exec_lo, s2
                                        ; implicit-def: $vgpr7
	s_and_saveexec_b32 s2, s5
	s_cbranch_execnz .LBB58_26
.LBB58_34:
	s_or_b32 exec_lo, exec_lo, s2
                                        ; implicit-def: $vgpr8
	s_and_saveexec_b32 s2, s6
	s_cbranch_execz .LBB58_27
.LBB58_35:
	global_load_i16 v8, v[1:2], off offset:2560
	s_or_b32 exec_lo, exec_lo, s2
                                        ; implicit-def: $vgpr12
	s_and_saveexec_b32 s2, s7
	s_cbranch_execnz .LBB58_28
.LBB58_36:
	s_or_b32 exec_lo, exec_lo, s2
                                        ; implicit-def: $vgpr14
	s_and_saveexec_b32 s2, s8
	s_cbranch_execz .LBB58_38
.LBB58_37:
	global_load_i16 v14, v[1:2], off offset:3584
.LBB58_38:
	s_or_b32 exec_lo, exec_lo, s2
	v_mul_u32_u24_e32 v30, 9, v0
                                        ; implicit-def: $vgpr15
	s_and_saveexec_b32 s2, s9
	s_cbranch_execz .LBB58_40
; %bb.39:
	v_add_co_u32 v1, vcc_lo, 0x1000, v1
	v_add_co_ci_u32_e32 v2, vcc_lo, 0, v2, vcc_lo
	global_load_i16 v15, v[1:2], off
.LBB58_40:
	s_or_b32 exec_lo, exec_lo, s2
	s_mov_b32 s4, 0
	s_waitcnt vmcnt(0)
	ds_store_2addr_stride64_b32 v28, v3, v4 offset1:4
	ds_store_2addr_stride64_b32 v28, v5, v6 offset0:8 offset1:12
	ds_store_2addr_stride64_b32 v28, v7, v8 offset0:16 offset1:20
	;; [unrolled: 1-line block ×3, first 2 shown]
	ds_store_b32 v28, v15 offset:8192
	s_mov_b32 s5, s4
	s_mov_b32 s6, s4
	;; [unrolled: 1-line block ×7, first 2 shown]
	v_dual_mov_b32 v14, 0 :: v_dual_mov_b32 v1, s4
	v_dual_mov_b32 v15, 0 :: v_dual_mov_b32 v2, s5
	;; [unrolled: 1-line block ×5, first 2 shown]
	s_delay_alu instid0(VALU_DEP_4)
	v_dual_mov_b32 v17, v15 :: v_dual_mov_b32 v16, v14
	v_dual_mov_b32 v19, v15 :: v_dual_mov_b32 v18, v14
	;; [unrolled: 1-line block ×3, first 2 shown]
	s_mov_b64 s[6:7], 0
	s_mov_b32 s3, 0
	s_mov_b32 s5, exec_lo
	s_waitcnt lgkmcnt(0)
	s_barrier
	buffer_gl0_inv
                                        ; implicit-def: $sgpr8
                                        ; implicit-def: $vgpr12
	v_cmpx_gt_u32_e64 s14, v30
	s_cbranch_execz .LBB58_56
; %bb.41:
	ds_load_b32 v14, v11
	s_mov_b32 s24, 0
	v_dual_mov_b32 v16, 0 :: v_dual_add_nc_u32 v1, 1, v30
	v_cmp_ne_u32_e32 vcc_lo, v13, v26
	s_mov_b32 s25, s24
	s_mov_b32 s26, s24
	;; [unrolled: 1-line block ×7, first 2 shown]
	v_mov_b32_e32 v17, 0
	v_cndmask_b32_e64 v15, 0, 1, vcc_lo
	v_cmp_gt_u32_e32 vcc_lo, s14, v1
	v_dual_mov_b32 v1, s24 :: v_dual_mov_b32 v4, s27
	s_delay_alu instid0(VALU_DEP_4)
	v_dual_mov_b32 v2, s25 :: v_dual_mov_b32 v19, v17
	v_dual_mov_b32 v21, v17 :: v_dual_mov_b32 v20, v16
	;; [unrolled: 1-line block ×5, first 2 shown]
                                        ; implicit-def: $sgpr2
                                        ; implicit-def: $vgpr12
	s_and_saveexec_b32 s8, vcc_lo
	s_cbranch_execz .LBB58_55
; %bb.42:
	ds_load_2addr_b32 v[12:13], v11 offset0:1 offset1:2
	s_mov_b32 s25, s24
	s_mov_b32 s26, s24
	;; [unrolled: 1-line block ×7, first 2 shown]
	v_dual_mov_b32 v18, 0 :: v_dual_mov_b32 v1, s24
	v_dual_mov_b32 v19, 0 :: v_dual_add_nc_u32 v16, 2, v30
	v_cmp_ne_u32_e32 vcc_lo, v26, v27
	v_mov_b32_e32 v8, s31
	v_dual_mov_b32 v2, s25 :: v_dual_mov_b32 v3, s26
	s_delay_alu instid0(VALU_DEP_4)
	v_mov_b32_e32 v21, v19
	v_cndmask_b32_e64 v17, 0, 1, vcc_lo
	v_dual_mov_b32 v4, s27 :: v_dual_mov_b32 v5, s28
	v_dual_mov_b32 v6, s29 :: v_dual_mov_b32 v7, s30
	v_cmp_gt_u32_e32 vcc_lo, s14, v16
	s_waitcnt lgkmcnt(0)
	v_mov_b32_e32 v16, v12
	v_mov_b32_e32 v20, v18
                                        ; implicit-def: $sgpr2
                                        ; implicit-def: $vgpr12
	s_and_saveexec_b32 s9, vcc_lo
	s_cbranch_execz .LBB58_54
; %bb.43:
	v_dual_mov_b32 v18, v13 :: v_dual_add_nc_u32 v1, 3, v30
	v_cmp_ne_u32_e32 vcc_lo, v27, v24
	s_mov_b32 s25, s24
	s_mov_b32 s26, s24
	;; [unrolled: 1-line block ×7, first 2 shown]
	v_cndmask_b32_e64 v19, 0, 1, vcc_lo
	v_cmp_gt_u32_e32 vcc_lo, s14, v1
	v_dual_mov_b32 v20, 0 :: v_dual_mov_b32 v1, s24
	v_dual_mov_b32 v21, 0 :: v_dual_mov_b32 v2, s25
	;; [unrolled: 1-line block ×5, first 2 shown]
                                        ; implicit-def: $sgpr2
                                        ; implicit-def: $vgpr12
	s_and_saveexec_b32 s10, vcc_lo
	s_cbranch_execz .LBB58_53
; %bb.44:
	ds_load_2addr_b32 v[12:13], v11 offset0:3 offset1:4
	v_add_nc_u32_e32 v1, 4, v30
	v_cmp_ne_u32_e32 vcc_lo, v24, v25
	s_mov_b32 s25, s24
	s_mov_b32 s26, s24
	;; [unrolled: 1-line block ×7, first 2 shown]
	v_cndmask_b32_e64 v21, 0, 1, vcc_lo
                                        ; implicit-def: $sgpr3
	s_waitcnt lgkmcnt(0)
	v_mov_b32_e32 v20, v12
	v_cmp_gt_u32_e32 vcc_lo, s14, v1
	v_dual_mov_b32 v1, s24 :: v_dual_mov_b32 v2, s25
	v_dual_mov_b32 v3, s26 :: v_dual_mov_b32 v4, s27
	;; [unrolled: 1-line block ×4, first 2 shown]
                                        ; implicit-def: $vgpr12
	s_and_saveexec_b32 s11, vcc_lo
	s_cbranch_execz .LBB58_52
; %bb.45:
	v_mov_b32_e32 v5, 0
	v_add_nc_u32_e32 v3, 5, v30
	v_cmp_ne_u32_e32 vcc_lo, v25, v22
	v_mov_b32_e32 v1, v13
	s_mov_b32 s2, 0
	v_mov_b32_e32 v4, v5
	v_mov_b32_e32 v6, v5
	v_cndmask_b32_e64 v2, 0, 1, vcc_lo
	v_cmp_gt_u32_e32 vcc_lo, s14, v3
	v_mov_b32_e32 v3, v5
	v_mov_b32_e32 v7, v5
	;; [unrolled: 1-line block ×3, first 2 shown]
                                        ; implicit-def: $sgpr3
                                        ; implicit-def: $vgpr12
	s_and_saveexec_b32 s23, vcc_lo
	s_cbranch_execz .LBB58_51
; %bb.46:
	ds_load_2addr_b32 v[24:25], v11 offset0:5 offset1:6
	v_dual_mov_b32 v6, v5 :: v_dual_add_nc_u32 v3, 6, v30
	v_cmp_ne_u32_e32 vcc_lo, v22, v23
	v_mov_b32_e32 v1, v13
	v_mov_b32_e32 v7, v5
                                        ; implicit-def: $sgpr3
                                        ; implicit-def: $vgpr12
	v_mov_b32_e32 v8, v5
	v_cndmask_b32_e64 v4, 0, 1, vcc_lo
	v_cmp_gt_u32_e32 vcc_lo, s14, v3
	s_waitcnt lgkmcnt(0)
	v_mov_b32_e32 v3, v24
	s_and_saveexec_b32 s24, vcc_lo
	s_cbranch_execz .LBB58_50
; %bb.47:
	v_dual_mov_b32 v8, s2 :: v_dual_add_nc_u32 v7, 7, v30
	v_cmp_ne_u32_e32 vcc_lo, v23, v9
	v_mov_b32_e32 v5, v25
                                        ; implicit-def: $sgpr3
                                        ; implicit-def: $vgpr12
	v_cndmask_b32_e64 v6, 0, 1, vcc_lo
	s_delay_alu instid0(VALU_DEP_4) | instskip(SKIP_2) | instid1(SALU_CYCLE_1)
	v_cmp_gt_u32_e32 vcc_lo, s14, v7
	v_mov_b32_e32 v7, s2
	s_and_saveexec_b32 s25, vcc_lo
	s_xor_b32 s25, exec_lo, s25
	s_cbranch_execz .LBB58_49
; %bb.48:
	ds_load_2addr_b32 v[11:12], v11 offset0:7 offset1:8
	v_add_nc_u32_e32 v7, 8, v30
	v_cmp_ne_u32_e64 s3, v9, v10
	v_cmp_ne_u32_e32 vcc_lo, v10, v29
	s_delay_alu instid0(VALU_DEP_3) | instskip(NEXT) | instid1(VALU_DEP_3)
	v_cmp_gt_u32_e64 s2, s14, v7
	v_cndmask_b32_e64 v8, 0, 1, s3
	s_and_b32 s3, vcc_lo, exec_lo
	s_delay_alu instid0(VALU_DEP_2)
	s_and_b32 s2, s2, exec_lo
	s_waitcnt lgkmcnt(0)
	v_mov_b32_e32 v7, v11
.LBB58_49:
	s_or_b32 exec_lo, exec_lo, s25
	s_delay_alu instid0(SALU_CYCLE_1)
	s_and_b32 s3, s3, exec_lo
	s_and_b32 s2, s2, exec_lo
.LBB58_50:
	s_or_b32 exec_lo, exec_lo, s24
	s_delay_alu instid0(SALU_CYCLE_1)
	s_and_b32 s3, s3, exec_lo
	s_and_b32 s2, s2, exec_lo
.LBB58_51:
	s_or_b32 exec_lo, exec_lo, s23
	s_delay_alu instid0(SALU_CYCLE_1)
	s_and_b32 s3, s3, exec_lo
	s_and_b32 s24, s2, exec_lo
.LBB58_52:
	s_or_b32 exec_lo, exec_lo, s11
	s_delay_alu instid0(SALU_CYCLE_1)
	s_and_b32 s2, s3, exec_lo
	s_and_b32 s24, s24, exec_lo
.LBB58_53:
	s_or_b32 exec_lo, exec_lo, s10
	s_delay_alu instid0(SALU_CYCLE_1)
	s_and_b32 s2, s2, exec_lo
	s_and_b32 s24, s24, exec_lo
.LBB58_54:
	s_or_b32 exec_lo, exec_lo, s9
	s_delay_alu instid0(SALU_CYCLE_1)
	s_and_b32 s2, s2, exec_lo
	s_and_b32 s24, s24, exec_lo
.LBB58_55:
	s_or_b32 exec_lo, exec_lo, s8
	s_delay_alu instid0(SALU_CYCLE_1)
	s_and_b32 s8, s2, exec_lo
	s_and_b32 s3, s24, exec_lo
.LBB58_56:
	s_or_b32 exec_lo, exec_lo, s5
	v_lshlrev_b32_e32 v29, 5, v0
	v_cmp_ne_u32_e64 s2, 0, v0
	s_and_b32 vcc_lo, exec_lo, s4
	s_cbranch_vccz .LBB58_60
.LBB58_57:
	v_add_co_u32 v3, s3, s38, v28
	s_delay_alu instid0(VALU_DEP_1)
	v_add_co_ci_u32_e64 v4, null, s39, 0, s3
	s_clause 0x1
	global_load_b32 v5, v28, s[38:39] offset:1024
	global_load_b32 v6, v28, s[38:39] offset:2048
	v_add_co_u32 v1, vcc_lo, 0x1000, v3
	v_add_co_ci_u32_e32 v2, vcc_lo, 0, v4, vcc_lo
	v_add_co_u32 v3, vcc_lo, v3, 0x2000
	v_add_co_ci_u32_e32 v4, vcc_lo, 0, v4, vcc_lo
	s_clause 0x6
	global_load_b32 v7, v28, s[38:39] offset:3072
	global_load_b32 v8, v[1:2], off offset:1024
	global_load_b32 v10, v[1:2], off offset:2048
	global_load_b32 v11, v28, s[38:39]
	global_load_b32 v12, v[3:4], off
	global_load_b32 v3, v[3:4], off offset:-4096
	global_load_b32 v1, v[1:2], off offset:3072
	s_sub_u32 s4, 0, s15
	s_subb_u32 s5, 0, 0
	v_add_nc_u32_e32 v9, v28, v29
	s_cmp_eq_u64 s[4:5], s[20:21]
	s_waitcnt vmcnt(3)
	ds_store_2addr_stride64_b32 v28, v11, v5 offset1:4
	ds_store_2addr_stride64_b32 v28, v6, v7 offset0:8 offset1:12
	s_waitcnt vmcnt(1)
	ds_store_2addr_stride64_b32 v28, v3, v8 offset0:16 offset1:20
	s_waitcnt vmcnt(0)
	ds_store_2addr_stride64_b32 v28, v10, v1 offset0:24 offset1:28
	ds_store_b32 v28, v12 offset:8192
	s_cselect_b32 s3, 0, -4
	s_cselect_b32 s5, 0, -1
	s_add_u32 s4, s38, s3
	s_addc_u32 s5, s39, s5
	s_waitcnt lgkmcnt(0)
	s_barrier
	buffer_gl0_inv
	s_load_b32 s4, s[4:5], 0x0
	ds_load_2addr_b32 v[5:6], v9 offset0:7 offset1:8
	ds_load_2addr_b32 v[7:8], v9 offset1:1
	ds_load_b32 v10, v9 offset:8
	ds_load_2addr_b32 v[3:4], v9 offset0:5 offset1:6
	ds_load_2addr_b32 v[1:2], v9 offset0:3 offset1:4
	s_mov_b32 s3, -1
	s_waitcnt lgkmcnt(0)
	ds_store_b32 v28, v6 offset:9216
	s_waitcnt lgkmcnt(0)
	s_barrier
	v_mov_b32_e32 v11, s4
	buffer_gl0_inv
	s_and_saveexec_b32 s4, s2
	s_cbranch_execz .LBB58_59
; %bb.58:
	v_sub_nc_u32_e32 v11, 0, v29
	s_delay_alu instid0(VALU_DEP_1)
	v_add_nc_u32_e32 v11, v9, v11
	ds_load_b32 v11, v11 offset:9212
.LBB58_59:
	s_or_b32 exec_lo, exec_lo, s4
	v_lshlrev_b32_e32 v14, 1, v0
	s_waitcnt lgkmcnt(0)
	s_barrier
	buffer_gl0_inv
	v_cmp_ne_u32_e64 s8, v5, v6
	v_add_co_u32 v12, s2, s36, v14
	s_delay_alu instid0(VALU_DEP_1) | instskip(NEXT) | instid1(VALU_DEP_2)
	v_add_co_ci_u32_e64 v13, null, s37, 0, s2
                                        ; implicit-def: $sgpr6_sgpr7
	v_add_co_u32 v12, vcc_lo, 0x1000, v12
	s_delay_alu instid0(VALU_DEP_2)
	v_add_co_ci_u32_e32 v13, vcc_lo, 0, v13, vcc_lo
	s_clause 0x8
	global_load_i16 v15, v14, s[36:37]
	global_load_i16 v16, v14, s[36:37] offset:512
	global_load_i16 v17, v14, s[36:37] offset:1024
	;; [unrolled: 1-line block ×7, first 2 shown]
	global_load_i16 v12, v[12:13], off
	v_cmp_ne_u32_e32 vcc_lo, v11, v7
	s_waitcnt vmcnt(7)
	ds_store_2addr_stride64_b32 v28, v15, v16 offset1:4
	s_waitcnt vmcnt(5)
	ds_store_2addr_stride64_b32 v28, v17, v18 offset0:8 offset1:12
	s_waitcnt vmcnt(3)
	ds_store_2addr_stride64_b32 v28, v19, v20 offset0:16 offset1:20
	;; [unrolled: 2-line block ×3, first 2 shown]
	s_waitcnt vmcnt(0)
	ds_store_b32 v28, v12 offset:8192
	v_cndmask_b32_e64 v15, 0, 1, vcc_lo
	v_cmp_ne_u32_e32 vcc_lo, v7, v8
	s_waitcnt lgkmcnt(0)
	s_barrier
	buffer_gl0_inv
	ds_load_2addr_b32 v[22:23], v9 offset1:1
	v_cndmask_b32_e64 v17, 0, 1, vcc_lo
	v_cmp_ne_u32_e32 vcc_lo, v8, v10
	ds_load_2addr_b32 v[24:25], v9 offset0:2 offset1:3
	ds_load_2addr_b32 v[26:27], v9 offset0:6 offset1:7
	;; [unrolled: 1-line block ×3, first 2 shown]
	ds_load_b32 v12, v9 offset:32
	v_cndmask_b32_e64 v19, 0, 1, vcc_lo
	v_cmp_ne_u32_e32 vcc_lo, v10, v1
	v_cndmask_b32_e64 v21, 0, 1, vcc_lo
	v_cmp_ne_u32_e32 vcc_lo, v4, v5
	v_cndmask_b32_e64 v8, 0, 1, vcc_lo
	v_cmp_ne_u32_e32 vcc_lo, v3, v4
	s_waitcnt lgkmcnt(4)
	v_mov_b32_e32 v14, v22
	s_waitcnt lgkmcnt(2)
	v_dual_mov_b32 v16, v23 :: v_dual_mov_b32 v5, v26
	v_dual_mov_b32 v18, v24 :: v_dual_mov_b32 v7, v27
	v_cndmask_b32_e64 v6, 0, 1, vcc_lo
	v_cmp_ne_u32_e32 vcc_lo, v2, v3
	s_waitcnt lgkmcnt(1)
	v_dual_mov_b32 v20, v25 :: v_dual_mov_b32 v3, v31
	v_cndmask_b32_e64 v4, 0, 1, vcc_lo
	v_cmp_ne_u32_e32 vcc_lo, v1, v2
	v_mov_b32_e32 v1, v30
	v_cndmask_b32_e64 v2, 0, 1, vcc_lo
.LBB58_60:
	v_dual_mov_b32 v23, s7 :: v_dual_mov_b32 v22, s6
	s_and_saveexec_b32 s2, s3
	s_cbranch_execz .LBB58_62
; %bb.61:
	v_cndmask_b32_e64 v23, 0, 1, s8
	s_waitcnt lgkmcnt(0)
	v_mov_b32_e32 v22, v12
.LBB58_62:
	s_or_b32 exec_lo, exec_lo, s2
	v_mbcnt_lo_u32_b32 v30, -1, 0
	s_cmp_lg_u32 s15, 0
	s_mov_b32 s10, 0
	s_waitcnt lgkmcnt(0)
	s_barrier
	buffer_gl0_inv
	s_cbranch_scc0 .LBB58_98
; %bb.63:
	v_or_b32_e32 v10, v23, v8
	s_mov_b32 s11, 1
	s_delay_alu instid0(SALU_CYCLE_1) | instskip(SKIP_1) | instid1(VALU_DEP_3)
	v_cmp_gt_u64_e64 s2, s[10:11], v[16:17]
	v_cmp_gt_u64_e64 s3, s[10:11], v[18:19]
	v_or3_b32 v10, v10, v6, v4
	v_cmp_gt_u64_e64 s4, s[10:11], v[20:21]
	v_cmp_gt_u64_e64 s5, s[10:11], v[1:2]
	;; [unrolled: 1-line block ×3, first 2 shown]
	v_cndmask_b32_e64 v9, 0, v14, s2
	v_or3_b32 v10, v10, v2, v21
	v_cmp_gt_u64_e64 s7, s[10:11], v[5:6]
	v_cmp_gt_u64_e64 s8, s[10:11], v[7:8]
	;; [unrolled: 1-line block ×3, first 2 shown]
	s_mov_b32 s11, exec_lo
	v_or3_b32 v10, v10, v19, v17
	s_delay_alu instid0(VALU_DEP_1) | instskip(NEXT) | instid1(VALU_DEP_1)
	v_and_b32_e32 v10, 1, v10
	v_cmp_eq_u32_e32 vcc_lo, 1, v10
	v_cndmask_b32_e64 v10, v15, 1, vcc_lo
	s_delay_alu instid0(VALU_DEP_1) | instskip(SKIP_1) | instid1(VALU_DEP_2)
	v_and_b32_e32 v11, 0xff, v10
	v_and_b32_e32 v13, 1, v10
	v_mov_b32_dpp v12, v11 row_shr:1 row_mask:0xf bank_mask:0xf
	s_delay_alu instid0(VALU_DEP_2) | instskip(NEXT) | instid1(VALU_DEP_2)
	v_cmp_eq_u32_e32 vcc_lo, 1, v13
	v_and_b32_e32 v24, 1, v12
	v_and_b32_e32 v12, 15, v30
	s_delay_alu instid0(VALU_DEP_2) | instskip(SKIP_2) | instid1(VALU_DEP_2)
	v_cndmask_b32_e64 v24, v24, 1, vcc_lo
	v_add_nc_u32_e32 v9, v9, v16
	v_cmp_eq_u16_e32 vcc_lo, 0, v11
	v_cndmask_b32_e64 v9, 0, v9, s3
	s_delay_alu instid0(VALU_DEP_1) | instskip(NEXT) | instid1(VALU_DEP_1)
	v_add_nc_u32_e32 v9, v9, v18
	v_cndmask_b32_e64 v9, 0, v9, s4
	s_delay_alu instid0(VALU_DEP_1) | instskip(NEXT) | instid1(VALU_DEP_1)
	v_add_nc_u32_e32 v9, v9, v20
	;; [unrolled: 3-line block ×7, first 2 shown]
	v_mov_b32_dpp v25, v9 row_shr:1 row_mask:0xf bank_mask:0xf
	s_delay_alu instid0(VALU_DEP_1) | instskip(SKIP_2) | instid1(VALU_DEP_3)
	v_cndmask_b32_e32 v13, 0, v25, vcc_lo
	v_cmp_eq_u32_e32 vcc_lo, 0, v12
	v_dual_cndmask_b32 v10, v24, v10 :: v_dual_and_b32 v25, 0xffff, v24
	v_cndmask_b32_e64 v13, v13, 0, vcc_lo
	s_delay_alu instid0(VALU_DEP_2) | instskip(NEXT) | instid1(VALU_DEP_2)
	v_cndmask_b32_e32 v11, v25, v11, vcc_lo
	v_add_nc_u32_e32 v9, v13, v9
	s_delay_alu instid0(VALU_DEP_2) | instskip(SKIP_1) | instid1(VALU_DEP_3)
	v_mov_b32_dpp v26, v11 row_shr:2 row_mask:0xf bank_mask:0xf
	v_mov_b32_e32 v13, v11
	v_mov_b32_dpp v25, v9 row_shr:2 row_mask:0xf bank_mask:0xf
	v_cmpx_lt_u32_e32 1, v12
; %bb.64:
	v_cmp_eq_u16_e32 vcc_lo, 0, v24
	v_and_b32_e32 v10, 1, v24
	v_and_b32_e32 v11, 1, v26
	v_cndmask_b32_e32 v13, 0, v25, vcc_lo
	s_delay_alu instid0(VALU_DEP_3) | instskip(NEXT) | instid1(VALU_DEP_2)
	v_cmp_eq_u32_e32 vcc_lo, 1, v10
	v_add_nc_u32_e32 v9, v13, v9
	s_delay_alu instid0(VALU_DEP_4) | instskip(NEXT) | instid1(VALU_DEP_1)
	v_cndmask_b32_e64 v10, v11, 1, vcc_lo
	v_and_b32_e32 v13, 0xffff, v10
	v_mov_b32_e32 v11, v10
; %bb.65:
	s_or_b32 exec_lo, exec_lo, s11
	v_mov_b32_dpp v24, v9 row_shr:4 row_mask:0xf bank_mask:0xf
	s_delay_alu instid0(VALU_DEP_3)
	v_mov_b32_dpp v25, v13 row_shr:4 row_mask:0xf bank_mask:0xf
	s_mov_b32 s10, exec_lo
	v_cmpx_lt_u32_e32 3, v12
; %bb.66:
	v_cmp_eq_u16_e32 vcc_lo, 0, v11
	v_and_b32_e32 v10, 1, v11
	v_and_b32_e32 v13, 1, v25
	v_cndmask_b32_e32 v11, 0, v24, vcc_lo
	s_delay_alu instid0(VALU_DEP_3) | instskip(NEXT) | instid1(VALU_DEP_2)
	v_cmp_eq_u32_e32 vcc_lo, 1, v10
	v_add_nc_u32_e32 v9, v11, v9
	s_delay_alu instid0(VALU_DEP_4) | instskip(NEXT) | instid1(VALU_DEP_1)
	v_cndmask_b32_e64 v10, v13, 1, vcc_lo
	v_and_b32_e32 v13, 0xffff, v10
	v_mov_b32_e32 v11, v10
; %bb.67:
	s_or_b32 exec_lo, exec_lo, s10
	v_mov_b32_dpp v24, v9 row_shr:8 row_mask:0xf bank_mask:0xf
	s_delay_alu instid0(VALU_DEP_3)
	v_mov_b32_dpp v25, v13 row_shr:8 row_mask:0xf bank_mask:0xf
	s_mov_b32 s10, exec_lo
	v_cmpx_lt_u32_e32 7, v12
; %bb.68:
	v_cmp_eq_u16_e32 vcc_lo, 0, v11
	v_and_b32_e32 v10, 1, v11
	v_dual_cndmask_b32 v11, 0, v24 :: v_dual_and_b32 v12, 1, v25
	s_delay_alu instid0(VALU_DEP_2) | instskip(NEXT) | instid1(VALU_DEP_2)
	v_cmp_eq_u32_e32 vcc_lo, 1, v10
	v_add_nc_u32_e32 v9, v11, v9
	s_delay_alu instid0(VALU_DEP_3) | instskip(NEXT) | instid1(VALU_DEP_1)
	v_cndmask_b32_e64 v10, v12, 1, vcc_lo
	v_mov_b32_e32 v11, v10
	v_and_b32_e32 v13, 0xffff, v10
; %bb.69:
	s_or_b32 exec_lo, exec_lo, s10
	ds_swizzle_b32 v12, v9 offset:swizzle(BROADCAST,32,15)
	ds_swizzle_b32 v13, v13 offset:swizzle(BROADCAST,32,15)
	v_cmp_eq_u16_e32 vcc_lo, 0, v11
	v_bfe_i32 v24, v30, 4, 1
	v_and_b32_e32 v25, 16, v30
	v_or_b32_e32 v26, 31, v0
	s_mov_b32 s10, exec_lo
	s_waitcnt lgkmcnt(1)
	v_dual_cndmask_b32 v12, 0, v12 :: v_dual_and_b32 v11, 1, v11
	s_waitcnt lgkmcnt(0)
	v_and_b32_e32 v13, 1, v13
	s_delay_alu instid0(VALU_DEP_2) | instskip(NEXT) | instid1(VALU_DEP_3)
	v_cmp_eq_u32_e32 vcc_lo, 1, v11
	v_and_b32_e32 v12, v24, v12
	s_delay_alu instid0(VALU_DEP_3) | instskip(SKIP_2) | instid1(VALU_DEP_4)
	v_cndmask_b32_e64 v24, v13, 1, vcc_lo
	v_cmp_eq_u32_e32 vcc_lo, 0, v25
	v_lshrrev_b32_e32 v13, 5, v0
	v_add_nc_u32_e32 v11, v12, v9
	s_delay_alu instid0(VALU_DEP_4)
	v_cndmask_b32_e32 v12, v24, v10, vcc_lo
	v_cmpx_eq_u32_e64 v26, v0
	s_cbranch_execz .LBB58_71
; %bb.70:
	v_lshlrev_b32_e32 v9, 3, v13
	ds_store_b32 v9, v11
	ds_store_b8 v9, v12 offset:4
.LBB58_71:
	s_or_b32 exec_lo, exec_lo, s10
	s_delay_alu instid0(SALU_CYCLE_1)
	s_mov_b32 s11, exec_lo
	s_waitcnt lgkmcnt(0)
	s_barrier
	buffer_gl0_inv
	v_cmpx_gt_u32_e32 8, v0
	s_cbranch_execz .LBB58_77
; %bb.72:
	v_lshlrev_b32_e32 v24, 3, v0
	v_and_b32_e32 v25, 7, v30
	s_mov_b32 s10, exec_lo
	ds_load_b64 v[9:10], v24
	s_waitcnt lgkmcnt(0)
	v_dual_mov_b32 v27, v10 :: v_dual_and_b32 v26, 0xffffff00, v10
	v_mov_b32_dpp v31, v9 row_shr:1 row_mask:0xf bank_mask:0xf
	v_mov_b32_dpp v32, v10 row_shr:1 row_mask:0xf bank_mask:0xf
	v_cmpx_ne_u32_e32 0, v25
; %bb.73:
	v_and_b32_e32 v27, 1, v10
	s_delay_alu instid0(VALU_DEP_3) | instskip(SKIP_1) | instid1(VALU_DEP_3)
	v_and_b32_e32 v32, 1, v32
	v_and_b32_e32 v33, 0xff, v10
	v_cmp_eq_u32_e32 vcc_lo, 1, v27
	s_delay_alu instid0(VALU_DEP_3) | instskip(NEXT) | instid1(VALU_DEP_3)
	v_cndmask_b32_e64 v10, v32, 1, vcc_lo
	v_cmp_eq_u16_e32 vcc_lo, 0, v33
	v_cndmask_b32_e32 v27, 0, v31, vcc_lo
	s_delay_alu instid0(VALU_DEP_3) | instskip(NEXT) | instid1(VALU_DEP_2)
	v_and_b32_e32 v31, 0xffff, v10
	v_add_nc_u32_e32 v9, v27, v9
	s_delay_alu instid0(VALU_DEP_2)
	v_or_b32_e32 v27, v26, v31
; %bb.74:
	s_or_b32 exec_lo, exec_lo, s10
	s_delay_alu instid0(VALU_DEP_2) | instskip(NEXT) | instid1(VALU_DEP_2)
	v_mov_b32_dpp v31, v9 row_shr:2 row_mask:0xf bank_mask:0xf
	v_mov_b32_dpp v33, v27 row_shr:2 row_mask:0xf bank_mask:0xf
	v_mov_b32_e32 v32, v27
	s_mov_b32 s10, exec_lo
	v_cmpx_lt_u32_e32 1, v25
; %bb.75:
	v_and_b32_e32 v10, 1, v27
	v_and_b32_e32 v32, 1, v33
	s_delay_alu instid0(VALU_DEP_2) | instskip(NEXT) | instid1(VALU_DEP_2)
	v_cmp_eq_u32_e32 vcc_lo, 1, v10
	v_cndmask_b32_e64 v10, v32, 1, vcc_lo
	s_delay_alu instid0(VALU_DEP_1) | instskip(NEXT) | instid1(VALU_DEP_1)
	v_dual_mov_b32 v32, v10 :: v_dual_and_b32 v27, 0xff, v27
	v_cmp_eq_u16_e32 vcc_lo, 0, v27
	v_cndmask_b32_e32 v27, 0, v31, vcc_lo
	v_and_b32_e32 v31, 0xffff, v10
	s_delay_alu instid0(VALU_DEP_2) | instskip(NEXT) | instid1(VALU_DEP_2)
	v_add_nc_u32_e32 v9, v27, v9
	v_or_b32_e32 v27, v26, v31
; %bb.76:
	s_or_b32 exec_lo, exec_lo, s10
	s_delay_alu instid0(VALU_DEP_1) | instskip(SKIP_2) | instid1(VALU_DEP_3)
	v_mov_b32_dpp v26, v27 row_shr:4 row_mask:0xf bank_mask:0xf
	v_and_b32_e32 v31, 1, v32
	v_and_b32_e32 v27, 0xff, v32
	v_and_b32_e32 v26, 1, v26
	s_delay_alu instid0(VALU_DEP_3) | instskip(NEXT) | instid1(VALU_DEP_3)
	v_cmp_eq_u32_e64 s10, 1, v31
	v_cmp_eq_u16_e32 vcc_lo, 0, v27
	s_delay_alu instid0(VALU_DEP_2) | instskip(SKIP_2) | instid1(VALU_DEP_2)
	v_cndmask_b32_e64 v26, v26, 1, s10
	v_cmp_lt_u32_e64 s10, 3, v25
	v_mov_b32_dpp v25, v9 row_shr:4 row_mask:0xf bank_mask:0xf
	s_and_b32 vcc_lo, s10, vcc_lo
	s_delay_alu instid0(VALU_DEP_3) | instskip(NEXT) | instid1(VALU_DEP_2)
	v_cndmask_b32_e64 v10, v10, v26, s10
	v_cndmask_b32_e32 v25, 0, v25, vcc_lo
	s_delay_alu instid0(VALU_DEP_1)
	v_add_nc_u32_e32 v9, v25, v9
	ds_store_b32 v24, v9
	ds_store_b8 v24, v10 offset:4
.LBB58_77:
	s_or_b32 exec_lo, exec_lo, s11
	v_cmp_gt_u32_e32 vcc_lo, 32, v0
	v_dual_mov_b32 v31, 0 :: v_dual_mov_b32 v32, 0
	s_mov_b32 s11, exec_lo
	s_waitcnt lgkmcnt(0)
	s_barrier
	buffer_gl0_inv
	v_cmpx_lt_u32_e32 31, v0
	s_cbranch_execz .LBB58_79
; %bb.78:
	v_lshl_add_u32 v9, v13, 3, -8
	v_and_b32_e32 v10, 1, v12
	ds_load_b32 v31, v9
	ds_load_u8 v32, v9 offset:4
	v_and_b32_e32 v9, 0xff, v12
	s_delay_alu instid0(VALU_DEP_1) | instskip(SKIP_1) | instid1(VALU_DEP_1)
	v_cmp_eq_u16_e64 s10, 0, v9
	s_waitcnt lgkmcnt(1)
	v_cndmask_b32_e64 v9, 0, v31, s10
	v_cmp_eq_u32_e64 s10, 1, v10
	s_delay_alu instid0(VALU_DEP_2) | instskip(SKIP_1) | instid1(VALU_DEP_2)
	v_add_nc_u32_e32 v11, v9, v11
	s_waitcnt lgkmcnt(0)
	v_cndmask_b32_e64 v12, v32, 1, s10
.LBB58_79:
	s_or_b32 exec_lo, exec_lo, s11
	v_add_nc_u32_e32 v9, -1, v30
	s_delay_alu instid0(VALU_DEP_2) | instskip(NEXT) | instid1(VALU_DEP_2)
	v_and_b32_e32 v10, 0xff, v12
	v_cmp_gt_i32_e64 s10, 0, v9
	s_delay_alu instid0(VALU_DEP_1) | instskip(SKIP_1) | instid1(VALU_DEP_2)
	v_cndmask_b32_e64 v9, v9, v30, s10
	v_cmp_eq_u32_e64 s10, 0, v30
	v_lshlrev_b32_e32 v9, 2, v9
	ds_bpermute_b32 v33, v9, v11
	ds_bpermute_b32 v34, v9, v10
	s_and_saveexec_b32 s14, vcc_lo
	s_cbranch_execz .LBB58_97
; %bb.80:
	v_mov_b32_e32 v12, 0
	ds_load_b64 v[9:10], v12 offset:56
	s_waitcnt lgkmcnt(0)
	v_readfirstlane_b32 s23, v10
	s_and_saveexec_b32 s11, s10
	s_cbranch_execz .LBB58_82
; %bb.81:
	s_add_i32 s20, s15, 32
	s_mov_b32 s21, 0
	v_mov_b32_e32 v11, 1
	s_lshl_b64 s[24:25], s[20:21], 4
	s_mov_b32 s26, s21
	s_add_u32 s24, s16, s24
	s_addc_u32 s25, s17, s25
	s_and_b32 s27, s23, 0xff000000
	s_and_b32 s29, s23, 0xff0000
	s_mov_b32 s28, s21
	v_dual_mov_b32 v24, s24 :: v_dual_mov_b32 v25, s25
	s_or_b64 s[26:27], s[28:29], s[26:27]
	s_and_b32 s29, s23, 0xff00
	s_delay_alu instid0(SALU_CYCLE_1) | instskip(SKIP_1) | instid1(SALU_CYCLE_1)
	s_or_b64 s[26:27], s[26:27], s[28:29]
	s_and_b32 s29, s23, 0xff
	s_or_b64 s[20:21], s[26:27], s[28:29]
	s_delay_alu instid0(SALU_CYCLE_1)
	v_mov_b32_e32 v10, s21
	;;#ASMSTART
	global_store_dwordx4 v[24:25], v[9:12] off	
s_waitcnt vmcnt(0)
	;;#ASMEND
.LBB58_82:
	s_or_b32 exec_lo, exec_lo, s11
	v_xad_u32 v24, v30, -1, s15
	s_mov_b32 s20, 0
	s_mov_b32 s11, exec_lo
	s_delay_alu instid0(VALU_DEP_1) | instskip(NEXT) | instid1(VALU_DEP_1)
	v_add_nc_u32_e32 v11, 32, v24
	v_lshlrev_b64 v[10:11], 4, v[11:12]
	s_delay_alu instid0(VALU_DEP_1) | instskip(NEXT) | instid1(VALU_DEP_2)
	v_add_co_u32 v25, vcc_lo, s16, v10
	v_add_co_ci_u32_e32 v26, vcc_lo, s17, v11, vcc_lo
	;;#ASMSTART
	global_load_dwordx4 v[10:13], v[25:26] off glc	
s_waitcnt vmcnt(0)
	;;#ASMEND
	v_and_b32_e32 v13, 0xff, v12
	s_delay_alu instid0(VALU_DEP_1)
	v_cmpx_eq_u16_e32 0, v13
	s_cbranch_execz .LBB58_85
.LBB58_83:                              ; =>This Inner Loop Header: Depth=1
	;;#ASMSTART
	global_load_dwordx4 v[10:13], v[25:26] off glc	
s_waitcnt vmcnt(0)
	;;#ASMEND
	v_and_b32_e32 v13, 0xff, v12
	s_delay_alu instid0(VALU_DEP_1) | instskip(SKIP_1) | instid1(SALU_CYCLE_1)
	v_cmp_ne_u16_e32 vcc_lo, 0, v13
	s_or_b32 s20, vcc_lo, s20
	s_and_not1_b32 exec_lo, exec_lo, s20
	s_cbranch_execnz .LBB58_83
; %bb.84:
	s_or_b32 exec_lo, exec_lo, s20
.LBB58_85:
	s_delay_alu instid0(SALU_CYCLE_1)
	s_or_b32 exec_lo, exec_lo, s11
	v_cmp_ne_u32_e32 vcc_lo, 31, v30
	v_and_b32_e32 v26, 0xff, v11
	v_and_b32_e32 v25, 0xff, v12
	v_lshlrev_b32_e64 v36, v30, -1
	v_and_b32_e32 v11, 1, v11
	v_add_co_ci_u32_e32 v13, vcc_lo, 0, v30, vcc_lo
	s_delay_alu instid0(VALU_DEP_4) | instskip(SKIP_2) | instid1(VALU_DEP_3)
	v_cmp_eq_u16_e32 vcc_lo, 2, v25
	v_add_nc_u32_e32 v37, 1, v30
	s_mov_b32 s20, 0
	v_lshlrev_b32_e32 v35, 2, v13
	s_mov_b32 s21, 1
	v_and_or_b32 v25, vcc_lo, v36, 0x80000000
	v_cmp_gt_u32_e32 vcc_lo, 30, v30
	v_add_nc_u32_e32 v47, 16, v30
	ds_bpermute_b32 v13, v35, v26
	ds_bpermute_b32 v39, v35, v10
	v_cndmask_b32_e64 v27, 0, 1, vcc_lo
	v_cmp_eq_u32_e32 vcc_lo, 1, v11
	s_waitcnt lgkmcnt(1)
	v_and_b32_e32 v13, 1, v13
	s_delay_alu instid0(VALU_DEP_1) | instskip(SKIP_2) | instid1(VALU_DEP_3)
	v_cndmask_b32_e64 v11, v13, 1, vcc_lo
	v_ctz_i32_b32_e32 v13, v25
	v_lshlrev_b32_e32 v25, 1, v27
	v_and_b32_e32 v27, 0xffff, v11
	s_delay_alu instid0(VALU_DEP_3) | instskip(NEXT) | instid1(VALU_DEP_3)
	v_cmp_gt_u32_e32 vcc_lo, v37, v13
	v_add_lshl_u32 v38, v25, v30, 2
	v_mov_b32_e32 v25, v10
	v_cndmask_b32_e32 v11, v11, v26, vcc_lo
	v_cndmask_b32_e32 v27, v27, v26, vcc_lo
	s_delay_alu instid0(VALU_DEP_3) | instskip(SKIP_3) | instid1(VALU_DEP_1)
	v_cmp_gt_u64_e64 s11, s[20:21], v[25:26]
	ds_bpermute_b32 v40, v38, v27
	s_waitcnt lgkmcnt(1)
	v_cndmask_b32_e64 v25, 0, v39, s11
	v_cndmask_b32_e64 v25, v25, 0, vcc_lo
	v_cmp_gt_u32_e32 vcc_lo, 28, v30
	s_delay_alu instid0(VALU_DEP_2) | instskip(SKIP_4) | instid1(VALU_DEP_1)
	v_add_nc_u32_e32 v10, v25, v10
	ds_bpermute_b32 v25, v38, v10
	s_waitcnt lgkmcnt(1)
	v_and_b32_e32 v39, 1, v40
	v_cndmask_b32_e64 v40, 0, 1, vcc_lo
	v_lshlrev_b32_e32 v40, 2, v40
	v_and_b32_e32 v26, 1, v11
	v_cmp_eq_u16_e64 s11, 0, v11
	s_delay_alu instid0(VALU_DEP_3) | instskip(NEXT) | instid1(VALU_DEP_3)
	v_add_lshl_u32 v40, v40, v30, 2
	v_cmp_eq_u32_e32 vcc_lo, 1, v26
	v_cndmask_b32_e64 v26, v39, 1, vcc_lo
	v_add_nc_u32_e32 v39, 2, v30
	s_delay_alu instid0(VALU_DEP_2) | instskip(NEXT) | instid1(VALU_DEP_2)
	v_and_b32_e32 v41, 0xffff, v26
	v_cmp_gt_u32_e32 vcc_lo, v39, v13
	v_cndmask_b32_e32 v26, v26, v11, vcc_lo
	s_waitcnt lgkmcnt(0)
	v_cndmask_b32_e64 v11, 0, v25, s11
	s_delay_alu instid0(VALU_DEP_2) | instskip(NEXT) | instid1(VALU_DEP_2)
	v_and_b32_e32 v42, 1, v26
	v_cndmask_b32_e64 v11, v11, 0, vcc_lo
	v_cndmask_b32_e32 v27, v41, v27, vcc_lo
	v_cmp_gt_u32_e32 vcc_lo, 24, v30
	v_add_nc_u32_e32 v41, 4, v30
	v_cmp_eq_u16_e64 s11, 0, v26
	v_add_nc_u32_e32 v10, v11, v10
	ds_bpermute_b32 v25, v40, v27
	v_cndmask_b32_e64 v43, 0, 1, vcc_lo
	v_cmp_eq_u32_e32 vcc_lo, 1, v42
	ds_bpermute_b32 v11, v40, v10
	s_waitcnt lgkmcnt(1)
	v_and_b32_e32 v25, 1, v25
	s_waitcnt lgkmcnt(0)
	v_cndmask_b32_e64 v11, 0, v11, s11
	s_delay_alu instid0(VALU_DEP_2) | instskip(SKIP_2) | instid1(VALU_DEP_3)
	v_cndmask_b32_e64 v25, v25, 1, vcc_lo
	v_cmp_gt_u32_e32 vcc_lo, v41, v13
	v_lshlrev_b32_e32 v42, 3, v43
	v_and_b32_e32 v43, 0xffff, v25
	v_cndmask_b32_e32 v25, v25, v26, vcc_lo
	s_delay_alu instid0(VALU_DEP_3) | instskip(SKIP_1) | instid1(VALU_DEP_4)
	v_add_lshl_u32 v42, v42, v30, 2
	v_cndmask_b32_e64 v11, v11, 0, vcc_lo
	v_cndmask_b32_e32 v26, v43, v27, vcc_lo
	s_delay_alu instid0(VALU_DEP_4) | instskip(SKIP_1) | instid1(VALU_DEP_4)
	v_and_b32_e32 v44, 1, v25
	v_cmp_gt_u32_e32 vcc_lo, 16, v30
	v_add_nc_u32_e32 v10, v11, v10
	v_add_nc_u32_e32 v43, 8, v30
	ds_bpermute_b32 v27, v42, v26
	v_cndmask_b32_e64 v45, 0, 1, vcc_lo
	ds_bpermute_b32 v11, v42, v10
	v_cmp_eq_u32_e32 vcc_lo, 1, v44
	v_lshlrev_b32_e32 v44, 4, v45
	s_delay_alu instid0(VALU_DEP_1) | instskip(SKIP_2) | instid1(VALU_DEP_1)
	v_add_lshl_u32 v46, v44, v30, 2
	s_waitcnt lgkmcnt(1)
	v_and_b32_e32 v27, 1, v27
	v_cndmask_b32_e64 v27, v27, 1, vcc_lo
	v_cmp_eq_u16_e32 vcc_lo, 0, v25
	s_delay_alu instid0(VALU_DEP_2) | instskip(SKIP_3) | instid1(VALU_DEP_2)
	v_and_b32_e32 v45, 0xffff, v27
	s_waitcnt lgkmcnt(0)
	v_cndmask_b32_e32 v11, 0, v11, vcc_lo
	v_cmp_gt_u32_e32 vcc_lo, v43, v13
	v_cndmask_b32_e64 v11, v11, 0, vcc_lo
	v_dual_cndmask_b32 v26, v45, v26 :: v_dual_cndmask_b32 v25, v27, v25
	s_delay_alu instid0(VALU_DEP_2)
	v_add_nc_u32_e32 v10, v11, v10
	ds_bpermute_b32 v11, v46, v26
	v_and_b32_e32 v27, 0xff, v25
	v_and_b32_e32 v44, 1, v25
	ds_bpermute_b32 v26, v46, v10
	v_cmp_eq_u16_e32 vcc_lo, 0, v27
	s_waitcnt lgkmcnt(0)
	v_dual_cndmask_b32 v26, 0, v26 :: v_dual_and_b32 v11, 1, v11
	v_cmp_eq_u32_e32 vcc_lo, 1, v44
	s_delay_alu instid0(VALU_DEP_2) | instskip(SKIP_1) | instid1(VALU_DEP_4)
	v_cndmask_b32_e64 v11, v11, 1, vcc_lo
	v_cmp_gt_u32_e32 vcc_lo, v47, v13
	v_cndmask_b32_e64 v13, v26, 0, vcc_lo
	s_delay_alu instid0(VALU_DEP_3) | instskip(NEXT) | instid1(VALU_DEP_2)
	v_cndmask_b32_e32 v11, v11, v25, vcc_lo
	v_dual_mov_b32 v25, 0 :: v_dual_add_nc_u32 v10, v13, v10
	s_branch .LBB58_87
.LBB58_86:                              ;   in Loop: Header=BB58_87 Depth=1
	s_or_b32 exec_lo, exec_lo, s11
	v_and_b32_e32 v27, 0xff, v11
	v_and_b32_e32 v26, 0xff, v12
	v_and_b32_e32 v11, 1, v11
	ds_bpermute_b32 v48, v35, v10
	v_subrev_nc_u32_e32 v24, 32, v24
	ds_bpermute_b32 v13, v35, v27
	v_cmp_eq_u16_e32 vcc_lo, 2, v26
	v_and_or_b32 v26, vcc_lo, v36, 0x80000000
	v_cmp_eq_u32_e32 vcc_lo, 1, v11
	s_waitcnt lgkmcnt(0)
	v_and_b32_e32 v13, 1, v13
	s_delay_alu instid0(VALU_DEP_1) | instskip(SKIP_1) | instid1(VALU_DEP_2)
	v_cndmask_b32_e64 v11, v13, 1, vcc_lo
	v_ctz_i32_b32_e32 v13, v26
	v_dual_mov_b32 v26, v10 :: v_dual_and_b32 v49, 0xffff, v11
	s_delay_alu instid0(VALU_DEP_2) | instskip(NEXT) | instid1(VALU_DEP_2)
	v_cmp_gt_u32_e32 vcc_lo, v37, v13
	v_cmp_gt_u64_e64 s11, s[20:21], v[26:27]
	v_cndmask_b32_e32 v11, v11, v27, vcc_lo
	s_delay_alu instid0(VALU_DEP_2) | instskip(NEXT) | instid1(VALU_DEP_2)
	v_cndmask_b32_e64 v26, 0, v48, s11
	v_and_b32_e32 v48, 1, v11
	v_cmp_eq_u16_e64 s11, 0, v11
	s_delay_alu instid0(VALU_DEP_3) | instskip(SKIP_1) | instid1(VALU_DEP_4)
	v_cndmask_b32_e64 v26, v26, 0, vcc_lo
	v_cndmask_b32_e32 v49, v49, v27, vcc_lo
	v_cmp_eq_u32_e32 vcc_lo, 1, v48
	s_delay_alu instid0(VALU_DEP_3)
	v_add_nc_u32_e32 v10, v26, v10
	ds_bpermute_b32 v27, v38, v49
	ds_bpermute_b32 v26, v38, v10
	s_waitcnt lgkmcnt(1)
	v_and_b32_e32 v27, 1, v27
	s_waitcnt lgkmcnt(0)
	v_cndmask_b32_e64 v26, 0, v26, s11
	s_delay_alu instid0(VALU_DEP_2) | instskip(SKIP_1) | instid1(VALU_DEP_2)
	v_cndmask_b32_e64 v27, v27, 1, vcc_lo
	v_cmp_gt_u32_e32 vcc_lo, v39, v13
	v_and_b32_e32 v48, 0xffff, v27
	s_delay_alu instid0(VALU_DEP_4) | instskip(SKIP_1) | instid1(VALU_DEP_2)
	v_cndmask_b32_e64 v26, v26, 0, vcc_lo
	v_cndmask_b32_e32 v11, v27, v11, vcc_lo
	v_dual_cndmask_b32 v27, v48, v49 :: v_dual_add_nc_u32 v10, v26, v10
	s_delay_alu instid0(VALU_DEP_2)
	v_and_b32_e32 v49, 1, v11
	ds_bpermute_b32 v48, v40, v27
	ds_bpermute_b32 v26, v40, v10
	v_cmp_eq_u32_e32 vcc_lo, 1, v49
	s_waitcnt lgkmcnt(1)
	v_and_b32_e32 v48, 1, v48
	s_delay_alu instid0(VALU_DEP_1) | instskip(SKIP_2) | instid1(VALU_DEP_2)
	v_cndmask_b32_e64 v48, v48, 1, vcc_lo
	v_cmp_eq_u16_e32 vcc_lo, 0, v11
	s_waitcnt lgkmcnt(0)
	v_dual_cndmask_b32 v26, 0, v26 :: v_dual_and_b32 v49, 0xffff, v48
	v_cmp_gt_u32_e32 vcc_lo, v41, v13
	s_delay_alu instid0(VALU_DEP_2) | instskip(SKIP_1) | instid1(VALU_DEP_2)
	v_cndmask_b32_e64 v26, v26, 0, vcc_lo
	v_cndmask_b32_e32 v11, v48, v11, vcc_lo
	v_dual_cndmask_b32 v27, v49, v27 :: v_dual_add_nc_u32 v10, v26, v10
	s_delay_alu instid0(VALU_DEP_2)
	v_and_b32_e32 v49, 1, v11
	ds_bpermute_b32 v26, v42, v27
	v_cmp_eq_u16_e32 vcc_lo, 0, v11
	ds_bpermute_b32 v48, v42, v10
	s_waitcnt lgkmcnt(1)
	v_and_b32_e32 v26, 1, v26
	s_waitcnt lgkmcnt(0)
	v_cndmask_b32_e32 v48, 0, v48, vcc_lo
	v_cmp_eq_u32_e32 vcc_lo, 1, v49
	s_delay_alu instid0(VALU_DEP_3) | instskip(SKIP_1) | instid1(VALU_DEP_4)
	v_cndmask_b32_e64 v26, v26, 1, vcc_lo
	v_cmp_gt_u32_e32 vcc_lo, v43, v13
	v_cndmask_b32_e64 v48, v48, 0, vcc_lo
	s_delay_alu instid0(VALU_DEP_3) | instskip(NEXT) | instid1(VALU_DEP_2)
	v_dual_cndmask_b32 v11, v26, v11 :: v_dual_and_b32 v26, 0xffff, v26
	v_add_nc_u32_e32 v10, v48, v10
	s_delay_alu instid0(VALU_DEP_2) | instskip(NEXT) | instid1(VALU_DEP_3)
	v_and_b32_e32 v48, 0xff, v11
	v_cndmask_b32_e32 v26, v26, v27, vcc_lo
	v_and_b32_e32 v49, 1, v11
	ds_bpermute_b32 v27, v46, v10
	v_cmp_eq_u16_e32 vcc_lo, 0, v48
	ds_bpermute_b32 v26, v46, v26
	s_waitcnt lgkmcnt(1)
	v_cndmask_b32_e32 v27, 0, v27, vcc_lo
	v_cmp_eq_u32_e32 vcc_lo, 1, v49
	s_waitcnt lgkmcnt(0)
	v_cndmask_b32_e64 v26, v26, 1, vcc_lo
	v_cmp_gt_u32_e32 vcc_lo, v47, v13
	s_delay_alu instid0(VALU_DEP_2) | instskip(SKIP_1) | instid1(VALU_DEP_2)
	v_dual_cndmask_b32 v11, v26, v11 :: v_dual_and_b32 v26, 0xff, v44
	v_cndmask_b32_e64 v13, v27, 0, vcc_lo
	v_and_b32_e32 v11, 1, v11
	s_delay_alu instid0(VALU_DEP_3) | instskip(NEXT) | instid1(VALU_DEP_3)
	v_cmp_eq_u16_e32 vcc_lo, 0, v26
	v_add_nc_u32_e32 v10, v13, v10
	s_delay_alu instid0(VALU_DEP_1) | instskip(NEXT) | instid1(VALU_DEP_1)
	v_dual_cndmask_b32 v10, 0, v10 :: v_dual_and_b32 v13, 1, v44
	v_cmp_eq_u32_e32 vcc_lo, 1, v13
	s_delay_alu instid0(VALU_DEP_2)
	v_add_nc_u32_e32 v10, v10, v45
	v_cndmask_b32_e64 v11, v11, 1, vcc_lo
.LBB58_87:                              ; =>This Loop Header: Depth=1
                                        ;     Child Loop BB58_90 Depth 2
	s_delay_alu instid0(VALU_DEP_1) | instskip(NEXT) | instid1(VALU_DEP_2)
	v_dual_mov_b32 v45, v10 :: v_dual_and_b32 v12, 0xff, v12
	v_mov_b32_e32 v44, v11
	s_delay_alu instid0(VALU_DEP_2) | instskip(SKIP_2) | instid1(VALU_DEP_1)
	v_cmp_ne_u16_e32 vcc_lo, 2, v12
	v_cndmask_b32_e64 v12, 0, 1, vcc_lo
	;;#ASMSTART
	;;#ASMEND
	v_cmp_ne_u32_e32 vcc_lo, 0, v12
	s_cmp_lg_u32 vcc_lo, exec_lo
	s_cbranch_scc1 .LBB58_92
; %bb.88:                               ;   in Loop: Header=BB58_87 Depth=1
	v_lshlrev_b64 v[10:11], 4, v[24:25]
	s_mov_b32 s11, exec_lo
	s_delay_alu instid0(VALU_DEP_1) | instskip(NEXT) | instid1(VALU_DEP_2)
	v_add_co_u32 v26, vcc_lo, s16, v10
	v_add_co_ci_u32_e32 v27, vcc_lo, s17, v11, vcc_lo
	;;#ASMSTART
	global_load_dwordx4 v[10:13], v[26:27] off glc	
s_waitcnt vmcnt(0)
	;;#ASMEND
	v_and_b32_e32 v13, 0xff, v12
	s_delay_alu instid0(VALU_DEP_1)
	v_cmpx_eq_u16_e32 0, v13
	s_cbranch_execz .LBB58_86
; %bb.89:                               ;   in Loop: Header=BB58_87 Depth=1
	s_mov_b32 s24, 0
.LBB58_90:                              ;   Parent Loop BB58_87 Depth=1
                                        ; =>  This Inner Loop Header: Depth=2
	;;#ASMSTART
	global_load_dwordx4 v[10:13], v[26:27] off glc	
s_waitcnt vmcnt(0)
	;;#ASMEND
	v_and_b32_e32 v13, 0xff, v12
	s_delay_alu instid0(VALU_DEP_1) | instskip(SKIP_1) | instid1(SALU_CYCLE_1)
	v_cmp_ne_u16_e32 vcc_lo, 0, v13
	s_or_b32 s24, vcc_lo, s24
	s_and_not1_b32 exec_lo, exec_lo, s24
	s_cbranch_execnz .LBB58_90
; %bb.91:                               ;   in Loop: Header=BB58_87 Depth=1
	s_or_b32 exec_lo, exec_lo, s24
	s_branch .LBB58_86
.LBB58_92:                              ;   in Loop: Header=BB58_87 Depth=1
                                        ; implicit-def: $vgpr11
                                        ; implicit-def: $vgpr10
                                        ; implicit-def: $vgpr12
	s_cbranch_execz .LBB58_87
; %bb.93:
	s_and_saveexec_b32 s11, s10
	s_cbranch_execz .LBB58_95
; %bb.94:
	s_and_b32 s20, s23, 0xff
	s_mov_b32 s21, 0
	s_cmp_eq_u32 s20, 0
	v_and_b32_e32 v11, 1, v44
	s_cselect_b32 vcc_lo, -1, 0
	s_bitcmp1_b32 s23, 0
	v_cndmask_b32_e32 v10, 0, v45, vcc_lo
	s_cselect_b32 s23, -1, 0
	s_add_i32 s20, s15, 32
	v_mov_b32_e32 v12, 0
	s_lshl_b64 s[20:21], s[20:21], 4
	v_add_nc_u32_e32 v9, v10, v9
	s_add_u32 s20, s16, s20
	s_addc_u32 s21, s17, s21
	v_cndmask_b32_e64 v10, v11, 1, s23
	v_mov_b32_e32 v25, s21
	v_dual_mov_b32 v11, 2 :: v_dual_mov_b32 v24, s20
	;;#ASMSTART
	global_store_dwordx4 v[24:25], v[9:12] off	
s_waitcnt vmcnt(0)
	;;#ASMEND
.LBB58_95:
	s_or_b32 exec_lo, exec_lo, s11
	v_cmp_eq_u32_e32 vcc_lo, 0, v0
	s_and_b32 exec_lo, exec_lo, vcc_lo
	s_cbranch_execz .LBB58_97
; %bb.96:
	v_mov_b32_e32 v9, 0
	ds_store_b32 v9, v45 offset:56
	ds_store_b8 v9, v44 offset:60
.LBB58_97:
	s_or_b32 exec_lo, exec_lo, s14
	s_waitcnt lgkmcnt(0)
	v_cndmask_b32_e64 v9, v34, v32, s10
	v_dual_mov_b32 v10, 0 :: v_dual_and_b32 v11, 1, v15
	s_barrier
	s_delay_alu instid0(VALU_DEP_2)
	v_and_b32_e32 v9, 1, v9
	buffer_gl0_inv
	v_cmp_eq_u32_e32 vcc_lo, 1, v11
	ds_load_b32 v10, v10 offset:56
	s_mov_b32 s14, 0
	s_mov_b32 s15, 1
	v_cndmask_b32_e64 v11, v33, v31, s10
	v_cndmask_b32_e64 v9, v9, 1, vcc_lo
	v_cmp_eq_u32_e32 vcc_lo, 0, v0
	v_cmp_gt_u64_e64 s10, s[14:15], v[14:15]
	s_delay_alu instid0(VALU_DEP_3) | instskip(NEXT) | instid1(VALU_DEP_2)
	v_cndmask_b32_e32 v9, v9, v15, vcc_lo
	v_cndmask_b32_e64 v11, 0, v11, s10
	s_delay_alu instid0(VALU_DEP_2) | instskip(NEXT) | instid1(VALU_DEP_2)
	v_and_b32_e32 v9, 0xff, v9
	v_cndmask_b32_e64 v11, v11, 0, vcc_lo
	s_delay_alu instid0(VALU_DEP_2) | instskip(SKIP_2) | instid1(VALU_DEP_1)
	v_cmp_eq_u16_e32 vcc_lo, 0, v9
	s_waitcnt lgkmcnt(0)
	v_cndmask_b32_e32 v9, 0, v10, vcc_lo
	v_add3_u32 v9, v11, v14, v9
	s_delay_alu instid0(VALU_DEP_1) | instskip(NEXT) | instid1(VALU_DEP_1)
	v_cndmask_b32_e64 v10, 0, v9, s2
	v_add_nc_u32_e32 v24, v10, v16
	s_delay_alu instid0(VALU_DEP_1) | instskip(NEXT) | instid1(VALU_DEP_1)
	v_cndmask_b32_e64 v10, 0, v24, s3
	v_add_nc_u32_e32 v25, v10, v18
	s_delay_alu instid0(VALU_DEP_1) | instskip(NEXT) | instid1(VALU_DEP_1)
	v_cndmask_b32_e64 v10, 0, v25, s4
	v_add_nc_u32_e32 v26, v10, v20
	s_delay_alu instid0(VALU_DEP_1) | instskip(NEXT) | instid1(VALU_DEP_1)
	v_cndmask_b32_e64 v10, 0, v26, s5
	v_add_nc_u32_e32 v27, v10, v1
	s_delay_alu instid0(VALU_DEP_1) | instskip(NEXT) | instid1(VALU_DEP_1)
	v_cndmask_b32_e64 v10, 0, v27, s6
	v_add_nc_u32_e32 v31, v10, v3
	s_delay_alu instid0(VALU_DEP_1) | instskip(NEXT) | instid1(VALU_DEP_1)
	v_cndmask_b32_e64 v10, 0, v31, s7
	v_add_nc_u32_e32 v32, v10, v5
	s_delay_alu instid0(VALU_DEP_1) | instskip(NEXT) | instid1(VALU_DEP_1)
	v_cndmask_b32_e64 v10, 0, v32, s8
	v_add_nc_u32_e32 v33, v10, v7
	s_delay_alu instid0(VALU_DEP_1) | instskip(NEXT) | instid1(VALU_DEP_1)
	v_cndmask_b32_e64 v10, 0, v33, s9
	v_add_nc_u32_e32 v34, v10, v22
	s_branch .LBB58_122
.LBB58_98:
                                        ; implicit-def: $vgpr9_vgpr10
                                        ; implicit-def: $vgpr24
                                        ; implicit-def: $vgpr25
                                        ; implicit-def: $vgpr26
                                        ; implicit-def: $vgpr27
                                        ; implicit-def: $vgpr31
                                        ; implicit-def: $vgpr32
                                        ; implicit-def: $vgpr33
                                        ; implicit-def: $vgpr34
	s_cbranch_execz .LBB58_122
; %bb.99:
	v_cmp_eq_u32_e32 vcc_lo, 0, v0
	s_cmp_lg_u64 s[12:13], 0
	v_cmp_ne_u32_e64 s2, 0, v0
	s_cselect_b32 s3, -1, 0
	s_mov_b32 s14, 0
	s_and_b32 s3, vcc_lo, s3
	s_delay_alu instid0(SALU_CYCLE_1)
	s_and_saveexec_b32 s4, s3
	s_cbranch_execz .LBB58_101
; %bb.100:
	v_dual_mov_b32 v9, 0 :: v_dual_and_b32 v10, 1, v15
	s_mov_b32 s15, 1
	s_load_b32 s5, s[12:13], 0x0
	v_cmp_gt_u64_e64 s3, s[14:15], v[14:15]
	global_load_u8 v11, v9, s[12:13] offset:4
	s_waitcnt lgkmcnt(0)
	v_cndmask_b32_e64 v12, 0, s5, s3
	v_cmp_eq_u64_e64 s3, 0, v[9:10]
	s_delay_alu instid0(VALU_DEP_2) | instskip(SKIP_2) | instid1(VALU_DEP_1)
	v_add_nc_u32_e32 v14, v12, v14
	s_waitcnt vmcnt(0)
	v_and_b32_e32 v11, 1, v11
	v_cndmask_b32_e64 v15, 1, v11, s3
.LBB58_101:
	s_or_b32 exec_lo, exec_lo, s4
	s_mov_b32 s15, 1
	v_and_b32_e32 v32, 1, v8
	v_cmp_gt_u64_e64 s3, s[14:15], v[16:17]
	v_cmp_gt_u64_e64 s4, s[14:15], v[18:19]
	;; [unrolled: 1-line block ×4, first 2 shown]
	s_mov_b32 s13, exec_lo
	s_delay_alu instid0(VALU_DEP_4) | instskip(NEXT) | instid1(VALU_DEP_1)
	v_cndmask_b32_e64 v9, 0, v14, s3
	v_dual_mov_b32 v9, 0 :: v_dual_add_nc_u32 v24, v9, v16
	v_and_b32_e32 v10, 1, v2
	v_and_b32_e32 v12, 1, v4
	;; [unrolled: 1-line block ×3, first 2 shown]
	s_delay_alu instid0(VALU_DEP_4)
	v_cndmask_b32_e64 v13, 0, v24, s4
	v_mov_b32_e32 v26, v9
	v_mov_b32_e32 v11, v9
	;; [unrolled: 1-line block ×3, first 2 shown]
	v_cmp_ne_u64_e64 s5, 0, v[9:10]
	v_add_nc_u32_e32 v25, v13, v18
	s_delay_alu instid0(VALU_DEP_4) | instskip(NEXT) | instid1(VALU_DEP_3)
	v_cmp_ne_u64_e64 s6, 0, v[11:12]
	v_cndmask_b32_e64 v9, 0, 1, s5
	v_cmp_gt_u64_e64 s5, s[14:15], v[20:21]
	s_delay_alu instid0(VALU_DEP_3) | instskip(SKIP_1) | instid1(VALU_DEP_3)
	v_cndmask_b32_e64 v11, 0, 1, s6
	v_cmp_ne_u64_e64 s6, 0, v[26:27]
	v_cndmask_b32_e64 v10, 0, v25, s5
	s_delay_alu instid0(VALU_DEP_3) | instskip(NEXT) | instid1(VALU_DEP_3)
	v_lshlrev_b16 v11, 1, v11
	v_cndmask_b32_e64 v12, 0, 1, s6
	v_cmp_ne_u64_e64 s6, 0, v[31:32]
	s_delay_alu instid0(VALU_DEP_4) | instskip(NEXT) | instid1(VALU_DEP_4)
	v_add_nc_u32_e32 v26, v10, v20
	v_or_b32_e32 v9, v9, v11
	s_delay_alu instid0(VALU_DEP_4) | instskip(NEXT) | instid1(VALU_DEP_4)
	v_lshlrev_b16 v12, 2, v12
	v_cndmask_b32_e64 v10, 0, 1, s6
	v_cmp_gt_u64_e64 s6, s[14:15], v[1:2]
	s_delay_alu instid0(VALU_DEP_4) | instskip(NEXT) | instid1(VALU_DEP_3)
	v_and_b32_e32 v9, 3, v9
	v_lshlrev_b16 v10, 3, v10
	s_delay_alu instid0(VALU_DEP_3) | instskip(NEXT) | instid1(VALU_DEP_1)
	v_cndmask_b32_e64 v2, 0, v26, s6
	v_add_nc_u32_e32 v27, v2, v1
	s_delay_alu instid0(VALU_DEP_3) | instskip(SKIP_1) | instid1(VALU_DEP_3)
	v_or_b32_e32 v2, v10, v12
	v_or3_b32 v10, v23, v21, v19
	v_cndmask_b32_e64 v4, 0, v27, s7
	s_delay_alu instid0(VALU_DEP_3) | instskip(SKIP_1) | instid1(VALU_DEP_3)
	v_or_b32_e32 v2, v9, v2
	v_and_b32_e32 v9, 1, v17
	v_add_nc_u32_e32 v31, v4, v3
	v_and_b32_e32 v4, 1, v10
	s_delay_alu instid0(VALU_DEP_4) | instskip(NEXT) | instid1(VALU_DEP_4)
	v_and_b32_e32 v2, 15, v2
	v_cmp_eq_u32_e64 s11, 1, v9
	s_delay_alu instid0(VALU_DEP_4) | instskip(NEXT) | instid1(VALU_DEP_4)
	v_cndmask_b32_e64 v6, 0, v31, s8
	v_cmp_eq_u32_e64 s9, 1, v4
	s_delay_alu instid0(VALU_DEP_4) | instskip(NEXT) | instid1(VALU_DEP_3)
	v_cmp_ne_u16_e64 s10, 0, v2
	v_add_nc_u32_e32 v32, v6, v5
	s_delay_alu instid0(VALU_DEP_2) | instskip(SKIP_2) | instid1(SALU_CYCLE_1)
	s_or_b32 s10, s9, s10
	v_cmp_gt_u64_e64 s9, s[14:15], v[7:8]
	s_or_b32 s10, s10, s11
	v_cndmask_b32_e64 v6, v15, 1, s10
	v_cmp_gt_u64_e64 s10, s[14:15], v[22:23]
	s_delay_alu instid0(VALU_DEP_3) | instskip(NEXT) | instid1(VALU_DEP_1)
	v_cndmask_b32_e64 v2, 0, v32, s9
	v_add_nc_u32_e32 v33, v2, v7
	s_delay_alu instid0(VALU_DEP_4) | instskip(NEXT) | instid1(VALU_DEP_2)
	v_and_b32_e32 v2, 0xff, v6
	v_cndmask_b32_e64 v4, 0, v33, s10
	s_delay_alu instid0(VALU_DEP_2) | instskip(NEXT) | instid1(VALU_DEP_2)
	v_mov_b32_dpp v8, v2 row_shr:1 row_mask:0xf bank_mask:0xf
	v_add_nc_u32_e32 v34, v4, v22
	v_and_b32_e32 v4, 1, v6
	s_delay_alu instid0(VALU_DEP_3) | instskip(SKIP_1) | instid1(VALU_DEP_4)
	v_and_b32_e32 v9, 1, v8
	v_and_b32_e32 v8, 15, v30
	v_mov_b32_dpp v11, v34 row_shr:1 row_mask:0xf bank_mask:0xf
	s_delay_alu instid0(VALU_DEP_4) | instskip(NEXT) | instid1(VALU_DEP_1)
	v_cmp_eq_u32_e64 s11, 1, v4
	v_cndmask_b32_e64 v10, v9, 1, s11
	v_cmp_eq_u16_e64 s11, 0, v2
	s_delay_alu instid0(VALU_DEP_2) | instskip(NEXT) | instid1(VALU_DEP_2)
	v_and_b32_e32 v9, 0xffff, v10
	v_cndmask_b32_e64 v4, 0, v11, s11
	v_cmp_eq_u32_e64 s11, 0, v8
	s_delay_alu instid0(VALU_DEP_1) | instskip(NEXT) | instid1(VALU_DEP_4)
	v_cndmask_b32_e64 v11, v4, 0, s11
	v_cndmask_b32_e64 v4, v9, v2, s11
	;; [unrolled: 1-line block ×3, first 2 shown]
	s_delay_alu instid0(VALU_DEP_3) | instskip(NEXT) | instid1(VALU_DEP_3)
	v_add_nc_u32_e32 v2, v34, v11
	v_mov_b32_dpp v12, v4 row_shr:2 row_mask:0xf bank_mask:0xf
	v_mov_b32_e32 v9, v4
	s_delay_alu instid0(VALU_DEP_3)
	v_mov_b32_dpp v11, v2 row_shr:2 row_mask:0xf bank_mask:0xf
	v_cmpx_lt_u32_e32 1, v8
; %bb.102:
	v_and_b32_e32 v4, 1, v10
	v_cmp_eq_u16_e64 s11, 0, v10
	v_and_b32_e32 v6, 1, v12
	s_delay_alu instid0(VALU_DEP_2) | instskip(NEXT) | instid1(VALU_DEP_4)
	v_cndmask_b32_e64 v9, 0, v11, s11
	v_cmp_eq_u32_e64 s11, 1, v4
	s_delay_alu instid0(VALU_DEP_2) | instskip(NEXT) | instid1(VALU_DEP_2)
	v_add_nc_u32_e32 v2, v2, v9
	v_cndmask_b32_e64 v6, v6, 1, s11
	s_delay_alu instid0(VALU_DEP_1)
	v_dual_mov_b32 v4, v6 :: v_dual_and_b32 v9, 0xffff, v6
; %bb.103:
	s_or_b32 exec_lo, exec_lo, s13
	s_delay_alu instid0(VALU_DEP_3) | instskip(NEXT) | instid1(VALU_DEP_2)
	v_mov_b32_dpp v10, v2 row_shr:4 row_mask:0xf bank_mask:0xf
	v_mov_b32_dpp v11, v9 row_shr:4 row_mask:0xf bank_mask:0xf
	s_mov_b32 s12, exec_lo
	v_cmpx_lt_u32_e32 3, v8
; %bb.104:
	v_and_b32_e32 v6, 1, v4
	v_cmp_eq_u16_e64 s11, 0, v4
	v_and_b32_e32 v9, 1, v11
	s_delay_alu instid0(VALU_DEP_2) | instskip(NEXT) | instid1(VALU_DEP_4)
	v_cndmask_b32_e64 v4, 0, v10, s11
	v_cmp_eq_u32_e64 s11, 1, v6
	s_delay_alu instid0(VALU_DEP_2) | instskip(NEXT) | instid1(VALU_DEP_2)
	v_add_nc_u32_e32 v2, v4, v2
	v_cndmask_b32_e64 v6, v9, 1, s11
	s_delay_alu instid0(VALU_DEP_1)
	v_dual_mov_b32 v4, v6 :: v_dual_and_b32 v9, 0xffff, v6
; %bb.105:
	s_or_b32 exec_lo, exec_lo, s12
	s_delay_alu instid0(VALU_DEP_3) | instskip(NEXT) | instid1(VALU_DEP_2)
	v_mov_b32_dpp v10, v2 row_shr:8 row_mask:0xf bank_mask:0xf
	v_mov_b32_dpp v11, v9 row_shr:8 row_mask:0xf bank_mask:0xf
	s_mov_b32 s12, exec_lo
	v_cmpx_lt_u32_e32 7, v8
; %bb.106:
	v_and_b32_e32 v6, 1, v4
	v_cmp_eq_u16_e64 s11, 0, v4
	v_and_b32_e32 v8, 1, v11
	s_delay_alu instid0(VALU_DEP_2) | instskip(NEXT) | instid1(VALU_DEP_4)
	v_cndmask_b32_e64 v4, 0, v10, s11
	v_cmp_eq_u32_e64 s11, 1, v6
	s_delay_alu instid0(VALU_DEP_2) | instskip(NEXT) | instid1(VALU_DEP_2)
	v_add_nc_u32_e32 v2, v4, v2
	v_cndmask_b32_e64 v6, v8, 1, s11
	s_delay_alu instid0(VALU_DEP_1)
	v_dual_mov_b32 v4, v6 :: v_dual_and_b32 v9, 0xffff, v6
; %bb.107:
	s_or_b32 exec_lo, exec_lo, s12
	ds_swizzle_b32 v8, v2 offset:swizzle(BROADCAST,32,15)
	ds_swizzle_b32 v9, v9 offset:swizzle(BROADCAST,32,15)
	v_cmp_eq_u16_e64 s11, 0, v4
	v_and_b32_e32 v4, 1, v4
	v_bfe_i32 v10, v30, 4, 1
	v_and_b32_e32 v11, 16, v30
	s_mov_b32 s12, exec_lo
	s_waitcnt lgkmcnt(1)
	v_cndmask_b32_e64 v8, 0, v8, s11
	s_waitcnt lgkmcnt(0)
	v_and_b32_e32 v9, 1, v9
	v_cmp_eq_u32_e64 s11, 1, v4
	v_lshrrev_b32_e32 v4, 5, v0
	v_and_b32_e32 v8, v10, v8
	v_or_b32_e32 v10, 31, v0
	s_delay_alu instid0(VALU_DEP_4) | instskip(SKIP_1) | instid1(VALU_DEP_4)
	v_cndmask_b32_e64 v9, v9, 1, s11
	v_cmp_eq_u32_e64 s11, 0, v11
	v_add_nc_u32_e32 v2, v8, v2
	s_delay_alu instid0(VALU_DEP_2)
	v_cndmask_b32_e64 v6, v9, v6, s11
	v_cmpx_eq_u32_e64 v10, v0
	s_cbranch_execz .LBB58_109
; %bb.108:
	v_lshlrev_b32_e32 v8, 3, v4
	ds_store_b32 v8, v2
	ds_store_b8 v8, v6 offset:4
.LBB58_109:
	s_or_b32 exec_lo, exec_lo, s12
	s_delay_alu instid0(SALU_CYCLE_1)
	s_mov_b32 s13, exec_lo
	s_waitcnt lgkmcnt(0)
	s_barrier
	buffer_gl0_inv
	v_cmpx_gt_u32_e32 8, v0
	s_cbranch_execz .LBB58_115
; %bb.110:
	v_lshlrev_b32_e32 v10, 3, v0
	v_and_b32_e32 v11, 7, v30
	s_mov_b32 s12, exec_lo
	ds_load_b64 v[8:9], v10
	s_waitcnt lgkmcnt(0)
	v_dual_mov_b32 v13, v9 :: v_dual_and_b32 v12, 0xffffff00, v9
	v_mov_b32_dpp v17, v8 row_shr:1 row_mask:0xf bank_mask:0xf
	v_mov_b32_dpp v19, v9 row_shr:1 row_mask:0xf bank_mask:0xf
	v_cmpx_ne_u32_e32 0, v11
; %bb.111:
	v_and_b32_e32 v13, 1, v9
	s_delay_alu instid0(VALU_DEP_3) | instskip(SKIP_1) | instid1(VALU_DEP_3)
	v_and_b32_e32 v19, 1, v19
	v_and_b32_e32 v21, 0xff, v9
	v_cmp_eq_u32_e64 s11, 1, v13
	s_delay_alu instid0(VALU_DEP_1) | instskip(NEXT) | instid1(VALU_DEP_3)
	v_cndmask_b32_e64 v9, v19, 1, s11
	v_cmp_eq_u16_e64 s11, 0, v21
	s_delay_alu instid0(VALU_DEP_1) | instskip(NEXT) | instid1(VALU_DEP_3)
	v_cndmask_b32_e64 v13, 0, v17, s11
	v_and_b32_e32 v17, 0xffff, v9
	s_delay_alu instid0(VALU_DEP_2) | instskip(NEXT) | instid1(VALU_DEP_2)
	v_add_nc_u32_e32 v8, v13, v8
	v_or_b32_e32 v13, v12, v17
; %bb.112:
	s_or_b32 exec_lo, exec_lo, s12
	s_delay_alu instid0(VALU_DEP_2) | instskip(NEXT) | instid1(VALU_DEP_2)
	v_mov_b32_dpp v17, v8 row_shr:2 row_mask:0xf bank_mask:0xf
	v_mov_b32_dpp v21, v13 row_shr:2 row_mask:0xf bank_mask:0xf
	v_mov_b32_e32 v19, v13
	s_mov_b32 s12, exec_lo
	v_cmpx_lt_u32_e32 1, v11
; %bb.113:
	v_and_b32_e32 v9, 1, v13
	v_and_b32_e32 v19, 1, v21
	;; [unrolled: 1-line block ×3, first 2 shown]
	s_delay_alu instid0(VALU_DEP_3) | instskip(NEXT) | instid1(VALU_DEP_1)
	v_cmp_eq_u32_e64 s11, 1, v9
	v_cndmask_b32_e64 v9, v19, 1, s11
	s_delay_alu instid0(VALU_DEP_3) | instskip(NEXT) | instid1(VALU_DEP_2)
	v_cmp_eq_u16_e64 s11, 0, v13
	v_mov_b32_e32 v19, v9
	s_delay_alu instid0(VALU_DEP_2) | instskip(SKIP_1) | instid1(VALU_DEP_2)
	v_cndmask_b32_e64 v13, 0, v17, s11
	v_and_b32_e32 v17, 0xffff, v9
	v_add_nc_u32_e32 v8, v13, v8
	s_delay_alu instid0(VALU_DEP_2)
	v_or_b32_e32 v13, v12, v17
; %bb.114:
	s_or_b32 exec_lo, exec_lo, s12
	s_delay_alu instid0(VALU_DEP_1) | instskip(SKIP_2) | instid1(VALU_DEP_3)
	v_mov_b32_dpp v12, v13 row_shr:4 row_mask:0xf bank_mask:0xf
	v_and_b32_e32 v17, 1, v19
	v_and_b32_e32 v13, 0xff, v19
	;; [unrolled: 1-line block ×3, first 2 shown]
	s_delay_alu instid0(VALU_DEP_3) | instskip(NEXT) | instid1(VALU_DEP_3)
	v_cmp_eq_u32_e64 s12, 1, v17
	v_cmp_eq_u16_e64 s11, 0, v13
	s_delay_alu instid0(VALU_DEP_2) | instskip(SKIP_2) | instid1(VALU_DEP_2)
	v_cndmask_b32_e64 v12, v12, 1, s12
	v_cmp_lt_u32_e64 s12, 3, v11
	v_mov_b32_dpp v11, v8 row_shr:4 row_mask:0xf bank_mask:0xf
	s_and_b32 s11, s12, s11
	s_delay_alu instid0(VALU_DEP_3) | instskip(NEXT) | instid1(VALU_DEP_2)
	v_cndmask_b32_e64 v9, v9, v12, s12
	v_cndmask_b32_e64 v11, 0, v11, s11
	s_delay_alu instid0(VALU_DEP_1)
	v_add_nc_u32_e32 v8, v11, v8
	ds_store_b32 v10, v8
	ds_store_b8 v10, v9 offset:4
.LBB58_115:
	s_or_b32 exec_lo, exec_lo, s13
	v_mov_b32_e32 v8, 0
	s_mov_b32 s12, exec_lo
	s_waitcnt lgkmcnt(0)
	s_barrier
	buffer_gl0_inv
	v_cmpx_lt_u32_e32 31, v0
	s_cbranch_execz .LBB58_117
; %bb.116:
	v_lshl_add_u32 v4, v4, 3, -8
	ds_load_b32 v8, v4
	v_and_b32_e32 v4, 0xff, v6
	s_delay_alu instid0(VALU_DEP_1) | instskip(SKIP_1) | instid1(VALU_DEP_1)
	v_cmp_eq_u16_e64 s11, 0, v4
	s_waitcnt lgkmcnt(0)
	v_cndmask_b32_e64 v4, 0, v8, s11
	s_delay_alu instid0(VALU_DEP_1)
	v_add_nc_u32_e32 v2, v4, v2
.LBB58_117:
	s_or_b32 exec_lo, exec_lo, s12
	v_add_nc_u32_e32 v4, -1, v30
	s_mov_b32 s12, 0
	s_delay_alu instid0(VALU_DEP_1) | instskip(NEXT) | instid1(VALU_DEP_1)
	v_cmp_gt_i32_e64 s11, 0, v4
	v_cndmask_b32_e64 v4, v4, v30, s11
	s_delay_alu instid0(VALU_DEP_1)
	v_lshlrev_b32_e32 v4, 2, v4
	ds_bpermute_b32 v2, v4, v2
	s_and_saveexec_b32 s11, s2
	s_cbranch_execz .LBB58_119
; %bb.118:
	v_cmp_eq_u32_e64 s2, 0, v30
	s_mov_b32 s13, 1
	s_waitcnt lgkmcnt(0)
	s_delay_alu instid0(VALU_DEP_1) | instskip(SKIP_1) | instid1(VALU_DEP_1)
	v_cndmask_b32_e64 v2, v2, v8, s2
	v_cmp_gt_u64_e64 s2, s[12:13], v[14:15]
	v_cndmask_b32_e64 v2, 0, v2, s2
	s_delay_alu instid0(VALU_DEP_1) | instskip(NEXT) | instid1(VALU_DEP_1)
	v_add_nc_u32_e32 v14, v2, v14
	v_cndmask_b32_e64 v2, 0, v14, s3
	s_delay_alu instid0(VALU_DEP_1) | instskip(NEXT) | instid1(VALU_DEP_1)
	v_add_nc_u32_e32 v24, v2, v16
	;; [unrolled: 3-line block ×8, first 2 shown]
	v_cndmask_b32_e64 v1, 0, v33, s10
	s_delay_alu instid0(VALU_DEP_1)
	v_add_nc_u32_e32 v34, v1, v22
.LBB58_119:
	s_or_b32 exec_lo, exec_lo, s11
	s_and_saveexec_b32 s2, vcc_lo
	s_cbranch_execz .LBB58_121
; %bb.120:
	v_dual_mov_b32 v4, 0 :: v_dual_mov_b32 v3, 2
	s_add_u32 s4, s16, 0x200
	s_addc_u32 s5, s17, 0
	ds_load_b32 v1, v4 offset:56
	s_waitcnt lgkmcnt(1)
	ds_load_u8 v2, v4 offset:60
	v_dual_mov_b32 v6, s5 :: v_dual_mov_b32 v5, s4
	s_waitcnt lgkmcnt(0)
	;;#ASMSTART
	global_store_dwordx4 v[5:6], v[1:4] off	
s_waitcnt vmcnt(0)
	;;#ASMEND
.LBB58_121:
	s_or_b32 exec_lo, exec_lo, s2
	v_dual_mov_b32 v9, v14 :: v_dual_mov_b32 v10, v15
.LBB58_122:
	s_load_b64 s[0:1], s[0:1], 0x18
	s_waitcnt lgkmcnt(0)
	s_add_u32 s0, s0, s34
	s_addc_u32 s1, s1, s35
	s_and_b32 vcc_lo, exec_lo, s22
	s_cbranch_vccz .LBB58_140
; %bb.123:
	v_mul_u32_u24_e32 v1, 9, v0
	s_barrier
	buffer_gl0_inv
	v_add_co_u32 v4, s2, s0, v28
	v_lshlrev_b32_e32 v8, 2, v1
	v_add_co_ci_u32_e64 v5, null, s1, 0, s2
	s_add_i32 s19, s19, s18
	ds_store_2addr_b32 v8, v9, v24 offset1:1
	ds_store_2addr_b32 v8, v25, v26 offset0:2 offset1:3
	ds_store_2addr_b32 v8, v27, v31 offset0:4 offset1:5
	;; [unrolled: 1-line block ×3, first 2 shown]
	v_sub_nc_u32_e32 v1, v8, v29
	ds_store_b32 v8, v34 offset:32
	s_waitcnt lgkmcnt(0)
	s_barrier
	buffer_gl0_inv
	ds_load_2addr_stride64_b32 v[12:13], v1 offset0:4 offset1:8
	ds_load_2addr_stride64_b32 v[10:11], v1 offset0:12 offset1:16
	;; [unrolled: 1-line block ×4, first 2 shown]
	v_mov_b32_e32 v1, 0
	s_mov_b32 s2, exec_lo
	v_cmpx_gt_u32_e64 s19, v0
	s_cbranch_execz .LBB58_125
; %bb.124:
	v_sub_nc_u32_e32 v14, 0, v29
	s_delay_alu instid0(VALU_DEP_1)
	v_add_nc_u32_e32 v8, v8, v14
	ds_load_b32 v8, v8
	s_waitcnt lgkmcnt(0)
	v_cvt_f32_i32_e32 v8, v8
	global_store_b32 v[4:5], v8, off
.LBB58_125:
	s_or_b32 exec_lo, exec_lo, s2
	v_or_b32_e32 v8, 0x100, v0
	s_mov_b32 s2, exec_lo
	s_delay_alu instid0(VALU_DEP_1)
	v_cmpx_gt_u32_e64 s19, v8
	s_cbranch_execz .LBB58_127
; %bb.126:
	s_waitcnt lgkmcnt(3)
	v_cvt_f32_i32_e32 v8, v12
	global_store_b32 v[4:5], v8, off offset:1024
.LBB58_127:
	s_or_b32 exec_lo, exec_lo, s2
	v_or_b32_e32 v8, 0x200, v0
	s_mov_b32 s2, exec_lo
	s_delay_alu instid0(VALU_DEP_1)
	v_cmpx_gt_u32_e64 s19, v8
	s_cbranch_execz .LBB58_129
; %bb.128:
	s_waitcnt lgkmcnt(3)
	v_cvt_f32_i32_e32 v8, v13
	global_store_b32 v[4:5], v8, off offset:2048
.LBB58_129:
	;; [unrolled: 11-line block ×3, first 2 shown]
	s_or_b32 exec_lo, exec_lo, s2
	v_or_b32_e32 v8, 0x400, v0
	s_mov_b32 s2, exec_lo
	s_delay_alu instid0(VALU_DEP_1)
	v_cmpx_gt_u32_e64 s19, v8
	s_cbranch_execz .LBB58_133
; %bb.132:
	s_waitcnt lgkmcnt(2)
	v_add_co_u32 v10, vcc_lo, 0x1000, v4
	v_cvt_f32_i32_e32 v8, v11
	v_add_co_ci_u32_e32 v11, vcc_lo, 0, v5, vcc_lo
	global_store_b32 v[10:11], v8, off
.LBB58_133:
	s_or_b32 exec_lo, exec_lo, s2
	v_or_b32_e32 v8, 0x500, v0
	s_mov_b32 s2, exec_lo
	s_delay_alu instid0(VALU_DEP_1)
	v_cmpx_gt_u32_e64 s19, v8
	s_cbranch_execz .LBB58_135
; %bb.134:
	s_waitcnt lgkmcnt(2)
	v_add_co_u32 v10, vcc_lo, 0x1000, v4
	s_waitcnt lgkmcnt(1)
	v_cvt_f32_i32_e32 v6, v6
	v_add_co_ci_u32_e32 v11, vcc_lo, 0, v5, vcc_lo
	global_store_b32 v[10:11], v6, off offset:1024
.LBB58_135:
	s_or_b32 exec_lo, exec_lo, s2
	s_waitcnt lgkmcnt(1)
	v_or_b32_e32 v6, 0x600, v0
	s_mov_b32 s2, exec_lo
	s_delay_alu instid0(VALU_DEP_1)
	v_cmpx_gt_u32_e64 s19, v6
	s_cbranch_execz .LBB58_137
; %bb.136:
	v_add_co_u32 v6, vcc_lo, 0x1000, v4
	v_cvt_f32_i32_e32 v8, v7
	v_add_co_ci_u32_e32 v7, vcc_lo, 0, v5, vcc_lo
	global_store_b32 v[6:7], v8, off offset:2048
.LBB58_137:
	s_or_b32 exec_lo, exec_lo, s2
	v_or_b32_e32 v6, 0x700, v0
	s_mov_b32 s2, exec_lo
	s_delay_alu instid0(VALU_DEP_1)
	v_cmpx_gt_u32_e64 s19, v6
	s_cbranch_execz .LBB58_139
; %bb.138:
	v_add_co_u32 v4, vcc_lo, 0x1000, v4
	s_waitcnt lgkmcnt(0)
	v_cvt_f32_i32_e32 v2, v2
	v_add_co_ci_u32_e32 v5, vcc_lo, 0, v5, vcc_lo
	global_store_b32 v[4:5], v2, off offset:3072
.LBB58_139:
	s_or_b32 exec_lo, exec_lo, s2
	s_waitcnt lgkmcnt(0)
	v_or_b32_e32 v2, 0x800, v0
	s_delay_alu instid0(VALU_DEP_1)
	v_cmp_gt_u32_e64 s2, s19, v2
	s_branch .LBB58_142
.LBB58_140:
	s_mov_b32 s2, 0
                                        ; implicit-def: $vgpr3
	s_cbranch_execz .LBB58_142
; %bb.141:
	v_mul_u32_u24_e32 v1, 36, v0
	s_waitcnt_vscnt null, 0x0
	s_barrier
	buffer_gl0_inv
	v_add_co_u32 v12, s3, s0, v28
	v_sub_nc_u32_e32 v2, v1, v29
	ds_store_2addr_b32 v1, v9, v24 offset1:1
	ds_store_2addr_b32 v1, v25, v26 offset0:2 offset1:3
	ds_store_2addr_b32 v1, v27, v31 offset0:4 offset1:5
	;; [unrolled: 1-line block ×3, first 2 shown]
	ds_store_b32 v1, v34 offset:32
	s_waitcnt lgkmcnt(0)
	s_barrier
	buffer_gl0_inv
	ds_load_2addr_stride64_b32 v[4:5], v2 offset1:4
	ds_load_2addr_stride64_b32 v[6:7], v2 offset0:8 offset1:12
	ds_load_2addr_stride64_b32 v[8:9], v2 offset0:16 offset1:20
	;; [unrolled: 1-line block ×3, first 2 shown]
	ds_load_b32 v3, v2 offset:8192
	v_add_co_ci_u32_e64 v13, null, s1, 0, s3
	v_add_co_u32 v12, vcc_lo, 0x1000, v12
	v_mov_b32_e32 v1, 0
	s_delay_alu instid0(VALU_DEP_3)
	v_add_co_ci_u32_e32 v13, vcc_lo, 0, v13, vcc_lo
	s_or_b32 s2, s2, exec_lo
	s_waitcnt lgkmcnt(4)
	v_cvt_f32_i32_e32 v2, v4
	v_cvt_f32_i32_e32 v4, v5
	s_waitcnt lgkmcnt(3)
	v_cvt_f32_i32_e32 v5, v6
	v_cvt_f32_i32_e32 v6, v7
	;; [unrolled: 3-line block ×3, first 2 shown]
	s_clause 0x2
	global_store_b32 v28, v4, s[0:1] offset:1024
	global_store_b32 v28, v5, s[0:1] offset:2048
	;; [unrolled: 1-line block ×3, first 2 shown]
	s_waitcnt lgkmcnt(1)
	v_cvt_f32_i32_e32 v4, v11
	v_cvt_f32_i32_e32 v9, v10
	s_clause 0x4
	global_store_b32 v[12:13], v7, off
	global_store_b32 v[12:13], v8, off offset:1024
	global_store_b32 v[12:13], v9, off offset:2048
	global_store_b32 v28, v2, s[0:1]
	global_store_b32 v[12:13], v4, off offset:3072
.LBB58_142:
	s_delay_alu instid0(VALU_DEP_1)
	s_and_saveexec_b32 s3, s2
	s_cbranch_execz .LBB58_144
; %bb.143:
	v_lshlrev_b64 v[0:1], 2, v[0:1]
	s_waitcnt lgkmcnt(0)
	v_cvt_f32_i32_e32 v2, v3
	s_delay_alu instid0(VALU_DEP_2) | instskip(NEXT) | instid1(VALU_DEP_3)
	v_add_co_u32 v0, vcc_lo, s0, v0
	v_add_co_ci_u32_e32 v1, vcc_lo, s1, v1, vcc_lo
	s_delay_alu instid0(VALU_DEP_2) | instskip(NEXT) | instid1(VALU_DEP_2)
	v_add_co_u32 v0, vcc_lo, 0x2000, v0
	v_add_co_ci_u32_e32 v1, vcc_lo, 0, v1, vcc_lo
	global_store_b32 v[0:1], v2, off
	s_nop 0
	s_sendmsg sendmsg(MSG_DEALLOC_VGPRS)
	s_endpgm
.LBB58_144:
	s_nop 0
	s_sendmsg sendmsg(MSG_DEALLOC_VGPRS)
	s_endpgm
	.section	.rodata,"a",@progbits
	.p2align	6, 0x0
	.amdhsa_kernel _ZN7rocprim6detail25device_scan_by_key_kernelILNS0_25lookback_scan_determinismE0ELb0ENS0_26wrapped_scan_by_key_configINS_14default_configEiiEEPiN6hipcub22TransformInputIteratorIsNS7_6CastOpIsEEPslEEPfsNS7_8EqualityENS7_3SumENS0_19lookback_scan_stateINS_5tupleIJibEEELb0ELb1EEEiEEvT2_T3_T4_T5_T6_T7_T8_mmmPKNSH_IJT9_bEEE
		.amdhsa_group_segment_fixed_size 11264
		.amdhsa_private_segment_fixed_size 0
		.amdhsa_kernarg_size 80
		.amdhsa_user_sgpr_count 15
		.amdhsa_user_sgpr_dispatch_ptr 0
		.amdhsa_user_sgpr_queue_ptr 0
		.amdhsa_user_sgpr_kernarg_segment_ptr 1
		.amdhsa_user_sgpr_dispatch_id 0
		.amdhsa_user_sgpr_private_segment_size 0
		.amdhsa_wavefront_size32 1
		.amdhsa_uses_dynamic_stack 0
		.amdhsa_enable_private_segment 0
		.amdhsa_system_sgpr_workgroup_id_x 1
		.amdhsa_system_sgpr_workgroup_id_y 0
		.amdhsa_system_sgpr_workgroup_id_z 0
		.amdhsa_system_sgpr_workgroup_info 0
		.amdhsa_system_vgpr_workitem_id 0
		.amdhsa_next_free_vgpr 50
		.amdhsa_next_free_sgpr 40
		.amdhsa_reserve_vcc 1
		.amdhsa_float_round_mode_32 0
		.amdhsa_float_round_mode_16_64 0
		.amdhsa_float_denorm_mode_32 3
		.amdhsa_float_denorm_mode_16_64 3
		.amdhsa_dx10_clamp 1
		.amdhsa_ieee_mode 1
		.amdhsa_fp16_overflow 0
		.amdhsa_workgroup_processor_mode 1
		.amdhsa_memory_ordered 1
		.amdhsa_forward_progress 0
		.amdhsa_shared_vgpr_count 0
		.amdhsa_exception_fp_ieee_invalid_op 0
		.amdhsa_exception_fp_denorm_src 0
		.amdhsa_exception_fp_ieee_div_zero 0
		.amdhsa_exception_fp_ieee_overflow 0
		.amdhsa_exception_fp_ieee_underflow 0
		.amdhsa_exception_fp_ieee_inexact 0
		.amdhsa_exception_int_div_zero 0
	.end_amdhsa_kernel
	.section	.text._ZN7rocprim6detail25device_scan_by_key_kernelILNS0_25lookback_scan_determinismE0ELb0ENS0_26wrapped_scan_by_key_configINS_14default_configEiiEEPiN6hipcub22TransformInputIteratorIsNS7_6CastOpIsEEPslEEPfsNS7_8EqualityENS7_3SumENS0_19lookback_scan_stateINS_5tupleIJibEEELb0ELb1EEEiEEvT2_T3_T4_T5_T6_T7_T8_mmmPKNSH_IJT9_bEEE,"axG",@progbits,_ZN7rocprim6detail25device_scan_by_key_kernelILNS0_25lookback_scan_determinismE0ELb0ENS0_26wrapped_scan_by_key_configINS_14default_configEiiEEPiN6hipcub22TransformInputIteratorIsNS7_6CastOpIsEEPslEEPfsNS7_8EqualityENS7_3SumENS0_19lookback_scan_stateINS_5tupleIJibEEELb0ELb1EEEiEEvT2_T3_T4_T5_T6_T7_T8_mmmPKNSH_IJT9_bEEE,comdat
.Lfunc_end58:
	.size	_ZN7rocprim6detail25device_scan_by_key_kernelILNS0_25lookback_scan_determinismE0ELb0ENS0_26wrapped_scan_by_key_configINS_14default_configEiiEEPiN6hipcub22TransformInputIteratorIsNS7_6CastOpIsEEPslEEPfsNS7_8EqualityENS7_3SumENS0_19lookback_scan_stateINS_5tupleIJibEEELb0ELb1EEEiEEvT2_T3_T4_T5_T6_T7_T8_mmmPKNSH_IJT9_bEEE, .Lfunc_end58-_ZN7rocprim6detail25device_scan_by_key_kernelILNS0_25lookback_scan_determinismE0ELb0ENS0_26wrapped_scan_by_key_configINS_14default_configEiiEEPiN6hipcub22TransformInputIteratorIsNS7_6CastOpIsEEPslEEPfsNS7_8EqualityENS7_3SumENS0_19lookback_scan_stateINS_5tupleIJibEEELb0ELb1EEEiEEvT2_T3_T4_T5_T6_T7_T8_mmmPKNSH_IJT9_bEEE
                                        ; -- End function
	.section	.AMDGPU.csdata,"",@progbits
; Kernel info:
; codeLenInByte = 9732
; NumSgprs: 42
; NumVgprs: 50
; ScratchSize: 0
; MemoryBound: 0
; FloatMode: 240
; IeeeMode: 1
; LDSByteSize: 11264 bytes/workgroup (compile time only)
; SGPRBlocks: 5
; VGPRBlocks: 6
; NumSGPRsForWavesPerEU: 42
; NumVGPRsForWavesPerEU: 50
; Occupancy: 16
; WaveLimiterHint : 1
; COMPUTE_PGM_RSRC2:SCRATCH_EN: 0
; COMPUTE_PGM_RSRC2:USER_SGPR: 15
; COMPUTE_PGM_RSRC2:TRAP_HANDLER: 0
; COMPUTE_PGM_RSRC2:TGID_X_EN: 1
; COMPUTE_PGM_RSRC2:TGID_Y_EN: 0
; COMPUTE_PGM_RSRC2:TGID_Z_EN: 0
; COMPUTE_PGM_RSRC2:TIDIG_COMP_CNT: 0
	.section	.text._ZN7rocprim6detail31init_lookback_scan_state_kernelINS0_19lookback_scan_stateINS_5tupleIJsbEEELb1ELb1EEEEEvT_jjPNS6_10value_typeE,"axG",@progbits,_ZN7rocprim6detail31init_lookback_scan_state_kernelINS0_19lookback_scan_stateINS_5tupleIJsbEEELb1ELb1EEEEEvT_jjPNS6_10value_typeE,comdat
	.protected	_ZN7rocprim6detail31init_lookback_scan_state_kernelINS0_19lookback_scan_stateINS_5tupleIJsbEEELb1ELb1EEEEEvT_jjPNS6_10value_typeE ; -- Begin function _ZN7rocprim6detail31init_lookback_scan_state_kernelINS0_19lookback_scan_stateINS_5tupleIJsbEEELb1ELb1EEEEEvT_jjPNS6_10value_typeE
	.globl	_ZN7rocprim6detail31init_lookback_scan_state_kernelINS0_19lookback_scan_stateINS_5tupleIJsbEEELb1ELb1EEEEEvT_jjPNS6_10value_typeE
	.p2align	8
	.type	_ZN7rocprim6detail31init_lookback_scan_state_kernelINS0_19lookback_scan_stateINS_5tupleIJsbEEELb1ELb1EEEEEvT_jjPNS6_10value_typeE,@function
_ZN7rocprim6detail31init_lookback_scan_state_kernelINS0_19lookback_scan_stateINS_5tupleIJsbEEELb1ELb1EEEEEvT_jjPNS6_10value_typeE: ; @_ZN7rocprim6detail31init_lookback_scan_state_kernelINS0_19lookback_scan_stateINS_5tupleIJsbEEELb1ELb1EEEEEvT_jjPNS6_10value_typeE
; %bb.0:
	s_clause 0x2
	s_load_b32 s6, s[0:1], 0x24
	s_load_b64 s[4:5], s[0:1], 0x10
	s_load_b128 s[0:3], s[0:1], 0x0
	s_waitcnt lgkmcnt(0)
	s_and_b32 s6, s6, 0xffff
	s_cmp_eq_u64 s[4:5], 0
	v_mad_u64_u32 v[1:2], null, s15, s6, v[0:1]
	s_cbranch_scc1 .LBB59_9
; %bb.1:
	s_cmp_lt_u32 s3, s2
	s_mov_b32 s7, 0
	s_cselect_b32 s6, s3, 0
	s_mov_b32 s8, exec_lo
	s_delay_alu instid0(VALU_DEP_1)
	v_cmpx_eq_u32_e64 s6, v1
	s_cbranch_execz .LBB59_8
; %bb.2:
	s_add_i32 s6, s3, 32
	v_mov_b32_e32 v2, 0
	s_lshl_b64 s[6:7], s[6:7], 3
	s_delay_alu instid0(SALU_CYCLE_1) | instskip(SKIP_4) | instid1(VALU_DEP_1)
	s_add_u32 s6, s0, s6
	s_addc_u32 s7, s1, s7
	global_load_b64 v[4:5], v2, s[6:7] glc
	s_waitcnt vmcnt(0)
	v_and_b32_e32 v3, 0xff, v5
	v_cmp_ne_u64_e32 vcc_lo, 0, v[2:3]
	s_cbranch_vccnz .LBB59_7
; %bb.3:
	s_mov_b32 s3, 1
.LBB59_4:                               ; =>This Loop Header: Depth=1
                                        ;     Child Loop BB59_5 Depth 2
	s_delay_alu instid0(SALU_CYCLE_1)
	s_max_u32 s9, s3, 1
.LBB59_5:                               ;   Parent Loop BB59_4 Depth=1
                                        ; =>  This Inner Loop Header: Depth=2
	s_delay_alu instid0(SALU_CYCLE_1)
	s_add_i32 s9, s9, -1
	s_sleep 1
	s_cmp_eq_u32 s9, 0
	s_cbranch_scc0 .LBB59_5
; %bb.6:                                ;   in Loop: Header=BB59_4 Depth=1
	global_load_b64 v[4:5], v2, s[6:7] glc
	s_cmp_lt_u32 s3, 32
	s_cselect_b32 s9, -1, 0
	s_delay_alu instid0(SALU_CYCLE_1) | instskip(SKIP_3) | instid1(VALU_DEP_1)
	s_cmp_lg_u32 s9, 0
	s_addc_u32 s3, s3, 0
	s_waitcnt vmcnt(0)
	v_and_b32_e32 v3, 0xff, v5
	v_cmp_ne_u64_e32 vcc_lo, 0, v[2:3]
	s_cbranch_vccz .LBB59_4
.LBB59_7:
	v_mov_b32_e32 v0, 0
	s_clause 0x1
	global_store_b16 v0, v4, s[4:5]
	global_store_d16_hi_b8 v0, v4, s[4:5] offset:2
.LBB59_8:
	s_or_b32 exec_lo, exec_lo, s8
.LBB59_9:
	s_delay_alu instid0(VALU_DEP_1)
	v_cmp_gt_u32_e32 vcc_lo, s2, v1
	s_and_saveexec_b32 s2, vcc_lo
	s_cbranch_execz .LBB59_11
; %bb.10:
	v_dual_mov_b32 v3, 0 :: v_dual_add_nc_u32 v2, 32, v1
	s_delay_alu instid0(VALU_DEP_1) | instskip(SKIP_1) | instid1(VALU_DEP_2)
	v_lshlrev_b64 v[4:5], 3, v[2:3]
	v_mov_b32_e32 v2, v3
	v_add_co_u32 v4, vcc_lo, s0, v4
	s_delay_alu instid0(VALU_DEP_3)
	v_add_co_ci_u32_e32 v5, vcc_lo, s1, v5, vcc_lo
	global_store_b64 v[4:5], v[2:3], off
.LBB59_11:
	s_or_b32 exec_lo, exec_lo, s2
	s_delay_alu instid0(SALU_CYCLE_1)
	s_mov_b32 s2, exec_lo
	v_cmpx_gt_u32_e32 32, v1
	s_cbranch_execz .LBB59_13
; %bb.12:
	v_dual_mov_b32 v2, 0 :: v_dual_mov_b32 v3, 0xff
	s_delay_alu instid0(VALU_DEP_1) | instskip(NEXT) | instid1(VALU_DEP_1)
	v_lshlrev_b64 v[0:1], 3, v[1:2]
	v_add_co_u32 v0, vcc_lo, s0, v0
	s_delay_alu instid0(VALU_DEP_2)
	v_add_co_ci_u32_e32 v1, vcc_lo, s1, v1, vcc_lo
	global_store_b64 v[0:1], v[2:3], off
.LBB59_13:
	s_nop 0
	s_sendmsg sendmsg(MSG_DEALLOC_VGPRS)
	s_endpgm
	.section	.rodata,"a",@progbits
	.p2align	6, 0x0
	.amdhsa_kernel _ZN7rocprim6detail31init_lookback_scan_state_kernelINS0_19lookback_scan_stateINS_5tupleIJsbEEELb1ELb1EEEEEvT_jjPNS6_10value_typeE
		.amdhsa_group_segment_fixed_size 0
		.amdhsa_private_segment_fixed_size 0
		.amdhsa_kernarg_size 280
		.amdhsa_user_sgpr_count 15
		.amdhsa_user_sgpr_dispatch_ptr 0
		.amdhsa_user_sgpr_queue_ptr 0
		.amdhsa_user_sgpr_kernarg_segment_ptr 1
		.amdhsa_user_sgpr_dispatch_id 0
		.amdhsa_user_sgpr_private_segment_size 0
		.amdhsa_wavefront_size32 1
		.amdhsa_uses_dynamic_stack 0
		.amdhsa_enable_private_segment 0
		.amdhsa_system_sgpr_workgroup_id_x 1
		.amdhsa_system_sgpr_workgroup_id_y 0
		.amdhsa_system_sgpr_workgroup_id_z 0
		.amdhsa_system_sgpr_workgroup_info 0
		.amdhsa_system_vgpr_workitem_id 0
		.amdhsa_next_free_vgpr 6
		.amdhsa_next_free_sgpr 16
		.amdhsa_reserve_vcc 1
		.amdhsa_float_round_mode_32 0
		.amdhsa_float_round_mode_16_64 0
		.amdhsa_float_denorm_mode_32 3
		.amdhsa_float_denorm_mode_16_64 3
		.amdhsa_dx10_clamp 1
		.amdhsa_ieee_mode 1
		.amdhsa_fp16_overflow 0
		.amdhsa_workgroup_processor_mode 1
		.amdhsa_memory_ordered 1
		.amdhsa_forward_progress 0
		.amdhsa_shared_vgpr_count 0
		.amdhsa_exception_fp_ieee_invalid_op 0
		.amdhsa_exception_fp_denorm_src 0
		.amdhsa_exception_fp_ieee_div_zero 0
		.amdhsa_exception_fp_ieee_overflow 0
		.amdhsa_exception_fp_ieee_underflow 0
		.amdhsa_exception_fp_ieee_inexact 0
		.amdhsa_exception_int_div_zero 0
	.end_amdhsa_kernel
	.section	.text._ZN7rocprim6detail31init_lookback_scan_state_kernelINS0_19lookback_scan_stateINS_5tupleIJsbEEELb1ELb1EEEEEvT_jjPNS6_10value_typeE,"axG",@progbits,_ZN7rocprim6detail31init_lookback_scan_state_kernelINS0_19lookback_scan_stateINS_5tupleIJsbEEELb1ELb1EEEEEvT_jjPNS6_10value_typeE,comdat
.Lfunc_end59:
	.size	_ZN7rocprim6detail31init_lookback_scan_state_kernelINS0_19lookback_scan_stateINS_5tupleIJsbEEELb1ELb1EEEEEvT_jjPNS6_10value_typeE, .Lfunc_end59-_ZN7rocprim6detail31init_lookback_scan_state_kernelINS0_19lookback_scan_stateINS_5tupleIJsbEEELb1ELb1EEEEEvT_jjPNS6_10value_typeE
                                        ; -- End function
	.section	.AMDGPU.csdata,"",@progbits
; Kernel info:
; codeLenInByte = 392
; NumSgprs: 18
; NumVgprs: 6
; ScratchSize: 0
; MemoryBound: 0
; FloatMode: 240
; IeeeMode: 1
; LDSByteSize: 0 bytes/workgroup (compile time only)
; SGPRBlocks: 2
; VGPRBlocks: 0
; NumSGPRsForWavesPerEU: 18
; NumVGPRsForWavesPerEU: 6
; Occupancy: 16
; WaveLimiterHint : 0
; COMPUTE_PGM_RSRC2:SCRATCH_EN: 0
; COMPUTE_PGM_RSRC2:USER_SGPR: 15
; COMPUTE_PGM_RSRC2:TRAP_HANDLER: 0
; COMPUTE_PGM_RSRC2:TGID_X_EN: 1
; COMPUTE_PGM_RSRC2:TGID_Y_EN: 0
; COMPUTE_PGM_RSRC2:TGID_Z_EN: 0
; COMPUTE_PGM_RSRC2:TIDIG_COMP_CNT: 0
	.section	.text._ZN7rocprim6detail31init_lookback_scan_state_kernelINS0_19lookback_scan_stateINS_5tupleIJsbEEELb0ELb1EEEEEvT_jjPNS6_10value_typeE,"axG",@progbits,_ZN7rocprim6detail31init_lookback_scan_state_kernelINS0_19lookback_scan_stateINS_5tupleIJsbEEELb0ELb1EEEEEvT_jjPNS6_10value_typeE,comdat
	.protected	_ZN7rocprim6detail31init_lookback_scan_state_kernelINS0_19lookback_scan_stateINS_5tupleIJsbEEELb0ELb1EEEEEvT_jjPNS6_10value_typeE ; -- Begin function _ZN7rocprim6detail31init_lookback_scan_state_kernelINS0_19lookback_scan_stateINS_5tupleIJsbEEELb0ELb1EEEEEvT_jjPNS6_10value_typeE
	.globl	_ZN7rocprim6detail31init_lookback_scan_state_kernelINS0_19lookback_scan_stateINS_5tupleIJsbEEELb0ELb1EEEEEvT_jjPNS6_10value_typeE
	.p2align	8
	.type	_ZN7rocprim6detail31init_lookback_scan_state_kernelINS0_19lookback_scan_stateINS_5tupleIJsbEEELb0ELb1EEEEEvT_jjPNS6_10value_typeE,@function
_ZN7rocprim6detail31init_lookback_scan_state_kernelINS0_19lookback_scan_stateINS_5tupleIJsbEEELb0ELb1EEEEEvT_jjPNS6_10value_typeE: ; @_ZN7rocprim6detail31init_lookback_scan_state_kernelINS0_19lookback_scan_stateINS_5tupleIJsbEEELb0ELb1EEEEEvT_jjPNS6_10value_typeE
; %bb.0:
	s_clause 0x2
	s_load_b32 s6, s[0:1], 0x24
	s_load_b64 s[4:5], s[0:1], 0x10
	s_load_b128 s[0:3], s[0:1], 0x0
	s_waitcnt lgkmcnt(0)
	s_and_b32 s6, s6, 0xffff
	s_cmp_eq_u64 s[4:5], 0
	v_mad_u64_u32 v[1:2], null, s15, s6, v[0:1]
	s_cbranch_scc1 .LBB60_6
; %bb.1:
	s_cmp_lt_u32 s3, s2
	s_mov_b32 s7, 0
	s_cselect_b32 s6, s3, 0
	s_mov_b32 s8, exec_lo
	s_delay_alu instid0(VALU_DEP_1)
	v_cmpx_eq_u32_e64 s6, v1
	s_cbranch_execz .LBB60_5
; %bb.2:
	s_add_i32 s6, s3, 32
	v_mov_b32_e32 v4, 0
	s_lshl_b64 s[6:7], s[6:7], 3
	s_delay_alu instid0(SALU_CYCLE_1) | instskip(SKIP_4) | instid1(VALU_DEP_1)
	s_add_u32 s6, s0, s6
	s_addc_u32 s7, s1, s7
	global_load_b64 v[2:3], v4, s[6:7] glc
	s_waitcnt vmcnt(0)
	v_and_b32_e32 v5, 0xff, v3
	v_cmp_ne_u64_e32 vcc_lo, 0, v[4:5]
	s_cbranch_vccnz .LBB60_4
.LBB60_3:                               ; =>This Inner Loop Header: Depth=1
	global_load_b64 v[2:3], v4, s[6:7] glc
	s_waitcnt vmcnt(0)
	v_and_b32_e32 v5, 0xff, v3
	s_delay_alu instid0(VALU_DEP_1)
	v_cmp_eq_u64_e32 vcc_lo, 0, v[4:5]
	s_cbranch_vccnz .LBB60_3
.LBB60_4:
	v_mov_b32_e32 v0, 0
	s_clause 0x1
	global_store_b16 v0, v2, s[4:5]
	global_store_d16_hi_b8 v0, v2, s[4:5] offset:2
.LBB60_5:
	s_or_b32 exec_lo, exec_lo, s8
.LBB60_6:
	s_delay_alu instid0(VALU_DEP_1)
	v_cmp_gt_u32_e32 vcc_lo, s2, v1
	s_and_saveexec_b32 s2, vcc_lo
	s_cbranch_execz .LBB60_8
; %bb.7:
	v_dual_mov_b32 v3, 0 :: v_dual_add_nc_u32 v2, 32, v1
	s_delay_alu instid0(VALU_DEP_1) | instskip(SKIP_1) | instid1(VALU_DEP_2)
	v_lshlrev_b64 v[4:5], 3, v[2:3]
	v_mov_b32_e32 v2, v3
	v_add_co_u32 v4, vcc_lo, s0, v4
	s_delay_alu instid0(VALU_DEP_3)
	v_add_co_ci_u32_e32 v5, vcc_lo, s1, v5, vcc_lo
	global_store_b64 v[4:5], v[2:3], off
.LBB60_8:
	s_or_b32 exec_lo, exec_lo, s2
	s_delay_alu instid0(SALU_CYCLE_1)
	s_mov_b32 s2, exec_lo
	v_cmpx_gt_u32_e32 32, v1
	s_cbranch_execz .LBB60_10
; %bb.9:
	v_dual_mov_b32 v2, 0 :: v_dual_mov_b32 v3, 0xff
	s_delay_alu instid0(VALU_DEP_1) | instskip(NEXT) | instid1(VALU_DEP_1)
	v_lshlrev_b64 v[0:1], 3, v[1:2]
	v_add_co_u32 v0, vcc_lo, s0, v0
	s_delay_alu instid0(VALU_DEP_2)
	v_add_co_ci_u32_e32 v1, vcc_lo, s1, v1, vcc_lo
	global_store_b64 v[0:1], v[2:3], off
.LBB60_10:
	s_nop 0
	s_sendmsg sendmsg(MSG_DEALLOC_VGPRS)
	s_endpgm
	.section	.rodata,"a",@progbits
	.p2align	6, 0x0
	.amdhsa_kernel _ZN7rocprim6detail31init_lookback_scan_state_kernelINS0_19lookback_scan_stateINS_5tupleIJsbEEELb0ELb1EEEEEvT_jjPNS6_10value_typeE
		.amdhsa_group_segment_fixed_size 0
		.amdhsa_private_segment_fixed_size 0
		.amdhsa_kernarg_size 280
		.amdhsa_user_sgpr_count 15
		.amdhsa_user_sgpr_dispatch_ptr 0
		.amdhsa_user_sgpr_queue_ptr 0
		.amdhsa_user_sgpr_kernarg_segment_ptr 1
		.amdhsa_user_sgpr_dispatch_id 0
		.amdhsa_user_sgpr_private_segment_size 0
		.amdhsa_wavefront_size32 1
		.amdhsa_uses_dynamic_stack 0
		.amdhsa_enable_private_segment 0
		.amdhsa_system_sgpr_workgroup_id_x 1
		.amdhsa_system_sgpr_workgroup_id_y 0
		.amdhsa_system_sgpr_workgroup_id_z 0
		.amdhsa_system_sgpr_workgroup_info 0
		.amdhsa_system_vgpr_workitem_id 0
		.amdhsa_next_free_vgpr 6
		.amdhsa_next_free_sgpr 16
		.amdhsa_reserve_vcc 1
		.amdhsa_float_round_mode_32 0
		.amdhsa_float_round_mode_16_64 0
		.amdhsa_float_denorm_mode_32 3
		.amdhsa_float_denorm_mode_16_64 3
		.amdhsa_dx10_clamp 1
		.amdhsa_ieee_mode 1
		.amdhsa_fp16_overflow 0
		.amdhsa_workgroup_processor_mode 1
		.amdhsa_memory_ordered 1
		.amdhsa_forward_progress 0
		.amdhsa_shared_vgpr_count 0
		.amdhsa_exception_fp_ieee_invalid_op 0
		.amdhsa_exception_fp_denorm_src 0
		.amdhsa_exception_fp_ieee_div_zero 0
		.amdhsa_exception_fp_ieee_overflow 0
		.amdhsa_exception_fp_ieee_underflow 0
		.amdhsa_exception_fp_ieee_inexact 0
		.amdhsa_exception_int_div_zero 0
	.end_amdhsa_kernel
	.section	.text._ZN7rocprim6detail31init_lookback_scan_state_kernelINS0_19lookback_scan_stateINS_5tupleIJsbEEELb0ELb1EEEEEvT_jjPNS6_10value_typeE,"axG",@progbits,_ZN7rocprim6detail31init_lookback_scan_state_kernelINS0_19lookback_scan_stateINS_5tupleIJsbEEELb0ELb1EEEEEvT_jjPNS6_10value_typeE,comdat
.Lfunc_end60:
	.size	_ZN7rocprim6detail31init_lookback_scan_state_kernelINS0_19lookback_scan_stateINS_5tupleIJsbEEELb0ELb1EEEEEvT_jjPNS6_10value_typeE, .Lfunc_end60-_ZN7rocprim6detail31init_lookback_scan_state_kernelINS0_19lookback_scan_stateINS_5tupleIJsbEEELb0ELb1EEEEEvT_jjPNS6_10value_typeE
                                        ; -- End function
	.section	.AMDGPU.csdata,"",@progbits
; Kernel info:
; codeLenInByte = 344
; NumSgprs: 18
; NumVgprs: 6
; ScratchSize: 0
; MemoryBound: 0
; FloatMode: 240
; IeeeMode: 1
; LDSByteSize: 0 bytes/workgroup (compile time only)
; SGPRBlocks: 2
; VGPRBlocks: 0
; NumSGPRsForWavesPerEU: 18
; NumVGPRsForWavesPerEU: 6
; Occupancy: 16
; WaveLimiterHint : 0
; COMPUTE_PGM_RSRC2:SCRATCH_EN: 0
; COMPUTE_PGM_RSRC2:USER_SGPR: 15
; COMPUTE_PGM_RSRC2:TRAP_HANDLER: 0
; COMPUTE_PGM_RSRC2:TGID_X_EN: 1
; COMPUTE_PGM_RSRC2:TGID_Y_EN: 0
; COMPUTE_PGM_RSRC2:TGID_Z_EN: 0
; COMPUTE_PGM_RSRC2:TIDIG_COMP_CNT: 0
	.section	.text._ZN7rocprim6detail25device_scan_by_key_kernelILNS0_25lookback_scan_determinismE0ELb0ENS0_26wrapped_scan_by_key_configINS_14default_configEisEEPiN6hipcub22TransformInputIteratorIsNS7_6CastOpIsEEPslEEPfsNS7_8EqualityENS7_3MaxENS0_19lookback_scan_stateINS_5tupleIJsbEEELb1ELb1EEEsEEvT2_T3_T4_T5_T6_T7_T8_mmmPKNSH_IJT9_bEEE,"axG",@progbits,_ZN7rocprim6detail25device_scan_by_key_kernelILNS0_25lookback_scan_determinismE0ELb0ENS0_26wrapped_scan_by_key_configINS_14default_configEisEEPiN6hipcub22TransformInputIteratorIsNS7_6CastOpIsEEPslEEPfsNS7_8EqualityENS7_3MaxENS0_19lookback_scan_stateINS_5tupleIJsbEEELb1ELb1EEEsEEvT2_T3_T4_T5_T6_T7_T8_mmmPKNSH_IJT9_bEEE,comdat
	.protected	_ZN7rocprim6detail25device_scan_by_key_kernelILNS0_25lookback_scan_determinismE0ELb0ENS0_26wrapped_scan_by_key_configINS_14default_configEisEEPiN6hipcub22TransformInputIteratorIsNS7_6CastOpIsEEPslEEPfsNS7_8EqualityENS7_3MaxENS0_19lookback_scan_stateINS_5tupleIJsbEEELb1ELb1EEEsEEvT2_T3_T4_T5_T6_T7_T8_mmmPKNSH_IJT9_bEEE ; -- Begin function _ZN7rocprim6detail25device_scan_by_key_kernelILNS0_25lookback_scan_determinismE0ELb0ENS0_26wrapped_scan_by_key_configINS_14default_configEisEEPiN6hipcub22TransformInputIteratorIsNS7_6CastOpIsEEPslEEPfsNS7_8EqualityENS7_3MaxENS0_19lookback_scan_stateINS_5tupleIJsbEEELb1ELb1EEEsEEvT2_T3_T4_T5_T6_T7_T8_mmmPKNSH_IJT9_bEEE
	.globl	_ZN7rocprim6detail25device_scan_by_key_kernelILNS0_25lookback_scan_determinismE0ELb0ENS0_26wrapped_scan_by_key_configINS_14default_configEisEEPiN6hipcub22TransformInputIteratorIsNS7_6CastOpIsEEPslEEPfsNS7_8EqualityENS7_3MaxENS0_19lookback_scan_stateINS_5tupleIJsbEEELb1ELb1EEEsEEvT2_T3_T4_T5_T6_T7_T8_mmmPKNSH_IJT9_bEEE
	.p2align	8
	.type	_ZN7rocprim6detail25device_scan_by_key_kernelILNS0_25lookback_scan_determinismE0ELb0ENS0_26wrapped_scan_by_key_configINS_14default_configEisEEPiN6hipcub22TransformInputIteratorIsNS7_6CastOpIsEEPslEEPfsNS7_8EqualityENS7_3MaxENS0_19lookback_scan_stateINS_5tupleIJsbEEELb1ELb1EEEsEEvT2_T3_T4_T5_T6_T7_T8_mmmPKNSH_IJT9_bEEE,@function
_ZN7rocprim6detail25device_scan_by_key_kernelILNS0_25lookback_scan_determinismE0ELb0ENS0_26wrapped_scan_by_key_configINS_14default_configEisEEPiN6hipcub22TransformInputIteratorIsNS7_6CastOpIsEEPslEEPfsNS7_8EqualityENS7_3MaxENS0_19lookback_scan_stateINS_5tupleIJsbEEELb1ELb1EEEsEEvT2_T3_T4_T5_T6_T7_T8_mmmPKNSH_IJT9_bEEE: ; @_ZN7rocprim6detail25device_scan_by_key_kernelILNS0_25lookback_scan_determinismE0ELb0ENS0_26wrapped_scan_by_key_configINS_14default_configEisEEPiN6hipcub22TransformInputIteratorIsNS7_6CastOpIsEEPslEEPfsNS7_8EqualityENS7_3MaxENS0_19lookback_scan_stateINS_5tupleIJsbEEELb1ELb1EEEsEEvT2_T3_T4_T5_T6_T7_T8_mmmPKNSH_IJT9_bEEE
; %bb.0:
	s_endpgm
	.section	.rodata,"a",@progbits
	.p2align	6, 0x0
	.amdhsa_kernel _ZN7rocprim6detail25device_scan_by_key_kernelILNS0_25lookback_scan_determinismE0ELb0ENS0_26wrapped_scan_by_key_configINS_14default_configEisEEPiN6hipcub22TransformInputIteratorIsNS7_6CastOpIsEEPslEEPfsNS7_8EqualityENS7_3MaxENS0_19lookback_scan_stateINS_5tupleIJsbEEELb1ELb1EEEsEEvT2_T3_T4_T5_T6_T7_T8_mmmPKNSH_IJT9_bEEE
		.amdhsa_group_segment_fixed_size 0
		.amdhsa_private_segment_fixed_size 0
		.amdhsa_kernarg_size 80
		.amdhsa_user_sgpr_count 15
		.amdhsa_user_sgpr_dispatch_ptr 0
		.amdhsa_user_sgpr_queue_ptr 0
		.amdhsa_user_sgpr_kernarg_segment_ptr 1
		.amdhsa_user_sgpr_dispatch_id 0
		.amdhsa_user_sgpr_private_segment_size 0
		.amdhsa_wavefront_size32 1
		.amdhsa_uses_dynamic_stack 0
		.amdhsa_enable_private_segment 0
		.amdhsa_system_sgpr_workgroup_id_x 1
		.amdhsa_system_sgpr_workgroup_id_y 0
		.amdhsa_system_sgpr_workgroup_id_z 0
		.amdhsa_system_sgpr_workgroup_info 0
		.amdhsa_system_vgpr_workitem_id 0
		.amdhsa_next_free_vgpr 1
		.amdhsa_next_free_sgpr 1
		.amdhsa_reserve_vcc 0
		.amdhsa_float_round_mode_32 0
		.amdhsa_float_round_mode_16_64 0
		.amdhsa_float_denorm_mode_32 3
		.amdhsa_float_denorm_mode_16_64 3
		.amdhsa_dx10_clamp 1
		.amdhsa_ieee_mode 1
		.amdhsa_fp16_overflow 0
		.amdhsa_workgroup_processor_mode 1
		.amdhsa_memory_ordered 1
		.amdhsa_forward_progress 0
		.amdhsa_shared_vgpr_count 0
		.amdhsa_exception_fp_ieee_invalid_op 0
		.amdhsa_exception_fp_denorm_src 0
		.amdhsa_exception_fp_ieee_div_zero 0
		.amdhsa_exception_fp_ieee_overflow 0
		.amdhsa_exception_fp_ieee_underflow 0
		.amdhsa_exception_fp_ieee_inexact 0
		.amdhsa_exception_int_div_zero 0
	.end_amdhsa_kernel
	.section	.text._ZN7rocprim6detail25device_scan_by_key_kernelILNS0_25lookback_scan_determinismE0ELb0ENS0_26wrapped_scan_by_key_configINS_14default_configEisEEPiN6hipcub22TransformInputIteratorIsNS7_6CastOpIsEEPslEEPfsNS7_8EqualityENS7_3MaxENS0_19lookback_scan_stateINS_5tupleIJsbEEELb1ELb1EEEsEEvT2_T3_T4_T5_T6_T7_T8_mmmPKNSH_IJT9_bEEE,"axG",@progbits,_ZN7rocprim6detail25device_scan_by_key_kernelILNS0_25lookback_scan_determinismE0ELb0ENS0_26wrapped_scan_by_key_configINS_14default_configEisEEPiN6hipcub22TransformInputIteratorIsNS7_6CastOpIsEEPslEEPfsNS7_8EqualityENS7_3MaxENS0_19lookback_scan_stateINS_5tupleIJsbEEELb1ELb1EEEsEEvT2_T3_T4_T5_T6_T7_T8_mmmPKNSH_IJT9_bEEE,comdat
.Lfunc_end61:
	.size	_ZN7rocprim6detail25device_scan_by_key_kernelILNS0_25lookback_scan_determinismE0ELb0ENS0_26wrapped_scan_by_key_configINS_14default_configEisEEPiN6hipcub22TransformInputIteratorIsNS7_6CastOpIsEEPslEEPfsNS7_8EqualityENS7_3MaxENS0_19lookback_scan_stateINS_5tupleIJsbEEELb1ELb1EEEsEEvT2_T3_T4_T5_T6_T7_T8_mmmPKNSH_IJT9_bEEE, .Lfunc_end61-_ZN7rocprim6detail25device_scan_by_key_kernelILNS0_25lookback_scan_determinismE0ELb0ENS0_26wrapped_scan_by_key_configINS_14default_configEisEEPiN6hipcub22TransformInputIteratorIsNS7_6CastOpIsEEPslEEPfsNS7_8EqualityENS7_3MaxENS0_19lookback_scan_stateINS_5tupleIJsbEEELb1ELb1EEEsEEvT2_T3_T4_T5_T6_T7_T8_mmmPKNSH_IJT9_bEEE
                                        ; -- End function
	.section	.AMDGPU.csdata,"",@progbits
; Kernel info:
; codeLenInByte = 4
; NumSgprs: 0
; NumVgprs: 0
; ScratchSize: 0
; MemoryBound: 0
; FloatMode: 240
; IeeeMode: 1
; LDSByteSize: 0 bytes/workgroup (compile time only)
; SGPRBlocks: 0
; VGPRBlocks: 0
; NumSGPRsForWavesPerEU: 1
; NumVGPRsForWavesPerEU: 1
; Occupancy: 16
; WaveLimiterHint : 0
; COMPUTE_PGM_RSRC2:SCRATCH_EN: 0
; COMPUTE_PGM_RSRC2:USER_SGPR: 15
; COMPUTE_PGM_RSRC2:TRAP_HANDLER: 0
; COMPUTE_PGM_RSRC2:TGID_X_EN: 1
; COMPUTE_PGM_RSRC2:TGID_Y_EN: 0
; COMPUTE_PGM_RSRC2:TGID_Z_EN: 0
; COMPUTE_PGM_RSRC2:TIDIG_COMP_CNT: 0
	.section	.text._ZN7rocprim6detail25device_scan_by_key_kernelILNS0_25lookback_scan_determinismE0ELb0ENS0_26wrapped_scan_by_key_configINS_14default_configEisEEPiN6hipcub22TransformInputIteratorIsNS7_6CastOpIsEEPslEEPfsNS7_8EqualityENS7_3MaxENS0_19lookback_scan_stateINS_5tupleIJsbEEELb0ELb1EEEsEEvT2_T3_T4_T5_T6_T7_T8_mmmPKNSH_IJT9_bEEE,"axG",@progbits,_ZN7rocprim6detail25device_scan_by_key_kernelILNS0_25lookback_scan_determinismE0ELb0ENS0_26wrapped_scan_by_key_configINS_14default_configEisEEPiN6hipcub22TransformInputIteratorIsNS7_6CastOpIsEEPslEEPfsNS7_8EqualityENS7_3MaxENS0_19lookback_scan_stateINS_5tupleIJsbEEELb0ELb1EEEsEEvT2_T3_T4_T5_T6_T7_T8_mmmPKNSH_IJT9_bEEE,comdat
	.protected	_ZN7rocprim6detail25device_scan_by_key_kernelILNS0_25lookback_scan_determinismE0ELb0ENS0_26wrapped_scan_by_key_configINS_14default_configEisEEPiN6hipcub22TransformInputIteratorIsNS7_6CastOpIsEEPslEEPfsNS7_8EqualityENS7_3MaxENS0_19lookback_scan_stateINS_5tupleIJsbEEELb0ELb1EEEsEEvT2_T3_T4_T5_T6_T7_T8_mmmPKNSH_IJT9_bEEE ; -- Begin function _ZN7rocprim6detail25device_scan_by_key_kernelILNS0_25lookback_scan_determinismE0ELb0ENS0_26wrapped_scan_by_key_configINS_14default_configEisEEPiN6hipcub22TransformInputIteratorIsNS7_6CastOpIsEEPslEEPfsNS7_8EqualityENS7_3MaxENS0_19lookback_scan_stateINS_5tupleIJsbEEELb0ELb1EEEsEEvT2_T3_T4_T5_T6_T7_T8_mmmPKNSH_IJT9_bEEE
	.globl	_ZN7rocprim6detail25device_scan_by_key_kernelILNS0_25lookback_scan_determinismE0ELb0ENS0_26wrapped_scan_by_key_configINS_14default_configEisEEPiN6hipcub22TransformInputIteratorIsNS7_6CastOpIsEEPslEEPfsNS7_8EqualityENS7_3MaxENS0_19lookback_scan_stateINS_5tupleIJsbEEELb0ELb1EEEsEEvT2_T3_T4_T5_T6_T7_T8_mmmPKNSH_IJT9_bEEE
	.p2align	8
	.type	_ZN7rocprim6detail25device_scan_by_key_kernelILNS0_25lookback_scan_determinismE0ELb0ENS0_26wrapped_scan_by_key_configINS_14default_configEisEEPiN6hipcub22TransformInputIteratorIsNS7_6CastOpIsEEPslEEPfsNS7_8EqualityENS7_3MaxENS0_19lookback_scan_stateINS_5tupleIJsbEEELb0ELb1EEEsEEvT2_T3_T4_T5_T6_T7_T8_mmmPKNSH_IJT9_bEEE,@function
_ZN7rocprim6detail25device_scan_by_key_kernelILNS0_25lookback_scan_determinismE0ELb0ENS0_26wrapped_scan_by_key_configINS_14default_configEisEEPiN6hipcub22TransformInputIteratorIsNS7_6CastOpIsEEPslEEPfsNS7_8EqualityENS7_3MaxENS0_19lookback_scan_stateINS_5tupleIJsbEEELb0ELb1EEEsEEvT2_T3_T4_T5_T6_T7_T8_mmmPKNSH_IJT9_bEEE: ; @_ZN7rocprim6detail25device_scan_by_key_kernelILNS0_25lookback_scan_determinismE0ELb0ENS0_26wrapped_scan_by_key_configINS_14default_configEisEEPiN6hipcub22TransformInputIteratorIsNS7_6CastOpIsEEPslEEPfsNS7_8EqualityENS7_3MaxENS0_19lookback_scan_stateINS_5tupleIJsbEEELb0ELb1EEEsEEvT2_T3_T4_T5_T6_T7_T8_mmmPKNSH_IJT9_bEEE
; %bb.0:
	s_clause 0x1
	s_load_b128 s[4:7], s[0:1], 0x0
	s_load_b256 s[36:43], s[0:1], 0x28
	s_mov_b32 s3, 0
	s_mul_i32 s2, s15, 0x580
	s_load_b64 s[30:31], s[0:1], 0x48
	s_lshl_b64 s[28:29], s[2:3], 2
	v_lshlrev_b32_e32 v27, 2, v0
	s_waitcnt lgkmcnt(0)
	s_add_u32 s34, s4, s28
	s_addc_u32 s35, s5, s29
	s_lshl_b64 s[4:5], s[2:3], 1
	s_delay_alu instid0(SALU_CYCLE_1)
	s_add_u32 s26, s6, s4
	s_addc_u32 s27, s7, s5
	s_add_u32 s4, s15, s40
	s_addc_u32 s5, 0, s41
	s_add_u32 s6, s42, -1
	s_addc_u32 s7, s43, -1
	s_mul_i32 s33, s6, 0xfffffa80
	v_cmp_ge_u64_e64 s39, s[4:5], s[6:7]
	s_delay_alu instid0(VALU_DEP_1)
	s_and_b32 vcc_lo, exec_lo, s39
	s_cbranch_vccz .LBB62_114
; %bb.1:
	s_load_b32 s24, s[34:35], 0x0
	s_add_i32 s25, s33, s38
	v_add_co_u32 v1, s2, s34, v27
	s_delay_alu instid0(VALU_DEP_1)
	v_add_co_ci_u32_e64 v2, null, s35, 0, s2
	v_cmp_gt_u32_e32 vcc_lo, s25, v0
	s_waitcnt lgkmcnt(0)
	v_mov_b32_e32 v3, s24
	s_and_saveexec_b32 s2, vcc_lo
	s_cbranch_execz .LBB62_3
; %bb.2:
	global_load_b32 v3, v[1:2], off
.LBB62_3:
	s_or_b32 exec_lo, exec_lo, s2
	v_or_b32_e32 v4, 64, v0
	s_delay_alu instid0(VALU_DEP_1) | instskip(SKIP_1) | instid1(VALU_DEP_2)
	v_cmp_gt_u32_e64 s2, s25, v4
	v_mov_b32_e32 v4, s24
	s_and_saveexec_b32 s3, s2
	s_cbranch_execz .LBB62_5
; %bb.4:
	global_load_b32 v4, v[1:2], off offset:256
.LBB62_5:
	s_or_b32 exec_lo, exec_lo, s3
	v_or_b32_e32 v5, 0x80, v0
	s_delay_alu instid0(VALU_DEP_1) | instskip(SKIP_1) | instid1(VALU_DEP_2)
	v_cmp_gt_u32_e64 s3, s25, v5
	v_mov_b32_e32 v5, s24
	s_and_saveexec_b32 s4, s3
	s_cbranch_execz .LBB62_7
; %bb.6:
	global_load_b32 v5, v[1:2], off offset:512
.LBB62_7:
	s_or_b32 exec_lo, exec_lo, s4
	v_or_b32_e32 v6, 0xc0, v0
	s_delay_alu instid0(VALU_DEP_1) | instskip(SKIP_1) | instid1(VALU_DEP_2)
	v_cmp_gt_u32_e64 s4, s25, v6
	v_mov_b32_e32 v6, s24
	s_and_saveexec_b32 s5, s4
	s_cbranch_execz .LBB62_9
; %bb.8:
	global_load_b32 v6, v[1:2], off offset:768
.LBB62_9:
	s_or_b32 exec_lo, exec_lo, s5
	v_or_b32_e32 v7, 0x100, v0
	s_delay_alu instid0(VALU_DEP_1) | instskip(SKIP_1) | instid1(VALU_DEP_2)
	v_cmp_gt_u32_e64 s5, s25, v7
	v_mov_b32_e32 v7, s24
	s_and_saveexec_b32 s6, s5
	s_cbranch_execz .LBB62_11
; %bb.10:
	global_load_b32 v7, v[1:2], off offset:1024
.LBB62_11:
	s_or_b32 exec_lo, exec_lo, s6
	v_or_b32_e32 v8, 0x140, v0
	s_delay_alu instid0(VALU_DEP_1) | instskip(SKIP_1) | instid1(VALU_DEP_2)
	v_cmp_gt_u32_e64 s6, s25, v8
	v_mov_b32_e32 v8, s24
	s_and_saveexec_b32 s7, s6
	s_cbranch_execz .LBB62_13
; %bb.12:
	global_load_b32 v8, v[1:2], off offset:1280
.LBB62_13:
	s_or_b32 exec_lo, exec_lo, s7
	v_or_b32_e32 v9, 0x180, v0
	s_delay_alu instid0(VALU_DEP_1) | instskip(SKIP_1) | instid1(VALU_DEP_2)
	v_cmp_gt_u32_e64 s7, s25, v9
	v_mov_b32_e32 v9, s24
	s_and_saveexec_b32 s8, s7
	s_cbranch_execz .LBB62_15
; %bb.14:
	global_load_b32 v9, v[1:2], off offset:1536
.LBB62_15:
	s_or_b32 exec_lo, exec_lo, s8
	v_or_b32_e32 v10, 0x1c0, v0
	s_delay_alu instid0(VALU_DEP_1) | instskip(SKIP_1) | instid1(VALU_DEP_2)
	v_cmp_gt_u32_e64 s8, s25, v10
	v_mov_b32_e32 v10, s24
	s_and_saveexec_b32 s9, s8
	s_cbranch_execz .LBB62_17
; %bb.16:
	global_load_b32 v10, v[1:2], off offset:1792
.LBB62_17:
	s_or_b32 exec_lo, exec_lo, s9
	v_or_b32_e32 v11, 0x200, v0
	s_delay_alu instid0(VALU_DEP_1) | instskip(SKIP_1) | instid1(VALU_DEP_2)
	v_cmp_gt_u32_e64 s9, s25, v11
	v_mov_b32_e32 v11, s24
	s_and_saveexec_b32 s10, s9
	s_cbranch_execz .LBB62_19
; %bb.18:
	global_load_b32 v11, v[1:2], off offset:2048
.LBB62_19:
	s_or_b32 exec_lo, exec_lo, s10
	v_or_b32_e32 v12, 0x240, v0
	s_delay_alu instid0(VALU_DEP_1) | instskip(SKIP_1) | instid1(VALU_DEP_2)
	v_cmp_gt_u32_e64 s10, s25, v12
	v_mov_b32_e32 v12, s24
	s_and_saveexec_b32 s11, s10
	s_cbranch_execz .LBB62_21
; %bb.20:
	global_load_b32 v12, v[1:2], off offset:2304
.LBB62_21:
	s_or_b32 exec_lo, exec_lo, s11
	v_or_b32_e32 v13, 0x280, v0
	s_delay_alu instid0(VALU_DEP_1) | instskip(SKIP_1) | instid1(VALU_DEP_2)
	v_cmp_gt_u32_e64 s11, s25, v13
	v_mov_b32_e32 v13, s24
	s_and_saveexec_b32 s12, s11
	s_cbranch_execz .LBB62_23
; %bb.22:
	global_load_b32 v13, v[1:2], off offset:2560
.LBB62_23:
	s_or_b32 exec_lo, exec_lo, s12
	v_or_b32_e32 v14, 0x2c0, v0
	s_delay_alu instid0(VALU_DEP_1) | instskip(SKIP_1) | instid1(VALU_DEP_2)
	v_cmp_gt_u32_e64 s12, s25, v14
	v_mov_b32_e32 v14, s24
	s_and_saveexec_b32 s13, s12
	s_cbranch_execz .LBB62_25
; %bb.24:
	global_load_b32 v14, v[1:2], off offset:2816
.LBB62_25:
	s_or_b32 exec_lo, exec_lo, s13
	v_or_b32_e32 v15, 0x300, v0
	s_delay_alu instid0(VALU_DEP_1) | instskip(SKIP_1) | instid1(VALU_DEP_2)
	v_cmp_gt_u32_e64 s13, s25, v15
	v_mov_b32_e32 v15, s24
	s_and_saveexec_b32 s14, s13
	s_cbranch_execz .LBB62_27
; %bb.26:
	global_load_b32 v15, v[1:2], off offset:3072
.LBB62_27:
	s_or_b32 exec_lo, exec_lo, s14
	v_or_b32_e32 v16, 0x340, v0
	s_delay_alu instid0(VALU_DEP_1) | instskip(SKIP_1) | instid1(VALU_DEP_2)
	v_cmp_gt_u32_e64 s14, s25, v16
	v_mov_b32_e32 v16, s24
	s_and_saveexec_b32 s16, s14
	s_cbranch_execz .LBB62_29
; %bb.28:
	global_load_b32 v16, v[1:2], off offset:3328
.LBB62_29:
	s_or_b32 exec_lo, exec_lo, s16
	v_or_b32_e32 v17, 0x380, v0
	s_delay_alu instid0(VALU_DEP_1) | instskip(SKIP_1) | instid1(VALU_DEP_2)
	v_cmp_gt_u32_e64 s16, s25, v17
	v_mov_b32_e32 v17, s24
	s_and_saveexec_b32 s17, s16
	s_cbranch_execz .LBB62_31
; %bb.30:
	global_load_b32 v17, v[1:2], off offset:3584
.LBB62_31:
	s_or_b32 exec_lo, exec_lo, s17
	v_or_b32_e32 v18, 0x3c0, v0
	s_delay_alu instid0(VALU_DEP_1) | instskip(SKIP_1) | instid1(VALU_DEP_2)
	v_cmp_gt_u32_e64 s17, s25, v18
	v_mov_b32_e32 v18, s24
	s_and_saveexec_b32 s18, s17
	s_cbranch_execz .LBB62_33
; %bb.32:
	global_load_b32 v18, v[1:2], off offset:3840
.LBB62_33:
	s_or_b32 exec_lo, exec_lo, s18
	v_or_b32_e32 v19, 0x400, v0
	s_delay_alu instid0(VALU_DEP_1) | instskip(SKIP_1) | instid1(VALU_DEP_2)
	v_cmp_gt_u32_e64 s18, s25, v19
	v_mov_b32_e32 v19, s24
	s_and_saveexec_b32 s20, s18
	s_cbranch_execz .LBB62_35
; %bb.34:
	v_add_co_u32 v19, s19, 0x1000, v1
	s_delay_alu instid0(VALU_DEP_1)
	v_add_co_ci_u32_e64 v20, s19, 0, v2, s19
	global_load_b32 v19, v[19:20], off
.LBB62_35:
	s_or_b32 exec_lo, exec_lo, s20
	v_or_b32_e32 v20, 0x440, v0
	s_delay_alu instid0(VALU_DEP_1) | instskip(SKIP_1) | instid1(VALU_DEP_2)
	v_cmp_gt_u32_e64 s19, s25, v20
	v_mov_b32_e32 v20, s24
	s_and_saveexec_b32 s21, s19
	s_cbranch_execz .LBB62_37
; %bb.36:
	v_add_co_u32 v20, s20, 0x1000, v1
	s_delay_alu instid0(VALU_DEP_1)
	v_add_co_ci_u32_e64 v21, s20, 0, v2, s20
	global_load_b32 v20, v[20:21], off offset:256
.LBB62_37:
	s_or_b32 exec_lo, exec_lo, s21
	v_or_b32_e32 v21, 0x480, v0
	s_delay_alu instid0(VALU_DEP_1) | instskip(SKIP_1) | instid1(VALU_DEP_2)
	v_cmp_gt_u32_e64 s20, s25, v21
	v_mov_b32_e32 v21, s24
	s_and_saveexec_b32 s22, s20
	s_cbranch_execz .LBB62_39
; %bb.38:
	v_add_co_u32 v21, s21, 0x1000, v1
	s_delay_alu instid0(VALU_DEP_1)
	v_add_co_ci_u32_e64 v22, s21, 0, v2, s21
	global_load_b32 v21, v[21:22], off offset:512
.LBB62_39:
	;; [unrolled: 13-line block ×5, first 2 shown]
	s_or_b32 exec_lo, exec_lo, s42
	s_sub_u32 s42, 0, s15
	s_subb_u32 s43, 0, 0
	s_waitcnt vmcnt(0)
	ds_store_2addr_stride64_b32 v27, v3, v4 offset1:1
	ds_store_2addr_stride64_b32 v27, v5, v6 offset0:2 offset1:3
	ds_store_2addr_stride64_b32 v27, v7, v8 offset0:4 offset1:5
	;; [unrolled: 1-line block ×10, first 2 shown]
	s_cmp_eq_u64 s[42:43], s[40:41]
	s_waitcnt lgkmcnt(0)
	s_cselect_b32 s24, 0, -4
	s_cselect_b32 s43, 0, -1
	s_add_u32 s42, s34, s24
	s_addc_u32 s43, s35, s43
	s_barrier
	buffer_gl0_inv
	s_load_b32 s42, s[42:43], 0x0
	v_mad_u32_u24 v21, 0x54, v0, v27
	ds_load_2addr_b64 v[1:4], v21 offset0:8 offset1:9
	ds_load_b64 v[25:26], v21 offset:80
	ds_load_2addr_b64 v[17:20], v21 offset1:1
	ds_load_2addr_b64 v[13:16], v21 offset0:2 offset1:3
	ds_load_2addr_b64 v[9:12], v21 offset0:4 offset1:5
	;; [unrolled: 1-line block ×3, first 2 shown]
	v_mad_i32_i24 v24, 0xffffffac, v0, v21
	s_waitcnt lgkmcnt(0)
	v_mov_b32_e32 v23, s42
	s_mov_b32 s42, exec_lo
	ds_store_b32 v24, v26 offset:5632
	s_waitcnt lgkmcnt(0)
	s_barrier
	buffer_gl0_inv
	v_cmpx_ne_u32_e32 0, v0
	s_cbranch_execz .LBB62_47
; %bb.46:
	ds_load_b32 v23, v24 offset:5628
.LBB62_47:
	s_or_b32 exec_lo, exec_lo, s42
	v_lshlrev_b32_e32 v28, 1, v0
	s_waitcnt lgkmcnt(0)
	s_barrier
	buffer_gl0_inv
                                        ; implicit-def: $vgpr29
	v_add_co_u32 v21, s24, s26, v28
	s_delay_alu instid0(VALU_DEP_1)
	v_add_co_ci_u32_e64 v22, null, s27, 0, s24
	s_and_saveexec_b32 s24, vcc_lo
	s_cbranch_execz .LBB62_175
; %bb.48:
	global_load_u16 v29, v[21:22], off
	s_or_b32 exec_lo, exec_lo, s24
                                        ; implicit-def: $vgpr30
	s_and_saveexec_b32 s24, s2
	s_cbranch_execnz .LBB62_176
.LBB62_49:
	s_or_b32 exec_lo, exec_lo, s24
                                        ; implicit-def: $vgpr31
	s_and_saveexec_b32 s2, s3
	s_cbranch_execz .LBB62_177
.LBB62_50:
	global_load_u16 v31, v[21:22], off offset:256
	s_or_b32 exec_lo, exec_lo, s2
                                        ; implicit-def: $vgpr32
	s_and_saveexec_b32 s2, s4
	s_cbranch_execnz .LBB62_178
.LBB62_51:
	s_or_b32 exec_lo, exec_lo, s2
                                        ; implicit-def: $vgpr33
	s_and_saveexec_b32 s2, s5
	s_cbranch_execz .LBB62_179
.LBB62_52:
	global_load_u16 v33, v[21:22], off offset:512
	s_or_b32 exec_lo, exec_lo, s2
                                        ; implicit-def: $vgpr34
	s_and_saveexec_b32 s2, s6
	s_cbranch_execnz .LBB62_180
.LBB62_53:
	s_or_b32 exec_lo, exec_lo, s2
                                        ; implicit-def: $vgpr35
	s_and_saveexec_b32 s2, s7
	s_cbranch_execz .LBB62_181
.LBB62_54:
	global_load_u16 v35, v[21:22], off offset:768
	s_or_b32 exec_lo, exec_lo, s2
                                        ; implicit-def: $vgpr36
	s_and_saveexec_b32 s2, s8
	s_cbranch_execnz .LBB62_182
.LBB62_55:
	s_or_b32 exec_lo, exec_lo, s2
                                        ; implicit-def: $vgpr37
	s_and_saveexec_b32 s2, s9
	s_cbranch_execz .LBB62_183
.LBB62_56:
	global_load_u16 v37, v[21:22], off offset:1024
	s_or_b32 exec_lo, exec_lo, s2
                                        ; implicit-def: $vgpr38
	s_and_saveexec_b32 s2, s10
	s_cbranch_execnz .LBB62_184
.LBB62_57:
	s_or_b32 exec_lo, exec_lo, s2
                                        ; implicit-def: $vgpr39
	s_and_saveexec_b32 s2, s11
	s_cbranch_execz .LBB62_185
.LBB62_58:
	global_load_u16 v39, v[21:22], off offset:1280
	s_or_b32 exec_lo, exec_lo, s2
                                        ; implicit-def: $vgpr40
	s_and_saveexec_b32 s2, s12
	s_cbranch_execnz .LBB62_186
.LBB62_59:
	s_or_b32 exec_lo, exec_lo, s2
                                        ; implicit-def: $vgpr41
	s_and_saveexec_b32 s2, s13
	s_cbranch_execz .LBB62_187
.LBB62_60:
	global_load_u16 v41, v[21:22], off offset:1536
	s_or_b32 exec_lo, exec_lo, s2
                                        ; implicit-def: $vgpr42
	s_and_saveexec_b32 s2, s14
	s_cbranch_execnz .LBB62_188
.LBB62_61:
	s_or_b32 exec_lo, exec_lo, s2
                                        ; implicit-def: $vgpr43
	s_and_saveexec_b32 s2, s16
	s_cbranch_execz .LBB62_189
.LBB62_62:
	global_load_u16 v43, v[21:22], off offset:1792
	s_or_b32 exec_lo, exec_lo, s2
                                        ; implicit-def: $vgpr44
	s_and_saveexec_b32 s2, s17
	s_cbranch_execnz .LBB62_190
.LBB62_63:
	s_or_b32 exec_lo, exec_lo, s2
                                        ; implicit-def: $vgpr45
	s_and_saveexec_b32 s2, s18
	s_cbranch_execz .LBB62_191
.LBB62_64:
	global_load_u16 v45, v[21:22], off offset:2048
	s_or_b32 exec_lo, exec_lo, s2
                                        ; implicit-def: $vgpr46
	s_and_saveexec_b32 s2, s19
	s_cbranch_execnz .LBB62_192
.LBB62_65:
	s_or_b32 exec_lo, exec_lo, s2
                                        ; implicit-def: $vgpr47
	s_and_saveexec_b32 s2, s20
	s_cbranch_execz .LBB62_193
.LBB62_66:
	global_load_u16 v47, v[21:22], off offset:2304
	s_or_b32 exec_lo, exec_lo, s2
                                        ; implicit-def: $vgpr48
	s_and_saveexec_b32 s2, s21
	s_cbranch_execnz .LBB62_194
.LBB62_67:
	s_or_b32 exec_lo, exec_lo, s2
                                        ; implicit-def: $vgpr49
	s_and_saveexec_b32 s2, s22
	s_cbranch_execz .LBB62_69
.LBB62_68:
	global_load_u16 v49, v[21:22], off offset:2560
.LBB62_69:
	s_or_b32 exec_lo, exec_lo, s2
	v_mul_u32_u24_e32 v50, 22, v0
                                        ; implicit-def: $vgpr51
	s_and_saveexec_b32 s2, s23
	s_cbranch_execz .LBB62_71
; %bb.70:
	global_load_u16 v51, v[21:22], off offset:2688
.LBB62_71:
	s_or_b32 exec_lo, exec_lo, s2
	v_sub_nc_u32_e32 v21, v24, v28
	v_cmp_gt_u32_e32 vcc_lo, s25, v50
	v_mov_b32_e32 v28, 0
	s_mov_b32 s3, 0
	s_mov_b32 s4, 0
	s_waitcnt vmcnt(0)
	ds_store_b16 v21, v29
	ds_store_b16 v21, v30 offset:128
	ds_store_b16 v21, v31 offset:256
	;; [unrolled: 1-line block ×21, first 2 shown]
	v_dual_mov_b32 v29, 0 :: v_dual_mov_b32 v30, 0
	v_dual_mov_b32 v31, 0 :: v_dual_mov_b32 v32, 0
	;; [unrolled: 1-line block ×10, first 2 shown]
	s_waitcnt lgkmcnt(0)
	s_barrier
	buffer_gl0_inv
                                        ; implicit-def: $sgpr6
                                        ; implicit-def: $vgpr49
	s_and_saveexec_b32 s5, vcc_lo
	s_cbranch_execz .LBB62_113
; %bb.72:
	v_mad_u32_u24 v22, v0, 42, v21
	v_cmp_ne_u32_e32 vcc_lo, v23, v17
	v_or_b32_e32 v24, 1, v50
	v_dual_mov_b32 v29, 0 :: v_dual_mov_b32 v30, 0
	ds_load_u16 v22, v22
	v_cndmask_b32_e64 v23, 0, 1, vcc_lo
	v_dual_mov_b32 v31, 0 :: v_dual_mov_b32 v32, 0
	v_dual_mov_b32 v33, 0 :: v_dual_mov_b32 v34, 0
	;; [unrolled: 1-line block ×9, first 2 shown]
	s_waitcnt lgkmcnt(0)
	v_lshl_or_b32 v28, v23, 16, v22
	s_mov_b32 s7, 0
	s_mov_b32 s2, 0
	s_mov_b32 s3, exec_lo
                                        ; implicit-def: $sgpr6
                                        ; implicit-def: $vgpr49
	v_cmpx_gt_u32_e64 s25, v24
	s_cbranch_execz .LBB62_112
; %bb.73:
	v_mul_u32_u24_e32 v22, 42, v0
	v_cmp_ne_u32_e32 vcc_lo, v17, v18
	v_dual_mov_b32 v32, 0 :: v_dual_add_nc_u32 v29, 2, v50
	v_dual_mov_b32 v31, 0 :: v_dual_mov_b32 v34, 0
	s_delay_alu instid0(VALU_DEP_4)
	v_dual_mov_b32 v30, 0 :: v_dual_add_nc_u32 v51, v21, v22
	v_cndmask_b32_e64 v17, 0, 1, vcc_lo
	v_dual_mov_b32 v33, 0 :: v_dual_mov_b32 v36, 0
	ds_load_b128 v[21:24], v51 offset:2
	v_mov_b32_e32 v43, 0
	v_dual_mov_b32 v35, 0 :: v_dual_mov_b32 v38, 0
	v_dual_mov_b32 v37, 0 :: v_dual_mov_b32 v40, 0
	;; [unrolled: 1-line block ×5, first 2 shown]
	v_mov_b32_e32 v47, 0
	v_cmp_gt_u32_e32 vcc_lo, s25, v29
	s_mov_b32 s8, 0
                                        ; implicit-def: $sgpr7
                                        ; implicit-def: $vgpr49
	s_waitcnt lgkmcnt(0)
	v_and_b32_e32 v48, 0xffff, v21
	s_delay_alu instid0(VALU_DEP_1)
	v_lshl_or_b32 v29, v17, 16, v48
	v_mov_b32_e32 v48, 0
	s_and_saveexec_b32 s6, vcc_lo
	s_cbranch_execz .LBB62_111
; %bb.74:
	v_cmp_ne_u32_e32 vcc_lo, v18, v19
	v_dual_mov_b32 v31, 0 :: v_dual_add_nc_u32 v18, 3, v50
	v_dual_mov_b32 v32, 0 :: v_dual_mov_b32 v33, 0
	v_cndmask_b32_e64 v17, 0, 1, vcc_lo
	s_delay_alu instid0(VALU_DEP_3) | instskip(SKIP_2) | instid1(VALU_DEP_4)
	v_cmp_gt_u32_e32 vcc_lo, s25, v18
	v_dual_mov_b32 v34, 0 :: v_dual_mov_b32 v35, 0
	v_dual_mov_b32 v36, 0 :: v_dual_mov_b32 v37, 0
	v_alignbit_b32 v30, v17, v21, 16
	v_dual_mov_b32 v38, 0 :: v_dual_mov_b32 v39, 0
	v_dual_mov_b32 v40, 0 :: v_dual_mov_b32 v41, 0
	;; [unrolled: 1-line block ×5, first 2 shown]
	v_mov_b32_e32 v48, 0
                                        ; implicit-def: $sgpr9
                                        ; implicit-def: $vgpr49
	s_and_saveexec_b32 s7, vcc_lo
	s_cbranch_execz .LBB62_110
; %bb.75:
	v_cmp_ne_u32_e32 vcc_lo, v19, v20
	v_dual_mov_b32 v32, 0 :: v_dual_and_b32 v17, 0xffff, v22
	v_dual_mov_b32 v34, 0 :: v_dual_add_nc_u32 v19, 4, v50
	v_cndmask_b32_e64 v18, 0, 1, vcc_lo
	v_dual_mov_b32 v33, 0 :: v_dual_mov_b32 v36, 0
	s_delay_alu instid0(VALU_DEP_3) | instskip(SKIP_1) | instid1(VALU_DEP_4)
	v_cmp_gt_u32_e32 vcc_lo, s25, v19
	v_dual_mov_b32 v35, 0 :: v_dual_mov_b32 v38, 0
	v_lshl_or_b32 v31, v18, 16, v17
	v_dual_mov_b32 v37, 0 :: v_dual_mov_b32 v40, 0
	v_dual_mov_b32 v39, 0 :: v_dual_mov_b32 v42, 0
	;; [unrolled: 1-line block ×5, first 2 shown]
	v_mov_b32_e32 v47, 0
	s_mov_b32 s10, 0
                                        ; implicit-def: $sgpr9
                                        ; implicit-def: $vgpr49
	s_and_saveexec_b32 s8, vcc_lo
	s_cbranch_execz .LBB62_109
; %bb.76:
	v_cmp_ne_u32_e32 vcc_lo, v20, v13
	v_dual_mov_b32 v33, 0 :: v_dual_add_nc_u32 v18, 5, v50
	v_dual_mov_b32 v34, 0 :: v_dual_mov_b32 v35, 0
	v_cndmask_b32_e64 v17, 0, 1, vcc_lo
	v_dual_mov_b32 v36, 0 :: v_dual_mov_b32 v37, 0
	v_dual_mov_b32 v38, 0 :: v_dual_mov_b32 v39, 0
	s_delay_alu instid0(VALU_DEP_3)
	v_alignbit_b32 v32, v17, v22, 16
	v_dual_mov_b32 v40, 0 :: v_dual_mov_b32 v41, 0
	v_dual_mov_b32 v42, 0 :: v_dual_mov_b32 v43, 0
	;; [unrolled: 1-line block ×4, first 2 shown]
	v_mov_b32_e32 v48, 0
	s_mov_b32 s9, exec_lo
                                        ; implicit-def: $sgpr11
                                        ; implicit-def: $vgpr49
	v_cmpx_gt_u32_e64 s25, v18
	s_cbranch_execz .LBB62_108
; %bb.77:
	v_cmp_ne_u32_e32 vcc_lo, v13, v14
	v_dual_mov_b32 v34, 0 :: v_dual_and_b32 v17, 0xffff, v23
	v_dual_mov_b32 v35, 0 :: v_dual_add_nc_u32 v18, 6, v50
	v_cndmask_b32_e64 v13, 0, 1, vcc_lo
	v_dual_mov_b32 v36, 0 :: v_dual_mov_b32 v37, 0
	v_dual_mov_b32 v38, 0 :: v_dual_mov_b32 v39, 0
	s_delay_alu instid0(VALU_DEP_3)
	v_lshl_or_b32 v33, v13, 16, v17
	v_dual_mov_b32 v40, 0 :: v_dual_mov_b32 v41, 0
	v_dual_mov_b32 v42, 0 :: v_dual_mov_b32 v43, 0
	;; [unrolled: 1-line block ×4, first 2 shown]
	v_mov_b32_e32 v48, 0
	s_mov_b32 s12, 0
	s_mov_b32 s10, exec_lo
                                        ; implicit-def: $sgpr11
                                        ; implicit-def: $vgpr49
	v_cmpx_gt_u32_e64 s25, v18
	s_cbranch_execz .LBB62_107
; %bb.78:
	v_cmp_ne_u32_e32 vcc_lo, v14, v15
	v_dual_mov_b32 v35, 0 :: v_dual_add_nc_u32 v14, 7, v50
	v_dual_mov_b32 v36, 0 :: v_dual_mov_b32 v37, 0
	v_cndmask_b32_e64 v13, 0, 1, vcc_lo
	v_dual_mov_b32 v38, 0 :: v_dual_mov_b32 v39, 0
	v_dual_mov_b32 v40, 0 :: v_dual_mov_b32 v41, 0
	s_delay_alu instid0(VALU_DEP_3)
	v_alignbit_b32 v34, v13, v23, 16
	v_dual_mov_b32 v42, 0 :: v_dual_mov_b32 v43, 0
	v_dual_mov_b32 v44, 0 :: v_dual_mov_b32 v45, 0
	;; [unrolled: 1-line block ×3, first 2 shown]
	v_mov_b32_e32 v48, 0
	s_mov_b32 s11, exec_lo
                                        ; implicit-def: $sgpr13
                                        ; implicit-def: $vgpr49
	v_cmpx_gt_u32_e64 s25, v14
	s_cbranch_execz .LBB62_106
; %bb.79:
	v_cmp_ne_u32_e32 vcc_lo, v15, v16
	v_dual_mov_b32 v36, 0 :: v_dual_and_b32 v13, 0xffff, v24
	v_dual_mov_b32 v38, 0 :: v_dual_add_nc_u32 v15, 8, v50
	v_cndmask_b32_e64 v14, 0, 1, vcc_lo
	v_dual_mov_b32 v37, 0 :: v_dual_mov_b32 v40, 0
	v_dual_mov_b32 v39, 0 :: v_dual_mov_b32 v42, 0
	s_delay_alu instid0(VALU_DEP_3)
	v_lshl_or_b32 v35, v14, 16, v13
	v_dual_mov_b32 v41, 0 :: v_dual_mov_b32 v44, 0
	v_dual_mov_b32 v43, 0 :: v_dual_mov_b32 v46, 0
	;; [unrolled: 1-line block ×3, first 2 shown]
	v_mov_b32_e32 v47, 0
	s_mov_b32 s14, 0
	s_mov_b32 s12, exec_lo
                                        ; implicit-def: $sgpr13
                                        ; implicit-def: $vgpr49
	v_cmpx_gt_u32_e64 s25, v15
	s_cbranch_execz .LBB62_105
; %bb.80:
	v_cmp_ne_u32_e32 vcc_lo, v16, v9
	v_dual_mov_b32 v37, 0 :: v_dual_add_nc_u32 v14, 9, v50
	v_dual_mov_b32 v38, 0 :: v_dual_mov_b32 v39, 0
	v_cndmask_b32_e64 v13, 0, 1, vcc_lo
	v_dual_mov_b32 v40, 0 :: v_dual_mov_b32 v41, 0
	v_dual_mov_b32 v42, 0 :: v_dual_mov_b32 v43, 0
	s_delay_alu instid0(VALU_DEP_3)
	v_alignbit_b32 v36, v13, v24, 16
	v_dual_mov_b32 v44, 0 :: v_dual_mov_b32 v45, 0
	v_dual_mov_b32 v46, 0 :: v_dual_mov_b32 v47, 0
	v_mov_b32_e32 v48, 0
	s_mov_b32 s13, exec_lo
                                        ; implicit-def: $sgpr16
                                        ; implicit-def: $vgpr49
	v_cmpx_gt_u32_e64 s25, v14
	s_cbranch_execz .LBB62_104
; %bb.81:
	ds_load_b128 v[13:16], v51 offset:18
	v_cmp_ne_u32_e32 vcc_lo, v9, v10
	v_dual_mov_b32 v38, 0 :: v_dual_add_nc_u32 v17, 10, v50
	v_dual_mov_b32 v39, 0 :: v_dual_mov_b32 v40, 0
	v_cndmask_b32_e64 v9, 0, 1, vcc_lo
	v_dual_mov_b32 v41, 0 :: v_dual_mov_b32 v42, 0
	v_dual_mov_b32 v43, 0 :: v_dual_mov_b32 v44, 0
	;; [unrolled: 1-line block ×3, first 2 shown]
	v_mov_b32_e32 v48, 0
	s_mov_b32 s17, 0
	s_mov_b32 s14, exec_lo
                                        ; implicit-def: $sgpr16
                                        ; implicit-def: $vgpr49
	s_waitcnt lgkmcnt(0)
	v_dual_mov_b32 v45, 0 :: v_dual_and_b32 v18, 0xffff, v13
	s_delay_alu instid0(VALU_DEP_1)
	v_lshl_or_b32 v37, v9, 16, v18
	v_cmpx_gt_u32_e64 s25, v17
	s_cbranch_execz .LBB62_103
; %bb.82:
	v_cmp_ne_u32_e32 vcc_lo, v10, v11
	v_dual_mov_b32 v39, 0 :: v_dual_add_nc_u32 v10, 11, v50
	v_dual_mov_b32 v40, 0 :: v_dual_mov_b32 v41, 0
	v_cndmask_b32_e64 v9, 0, 1, vcc_lo
	v_dual_mov_b32 v42, 0 :: v_dual_mov_b32 v43, 0
	v_dual_mov_b32 v44, 0 :: v_dual_mov_b32 v45, 0
	s_delay_alu instid0(VALU_DEP_3)
	v_alignbit_b32 v38, v9, v13, 16
	v_dual_mov_b32 v46, 0 :: v_dual_mov_b32 v47, 0
	v_mov_b32_e32 v48, 0
	s_mov_b32 s16, exec_lo
                                        ; implicit-def: $sgpr18
                                        ; implicit-def: $vgpr49
	v_cmpx_gt_u32_e64 s25, v10
	s_cbranch_execz .LBB62_102
; %bb.83:
	v_cmp_ne_u32_e32 vcc_lo, v11, v12
	v_dual_mov_b32 v40, 0 :: v_dual_and_b32 v9, 0xffff, v14
	v_dual_mov_b32 v42, 0 :: v_dual_add_nc_u32 v11, 12, v50
	v_cndmask_b32_e64 v10, 0, 1, vcc_lo
	v_dual_mov_b32 v41, 0 :: v_dual_mov_b32 v44, 0
	v_dual_mov_b32 v43, 0 :: v_dual_mov_b32 v46, 0
	s_delay_alu instid0(VALU_DEP_3)
	v_lshl_or_b32 v39, v10, 16, v9
	v_dual_mov_b32 v45, 0 :: v_dual_mov_b32 v48, 0
	v_mov_b32_e32 v47, 0
	s_mov_b32 s19, 0
	s_mov_b32 s17, exec_lo
                                        ; implicit-def: $sgpr18
                                        ; implicit-def: $vgpr49
	v_cmpx_gt_u32_e64 s25, v11
	s_cbranch_execz .LBB62_101
; %bb.84:
	v_cmp_ne_u32_e32 vcc_lo, v12, v5
	v_dual_mov_b32 v41, 0 :: v_dual_add_nc_u32 v10, 13, v50
	v_dual_mov_b32 v42, 0 :: v_dual_mov_b32 v43, 0
	v_cndmask_b32_e64 v9, 0, 1, vcc_lo
	v_dual_mov_b32 v44, 0 :: v_dual_mov_b32 v45, 0
	v_dual_mov_b32 v46, 0 :: v_dual_mov_b32 v47, 0
	s_delay_alu instid0(VALU_DEP_3)
	v_alignbit_b32 v40, v9, v14, 16
	v_mov_b32_e32 v48, 0
	s_mov_b32 s18, exec_lo
                                        ; implicit-def: $sgpr20
                                        ; implicit-def: $vgpr49
	v_cmpx_gt_u32_e64 s25, v10
	s_cbranch_execz .LBB62_100
; %bb.85:
	v_cmp_ne_u32_e32 vcc_lo, v5, v6
	v_dual_mov_b32 v42, 0 :: v_dual_and_b32 v9, 0xffff, v15
	v_dual_mov_b32 v43, 0 :: v_dual_add_nc_u32 v10, 14, v50
	v_cndmask_b32_e64 v5, 0, 1, vcc_lo
	v_dual_mov_b32 v44, 0 :: v_dual_mov_b32 v45, 0
	v_dual_mov_b32 v46, 0 :: v_dual_mov_b32 v47, 0
	s_delay_alu instid0(VALU_DEP_3)
	v_lshl_or_b32 v41, v5, 16, v9
	v_mov_b32_e32 v48, 0
	s_mov_b32 s21, 0
	s_mov_b32 s19, exec_lo
                                        ; implicit-def: $sgpr20
                                        ; implicit-def: $vgpr49
	v_cmpx_gt_u32_e64 s25, v10
	s_cbranch_execz .LBB62_99
; %bb.86:
	v_cmp_ne_u32_e32 vcc_lo, v6, v7
	v_dual_mov_b32 v43, 0 :: v_dual_add_nc_u32 v6, 15, v50
	v_dual_mov_b32 v44, 0 :: v_dual_mov_b32 v45, 0
	v_cndmask_b32_e64 v5, 0, 1, vcc_lo
	v_dual_mov_b32 v46, 0 :: v_dual_mov_b32 v47, 0
	v_mov_b32_e32 v48, 0
	s_mov_b32 s20, exec_lo
	s_delay_alu instid0(VALU_DEP_3)
	v_alignbit_b32 v42, v5, v15, 16
                                        ; implicit-def: $sgpr22
                                        ; implicit-def: $vgpr49
	v_cmpx_gt_u32_e64 s25, v6
	s_cbranch_execz .LBB62_98
; %bb.87:
	v_cmp_ne_u32_e32 vcc_lo, v7, v8
	v_dual_mov_b32 v44, 0 :: v_dual_and_b32 v5, 0xffff, v16
	v_dual_mov_b32 v46, 0 :: v_dual_add_nc_u32 v7, 16, v50
	v_cndmask_b32_e64 v6, 0, 1, vcc_lo
	v_dual_mov_b32 v45, 0 :: v_dual_mov_b32 v48, 0
	v_mov_b32_e32 v47, 0
	s_mov_b32 s23, 0
	s_delay_alu instid0(VALU_DEP_3)
	v_lshl_or_b32 v43, v6, 16, v5
	s_mov_b32 s21, exec_lo
                                        ; implicit-def: $sgpr22
                                        ; implicit-def: $vgpr49
	v_cmpx_gt_u32_e64 s25, v7
	s_cbranch_execz .LBB62_97
; %bb.88:
	v_cmp_ne_u32_e32 vcc_lo, v8, v1
	v_dual_mov_b32 v45, 0 :: v_dual_add_nc_u32 v6, 17, v50
	v_dual_mov_b32 v46, 0 :: v_dual_mov_b32 v47, 0
	v_cndmask_b32_e64 v5, 0, 1, vcc_lo
	v_mov_b32_e32 v48, 0
	s_mov_b32 s22, exec_lo
                                        ; implicit-def: $sgpr24
                                        ; implicit-def: $vgpr49
	s_delay_alu instid0(VALU_DEP_2)
	v_alignbit_b32 v44, v5, v16, 16
	v_cmpx_gt_u32_e64 s25, v6
	s_cbranch_execz .LBB62_96
; %bb.89:
	ds_load_b64 v[5:6], v51 offset:34
	v_cmp_ne_u32_e32 vcc_lo, v1, v2
	v_dual_mov_b32 v46, 0 :: v_dual_add_nc_u32 v7, 18, v50
	v_mov_b32_e32 v48, 0
	s_mov_b32 s42, 0
	v_cndmask_b32_e64 v1, 0, 1, vcc_lo
	s_mov_b32 s23, exec_lo
                                        ; implicit-def: $sgpr24
                                        ; implicit-def: $vgpr49
	s_waitcnt lgkmcnt(0)
	v_dual_mov_b32 v47, 0 :: v_dual_and_b32 v8, 0xffff, v5
	s_delay_alu instid0(VALU_DEP_1)
	v_lshl_or_b32 v45, v1, 16, v8
	v_cmpx_gt_u32_e64 s25, v7
	s_cbranch_execz .LBB62_95
; %bb.90:
	v_cmp_ne_u32_e32 vcc_lo, v2, v3
	v_dual_mov_b32 v47, 0 :: v_dual_add_nc_u32 v2, 19, v50
	v_mov_b32_e32 v48, 0
	s_mov_b32 s24, exec_lo
	v_cndmask_b32_e64 v1, 0, 1, vcc_lo
                                        ; implicit-def: $sgpr43
                                        ; implicit-def: $vgpr49
	s_delay_alu instid0(VALU_DEP_1)
	v_alignbit_b32 v46, v1, v5, 16
	v_cmpx_gt_u32_e64 s25, v2
	s_cbranch_execz .LBB62_94
; %bb.91:
	v_cmp_ne_u32_e32 vcc_lo, v3, v4
	v_dual_mov_b32 v48, 0 :: v_dual_and_b32 v1, 0xffff, v6
	v_add_nc_u32_e32 v3, 20, v50
	s_mov_b32 s43, exec_lo
	v_cndmask_b32_e64 v2, 0, 1, vcc_lo
                                        ; implicit-def: $sgpr42
                                        ; implicit-def: $vgpr49
	s_delay_alu instid0(VALU_DEP_1) | instskip(NEXT) | instid1(VALU_DEP_3)
	v_lshl_or_b32 v47, v2, 16, v1
	v_cmpx_gt_u32_e64 s25, v3
	s_xor_b32 s43, exec_lo, s43
	s_cbranch_execz .LBB62_93
; %bb.92:
	ds_load_u16 v49, v51 offset:42
	v_cmp_ne_u32_e32 vcc_lo, v4, v25
	v_add_nc_u32_e32 v1, 21, v50
	v_cndmask_b32_e64 v2, 0, 1, vcc_lo
	v_cmp_ne_u32_e32 vcc_lo, v25, v26
	s_delay_alu instid0(VALU_DEP_3) | instskip(NEXT) | instid1(VALU_DEP_3)
	v_cmp_gt_u32_e64 s2, s25, v1
	v_alignbit_b32 v48, v2, v6, 16
	s_and_b32 s42, vcc_lo, exec_lo
	s_delay_alu instid0(VALU_DEP_2)
	s_and_b32 s2, s2, exec_lo
.LBB62_93:
	s_or_b32 exec_lo, exec_lo, s43
	s_delay_alu instid0(SALU_CYCLE_1)
	s_and_b32 s43, s42, exec_lo
	s_and_b32 s42, s2, exec_lo
.LBB62_94:
	s_or_b32 exec_lo, exec_lo, s24
	s_delay_alu instid0(SALU_CYCLE_1)
	s_and_b32 s24, s43, exec_lo
	s_and_b32 s2, s42, exec_lo
.LBB62_95:
	s_or_b32 exec_lo, exec_lo, s23
	s_delay_alu instid0(SALU_CYCLE_1)
	s_and_b32 s24, s24, exec_lo
	s_and_b32 s23, s2, exec_lo
.LBB62_96:
	s_or_b32 exec_lo, exec_lo, s22
	s_delay_alu instid0(SALU_CYCLE_1)
	s_and_b32 s22, s24, exec_lo
	s_and_b32 s2, s23, exec_lo
.LBB62_97:
	s_or_b32 exec_lo, exec_lo, s21
	s_delay_alu instid0(SALU_CYCLE_1)
	s_and_b32 s22, s22, exec_lo
	s_and_b32 s21, s2, exec_lo
.LBB62_98:
	s_or_b32 exec_lo, exec_lo, s20
	s_delay_alu instid0(SALU_CYCLE_1)
	s_and_b32 s20, s22, exec_lo
	s_and_b32 s2, s21, exec_lo
.LBB62_99:
	s_or_b32 exec_lo, exec_lo, s19
	s_delay_alu instid0(SALU_CYCLE_1)
	s_and_b32 s20, s20, exec_lo
	s_and_b32 s19, s2, exec_lo
.LBB62_100:
	s_or_b32 exec_lo, exec_lo, s18
	s_delay_alu instid0(SALU_CYCLE_1)
	s_and_b32 s18, s20, exec_lo
	s_and_b32 s2, s19, exec_lo
.LBB62_101:
	s_or_b32 exec_lo, exec_lo, s17
	s_delay_alu instid0(SALU_CYCLE_1)
	s_and_b32 s18, s18, exec_lo
	s_and_b32 s17, s2, exec_lo
.LBB62_102:
	s_or_b32 exec_lo, exec_lo, s16
	s_delay_alu instid0(SALU_CYCLE_1)
	s_and_b32 s16, s18, exec_lo
	s_and_b32 s2, s17, exec_lo
.LBB62_103:
	s_or_b32 exec_lo, exec_lo, s14
	s_delay_alu instid0(SALU_CYCLE_1)
	s_and_b32 s16, s16, exec_lo
	s_and_b32 s14, s2, exec_lo
.LBB62_104:
	s_or_b32 exec_lo, exec_lo, s13
	s_delay_alu instid0(SALU_CYCLE_1)
	s_and_b32 s13, s16, exec_lo
	s_and_b32 s2, s14, exec_lo
.LBB62_105:
	s_or_b32 exec_lo, exec_lo, s12
	s_delay_alu instid0(SALU_CYCLE_1)
	s_and_b32 s13, s13, exec_lo
	s_and_b32 s12, s2, exec_lo
.LBB62_106:
	s_or_b32 exec_lo, exec_lo, s11
	s_delay_alu instid0(SALU_CYCLE_1)
	s_and_b32 s11, s13, exec_lo
	s_and_b32 s2, s12, exec_lo
.LBB62_107:
	s_or_b32 exec_lo, exec_lo, s10
	s_delay_alu instid0(SALU_CYCLE_1)
	s_and_b32 s11, s11, exec_lo
	s_and_b32 s10, s2, exec_lo
.LBB62_108:
	s_or_b32 exec_lo, exec_lo, s9
	s_delay_alu instid0(SALU_CYCLE_1)
	s_and_b32 s9, s11, exec_lo
	s_and_b32 s2, s10, exec_lo
.LBB62_109:
	s_or_b32 exec_lo, exec_lo, s8
	s_delay_alu instid0(SALU_CYCLE_1)
	s_and_b32 s9, s9, exec_lo
	s_and_b32 s8, s2, exec_lo
.LBB62_110:
	s_or_b32 exec_lo, exec_lo, s7
	s_delay_alu instid0(SALU_CYCLE_1)
	s_and_b32 s7, s9, exec_lo
	s_and_b32 s2, s8, exec_lo
.LBB62_111:
	s_or_b32 exec_lo, exec_lo, s6
	s_delay_alu instid0(SALU_CYCLE_1)
	s_and_b32 s6, s7, exec_lo
	s_and_b32 s7, s2, exec_lo
.LBB62_112:
	s_or_b32 exec_lo, exec_lo, s3
	s_delay_alu instid0(SALU_CYCLE_1)
	s_and_b32 s6, s6, exec_lo
	s_and_b32 s3, s7, exec_lo
.LBB62_113:
	s_or_b32 exec_lo, exec_lo, s5
	s_mov_b32 s5, 0
	v_cmp_ne_u32_e64 s2, 0, v0
	s_and_b32 vcc_lo, exec_lo, s4
	s_cbranch_vccnz .LBB62_115
	s_branch .LBB62_118
.LBB62_114:
                                        ; implicit-def: $sgpr6
                                        ; implicit-def: $vgpr49
                                        ; implicit-def: $vgpr28
                                        ; implicit-def: $vgpr29
                                        ; implicit-def: $vgpr30
                                        ; implicit-def: $vgpr31
                                        ; implicit-def: $vgpr32
                                        ; implicit-def: $vgpr33
                                        ; implicit-def: $vgpr34
                                        ; implicit-def: $vgpr35
                                        ; implicit-def: $vgpr36
                                        ; implicit-def: $vgpr37
                                        ; implicit-def: $vgpr38
                                        ; implicit-def: $vgpr39
                                        ; implicit-def: $vgpr40
                                        ; implicit-def: $vgpr41
                                        ; implicit-def: $vgpr42
                                        ; implicit-def: $vgpr43
                                        ; implicit-def: $vgpr44
                                        ; implicit-def: $vgpr45
                                        ; implicit-def: $vgpr46
                                        ; implicit-def: $vgpr47
                                        ; implicit-def: $vgpr48
                                        ; implicit-def: $sgpr5
	v_cmp_ne_u32_e64 s2, 0, v0
	s_cbranch_execz .LBB62_118
.LBB62_115:
	v_add_co_u32 v1, s3, s34, v27
	s_delay_alu instid0(VALU_DEP_1)
	v_add_co_ci_u32_e64 v2, null, s35, 0, s3
	s_clause 0x9
	global_load_b32 v3, v27, s[34:35]
	global_load_b32 v4, v27, s[34:35] offset:256
	global_load_b32 v5, v27, s[34:35] offset:512
	global_load_b32 v6, v27, s[34:35] offset:768
	global_load_b32 v7, v27, s[34:35] offset:1024
	global_load_b32 v8, v27, s[34:35] offset:1280
	global_load_b32 v9, v27, s[34:35] offset:1536
	global_load_b32 v10, v27, s[34:35] offset:1792
	global_load_b32 v11, v27, s[34:35] offset:2048
	global_load_b32 v12, v27, s[34:35] offset:2304
	v_add_co_u32 v1, vcc_lo, 0x1000, v1
	v_add_co_ci_u32_e32 v2, vcc_lo, 0, v2, vcc_lo
	s_clause 0xb
	global_load_b32 v13, v27, s[34:35] offset:2560
	global_load_b32 v14, v27, s[34:35] offset:2816
	;; [unrolled: 1-line block ×6, first 2 shown]
	global_load_b32 v19, v[1:2], off
	global_load_b32 v20, v[1:2], off offset:256
	global_load_b32 v21, v[1:2], off offset:512
	;; [unrolled: 1-line block ×5, first 2 shown]
	s_sub_u32 s4, 0, s15
	s_subb_u32 s5, 0, 0
	v_mad_u32_u24 v24, 0x54, v0, v27
	s_cmp_eq_u64 s[4:5], s[40:41]
	s_waitcnt vmcnt(20)
	ds_store_2addr_stride64_b32 v27, v3, v4 offset1:1
	s_waitcnt vmcnt(18)
	ds_store_2addr_stride64_b32 v27, v5, v6 offset0:2 offset1:3
	s_waitcnt vmcnt(16)
	ds_store_2addr_stride64_b32 v27, v7, v8 offset0:4 offset1:5
	;; [unrolled: 2-line block ×10, first 2 shown]
	s_cselect_b32 s3, 0, -4
	s_cselect_b32 s5, 0, -1
	s_add_u32 s4, s34, s3
	s_addc_u32 s5, s35, s5
	s_waitcnt lgkmcnt(0)
	s_barrier
	buffer_gl0_inv
	s_load_b32 s4, s[4:5], 0x0
	ds_load_2addr_b64 v[1:4], v24 offset0:8 offset1:9
	ds_load_b64 v[21:22], v24 offset:80
	ds_load_2addr_b64 v[17:20], v24 offset1:1
	ds_load_2addr_b64 v[13:16], v24 offset0:2 offset1:3
	ds_load_2addr_b64 v[9:12], v24 offset0:4 offset1:5
	;; [unrolled: 1-line block ×3, first 2 shown]
	v_mad_i32_i24 v23, 0xffffffac, v0, v24
	s_mov_b32 s3, -1
	s_waitcnt lgkmcnt(0)
	ds_store_b32 v23, v22 offset:5632
	s_waitcnt lgkmcnt(0)
	s_barrier
	v_mov_b32_e32 v24, s4
	buffer_gl0_inv
	s_and_saveexec_b32 s4, s2
	s_cbranch_execz .LBB62_117
; %bb.116:
	ds_load_b32 v24, v23 offset:5628
.LBB62_117:
	s_or_b32 exec_lo, exec_lo, s4
	v_lshlrev_b32_e32 v25, 1, v0
	s_waitcnt lgkmcnt(0)
	s_barrier
	buffer_gl0_inv
	v_cmp_ne_u32_e32 vcc_lo, v24, v17
	s_clause 0x15
	global_load_u16 v26, v25, s[26:27]
	global_load_u16 v28, v25, s[26:27] offset:128
	global_load_u16 v29, v25, s[26:27] offset:256
	;; [unrolled: 1-line block ×21, first 2 shown]
	v_cmp_ne_u32_e64 s6, v21, v22
                                        ; implicit-def: $sgpr5
	v_cndmask_b32_e64 v22, 0, 1, vcc_lo
	v_cmp_ne_u32_e32 vcc_lo, v17, v18
	v_cndmask_b32_e64 v17, 0, 1, vcc_lo
	v_cmp_ne_u32_e32 vcc_lo, v18, v19
	;; [unrolled: 2-line block ×9, first 2 shown]
	v_sub_nc_u32_e32 v9, v23, v25
	s_waitcnt vmcnt(21)
	ds_store_b16 v9, v26
	s_waitcnt vmcnt(20)
	ds_store_b16 v9, v28 offset:128
	s_waitcnt vmcnt(19)
	ds_store_b16 v9, v29 offset:256
	;; [unrolled: 2-line block ×21, first 2 shown]
	v_cndmask_b32_e64 v51, 0, 1, vcc_lo
	v_cmp_ne_u32_e32 vcc_lo, v10, v11
	v_mad_u32_u24 v49, v0, 42, v9
	s_waitcnt lgkmcnt(0)
	s_barrier
	buffer_gl0_inv
	v_cndmask_b32_e64 v52, 0, 1, vcc_lo
	v_cmp_ne_u32_e32 vcc_lo, v11, v12
	v_cndmask_b32_e64 v23, 0, 1, vcc_lo
	v_cmp_ne_u32_e32 vcc_lo, v12, v5
	ds_load_2addr_b32 v[9:10], v49 offset1:1
	ds_load_2addr_b32 v[11:12], v49 offset0:8 offset1:9
	ds_load_b32 v26, v49 offset:40
	ds_load_2addr_b32 v[13:14], v49 offset0:4 offset1:5
	v_cndmask_b32_e64 v25, 0, 1, vcc_lo
	v_cmp_ne_u32_e32 vcc_lo, v5, v6
	v_cndmask_b32_e64 v28, 0, 1, vcc_lo
	v_cmp_ne_u32_e32 vcc_lo, v6, v7
	ds_load_2addr_b32 v[5:6], v49 offset0:2 offset1:3
	v_cndmask_b32_e64 v42, 0, 1, vcc_lo
	v_cmp_ne_u32_e32 vcc_lo, v7, v8
	s_waitcnt lgkmcnt(4)
	v_alignbit_b32 v29, v17, v9, 16
	v_alignbit_b32 v31, v19, v10, 16
	v_cndmask_b32_e64 v30, 0, 1, vcc_lo
	v_cmp_ne_u32_e32 vcc_lo, v8, v1
	ds_load_2addr_b32 v[7:8], v49 offset0:6 offset1:7
	s_waitcnt lgkmcnt(2)
	v_alignbit_b32 v37, v51, v13, 16
	v_alignbit_b32 v39, v23, v14, 16
	v_lshrrev_b32_e32 v49, 16, v26
	v_cndmask_b32_e64 v44, 0, 1, vcc_lo
	v_cmp_ne_u32_e32 vcc_lo, v1, v2
	s_waitcnt lgkmcnt(1)
	v_alignbit_b32 v33, v24, v5, 16
	v_alignbit_b32 v35, v15, v6, 16
	v_cndmask_b32_e64 v1, 0, 1, vcc_lo
	v_cmp_ne_u32_e32 vcc_lo, v2, v3
	s_delay_alu instid0(VALU_DEP_2)
	v_alignbit_b32 v45, v1, v11, 16
	v_cndmask_b32_e64 v2, 0, 1, vcc_lo
	v_cmp_ne_u32_e32 vcc_lo, v3, v4
	v_and_b32_e32 v1, 0xffff, v12
	s_waitcnt lgkmcnt(0)
	v_alignbit_b32 v41, v28, v7, 16
	v_alignbit_b32 v43, v30, v8, 16
	v_cndmask_b32_e64 v3, 0, 1, vcc_lo
	v_cmp_ne_u32_e32 vcc_lo, v4, v21
	v_and_b32_e32 v21, 0xffff, v9
	v_and_b32_e32 v9, 0xffff, v10
	;; [unrolled: 1-line block ×4, first 2 shown]
	v_cndmask_b32_e64 v4, 0, 1, vcc_lo
	v_and_b32_e32 v6, 0xffff, v13
	v_and_b32_e32 v13, 0xffff, v14
	;; [unrolled: 1-line block ×5, first 2 shown]
	v_alignbit_b32 v47, v3, v12, 16
	v_and_b32_e32 v3, 0xffff, v26
	v_lshl_or_b32 v28, v22, 16, v21
	v_lshl_or_b32 v30, v18, 16, v9
	;; [unrolled: 1-line block ×11, first 2 shown]
.LBB62_118:
	v_mov_b32_e32 v8, s5
	s_and_saveexec_b32 s2, s3
	s_cbranch_execz .LBB62_120
; %bb.119:
	s_waitcnt lgkmcnt(0)
	v_and_b32_e32 v1, 0xffff, v49
	v_cndmask_b32_e64 v2, 0, 0x10000, s6
	s_delay_alu instid0(VALU_DEP_1)
	v_or_b32_e32 v8, v2, v1
.LBB62_120:
	s_or_b32 exec_lo, exec_lo, s2
	s_delay_alu instid0(VALU_DEP_1)
	v_or3_b32 v1, v8, v48, v47
	v_cmp_gt_u32_e64 s23, 0x10000, v29
	v_cmp_gt_u32_e64 s22, 0x10000, v30
	;; [unrolled: 1-line block ×21, first 2 shown]
	v_or3_b32 v10, v1, v46, v45
	v_lshrrev_b32_e32 v9, 5, v0
	v_cmp_gt_u32_e32 vcc_lo, 32, v0
	s_cmp_lg_u32 s15, 0
	s_waitcnt lgkmcnt(0)
	s_barrier
	buffer_gl0_inv
	s_cbranch_scc0 .LBB62_195
; %bb.121:
	v_max_i16 v1, v28, v29
	v_or3_b32 v2, v10, v44, v43
	v_lshrrev_b32_e32 v11, 16, v28
	v_add_lshl_u32 v3, v9, v0, 2
	s_delay_alu instid0(VALU_DEP_4) | instskip(NEXT) | instid1(VALU_DEP_4)
	v_cndmask_b32_e64 v1, v29, v1, s23
	v_or3_b32 v2, v2, v42, v41
	s_delay_alu instid0(VALU_DEP_2) | instskip(NEXT) | instid1(VALU_DEP_2)
	v_max_i16 v1, v1, v30
	v_or3_b32 v2, v2, v40, v39
	s_delay_alu instid0(VALU_DEP_2) | instskip(NEXT) | instid1(VALU_DEP_2)
	v_cndmask_b32_e64 v1, v30, v1, s22
	v_or3_b32 v2, v2, v38, v37
	s_delay_alu instid0(VALU_DEP_2) | instskip(NEXT) | instid1(VALU_DEP_2)
	v_max_i16 v1, v1, v31
	v_or3_b32 v2, v2, v36, v35
	s_delay_alu instid0(VALU_DEP_2) | instskip(NEXT) | instid1(VALU_DEP_2)
	;; [unrolled: 6-line block ×3, first 2 shown]
	v_cndmask_b32_e64 v1, v32, v1, s20
	v_or3_b32 v2, v2, v30, v29
	s_delay_alu instid0(VALU_DEP_2) | instskip(NEXT) | instid1(VALU_DEP_2)
	v_max_i16 v1, v1, v33
	v_and_b32_e32 v2, 0x10000, v2
	s_delay_alu instid0(VALU_DEP_2) | instskip(NEXT) | instid1(VALU_DEP_2)
	v_cndmask_b32_e64 v1, v33, v1, s19
	v_cmp_ne_u32_e64 s24, 0, v2
	s_delay_alu instid0(VALU_DEP_2) | instskip(NEXT) | instid1(VALU_DEP_2)
	v_max_i16 v1, v1, v34
	v_cndmask_b32_e64 v13, v11, 1, s24
	s_delay_alu instid0(VALU_DEP_2) | instskip(NEXT) | instid1(VALU_DEP_1)
	v_cndmask_b32_e64 v1, v34, v1, s18
	v_max_i16 v1, v1, v35
	s_delay_alu instid0(VALU_DEP_1) | instskip(NEXT) | instid1(VALU_DEP_1)
	v_cndmask_b32_e64 v1, v35, v1, s17
	v_max_i16 v1, v1, v36
	s_delay_alu instid0(VALU_DEP_1) | instskip(NEXT) | instid1(VALU_DEP_1)
	;; [unrolled: 3-line block ×14, first 2 shown]
	v_cndmask_b32_e64 v1, v48, v1, s3
	v_max_i16 v1, v1, v8
	s_delay_alu instid0(VALU_DEP_1)
	v_cndmask_b32_e64 v12, v8, v1, s2
	ds_store_b16 v3, v12
	ds_store_b8 v3, v13 offset:2
	s_waitcnt lgkmcnt(0)
	s_barrier
	buffer_gl0_inv
	s_and_saveexec_b32 s34, vcc_lo
	s_cbranch_execz .LBB62_133
; %bb.122:
	v_lshrrev_b32_e32 v1, 2, v0
	s_mov_b32 s27, exec_lo
	s_delay_alu instid0(VALU_DEP_1) | instskip(NEXT) | instid1(VALU_DEP_1)
	v_and_b32_e32 v1, 12, v1
	v_lshl_or_b32 v1, v0, 3, v1
	ds_load_b32 v3, v1
	ds_load_u16 v2, v1 offset:4
	ds_load_u8 v5, v1 offset:6
	s_waitcnt lgkmcnt(2)
	v_and_b32_e32 v4, 0x10000, v3
	s_waitcnt lgkmcnt(1)
	v_max_i16 v6, v3, v2
	s_waitcnt lgkmcnt(0)
	v_and_b32_e32 v14, 1, v5
	v_cmp_eq_u16_e64 s24, 0, v5
	v_and_b32_e32 v5, 0xff000000, v3
	s_delay_alu instid0(VALU_DEP_3) | instskip(NEXT) | instid1(VALU_DEP_3)
	v_cmp_eq_u32_e64 s25, 1, v14
	v_cndmask_b32_e64 v7, v2, v6, s24
	v_mbcnt_lo_u32_b32 v6, -1, 0
	s_delay_alu instid0(VALU_DEP_3) | instskip(NEXT) | instid1(VALU_DEP_3)
	v_cndmask_b32_e64 v14, v4, 0x10000, s25
	v_and_b32_e32 v15, 0xffff, v7
	s_delay_alu instid0(VALU_DEP_2) | instskip(NEXT) | instid1(VALU_DEP_2)
	v_or_b32_e32 v17, v14, v5
	v_or3_b32 v18, v5, v15, v14
	v_and_b32_e32 v15, 15, v6
	s_delay_alu instid0(VALU_DEP_3) | instskip(NEXT) | instid1(VALU_DEP_3)
	v_lshrrev_b32_e32 v14, 16, v17
	v_mov_b32_dpp v16, v18 row_shr:1 row_mask:0xf bank_mask:0xf
	s_delay_alu instid0(VALU_DEP_3)
	v_cmpx_ne_u32_e32 0, v15
	s_cbranch_execz .LBB62_124
; %bb.123:
	s_delay_alu instid0(VALU_DEP_2) | instskip(SKIP_3) | instid1(VALU_DEP_4)
	v_lshrrev_b32_e32 v14, 16, v16
	v_lshrrev_b32_e32 v18, 16, v17
	v_and_b32_e32 v17, 0x10000, v17
	v_max_i16 v16, v16, v7
	v_and_b32_e32 v14, 1, v14
	s_delay_alu instid0(VALU_DEP_4) | instskip(NEXT) | instid1(VALU_DEP_4)
	v_and_b32_e32 v18, 0xff, v18
	v_cmp_ne_u32_e64 s26, 0, v17
	s_delay_alu instid0(VALU_DEP_1) | instskip(NEXT) | instid1(VALU_DEP_3)
	v_cndmask_b32_e64 v14, v14, 1, s26
	v_cmp_eq_u16_e64 s26, 0, v18
	s_delay_alu instid0(VALU_DEP_1) | instskip(NEXT) | instid1(VALU_DEP_3)
	v_cndmask_b32_e64 v7, v7, v16, s26
	v_lshlrev_b32_e32 v16, 16, v14
	s_delay_alu instid0(VALU_DEP_2) | instskip(NEXT) | instid1(VALU_DEP_1)
	v_and_b32_e32 v17, 0xffff, v7
	v_or3_b32 v18, v16, v17, v5
.LBB62_124:
	s_or_b32 exec_lo, exec_lo, s27
	s_delay_alu instid0(VALU_DEP_1)
	v_lshrrev_b32_e32 v17, 16, v18
	v_mov_b32_dpp v19, v18 row_shr:2 row_mask:0xf bank_mask:0xf
	v_mov_b32_e32 v16, v18
	s_mov_b32 s27, exec_lo
	v_cmpx_lt_u32_e32 1, v15
	s_cbranch_execz .LBB62_126
; %bb.125:
	v_and_b32_e32 v14, 0xff, v17
	v_lshrrev_b32_e32 v7, 16, v19
	v_max_i16 v16, v19, v18
	s_delay_alu instid0(VALU_DEP_3) | instskip(NEXT) | instid1(VALU_DEP_3)
	v_cmp_eq_u16_e64 s26, 0, v14
	v_and_b32_e32 v19, 1, v7
	s_delay_alu instid0(VALU_DEP_2) | instskip(NEXT) | instid1(VALU_DEP_1)
	v_cndmask_b32_e64 v7, v18, v16, s26
	v_dual_mov_b32 v16, v7 :: v_dual_and_b32 v17, 0x10000, v18
	s_delay_alu instid0(VALU_DEP_1) | instskip(SKIP_1) | instid1(VALU_DEP_2)
	v_cmp_ne_u32_e64 s26, 0, v17
	v_and_b32_e32 v17, 0xffff, v7
	v_cndmask_b32_e64 v14, v19, 1, s26
	s_delay_alu instid0(VALU_DEP_1) | instskip(NEXT) | instid1(VALU_DEP_1)
	v_lshlrev_b32_e32 v18, 16, v14
	v_or3_b32 v18, v18, v17, v5
	v_mov_b32_e32 v17, v14
.LBB62_126:
	s_or_b32 exec_lo, exec_lo, s27
	s_delay_alu instid0(VALU_DEP_2)
	v_mov_b32_dpp v19, v18 row_shr:4 row_mask:0xf bank_mask:0xf
	s_mov_b32 s27, exec_lo
	v_cmpx_lt_u32_e32 3, v15
	s_cbranch_execz .LBB62_128
; %bb.127:
	v_and_b32_e32 v14, 0xff, v17
	v_lshrrev_b32_e32 v7, 16, v19
	v_max_i16 v18, v19, v16
	s_delay_alu instid0(VALU_DEP_3) | instskip(NEXT) | instid1(VALU_DEP_3)
	v_cmp_eq_u16_e64 s26, 0, v14
	v_and_b32_e32 v19, 1, v7
	s_delay_alu instid0(VALU_DEP_2) | instskip(NEXT) | instid1(VALU_DEP_1)
	v_cndmask_b32_e64 v7, v16, v18, s26
	v_dual_mov_b32 v16, v7 :: v_dual_and_b32 v17, 1, v17
	s_delay_alu instid0(VALU_DEP_1) | instskip(SKIP_1) | instid1(VALU_DEP_2)
	v_cmp_eq_u32_e64 s26, 1, v17
	v_and_b32_e32 v17, 0xffff, v7
	v_cndmask_b32_e64 v14, v19, 1, s26
	s_delay_alu instid0(VALU_DEP_1) | instskip(NEXT) | instid1(VALU_DEP_1)
	v_lshlrev_b32_e32 v18, 16, v14
	v_or3_b32 v18, v18, v17, v5
	v_mov_b32_e32 v17, v14
.LBB62_128:
	s_or_b32 exec_lo, exec_lo, s27
	s_delay_alu instid0(VALU_DEP_2)
	v_mov_b32_dpp v19, v18 row_shr:8 row_mask:0xf bank_mask:0xf
	s_mov_b32 s27, exec_lo
	v_cmpx_lt_u32_e32 7, v15
	s_cbranch_execz .LBB62_130
; %bb.129:
	v_and_b32_e32 v14, 0xff, v17
	v_lshrrev_b32_e32 v7, 16, v19
	v_max_i16 v15, v19, v16
	s_delay_alu instid0(VALU_DEP_3) | instskip(NEXT) | instid1(VALU_DEP_3)
	v_cmp_eq_u16_e64 s26, 0, v14
	v_and_b32_e32 v18, 1, v7
	s_delay_alu instid0(VALU_DEP_2) | instskip(NEXT) | instid1(VALU_DEP_1)
	v_cndmask_b32_e64 v7, v16, v15, s26
	v_dual_mov_b32 v16, v7 :: v_dual_and_b32 v17, 1, v17
	s_delay_alu instid0(VALU_DEP_1) | instskip(SKIP_1) | instid1(VALU_DEP_2)
	v_cmp_eq_u32_e64 s26, 1, v17
	v_and_b32_e32 v15, 0xffff, v7
	v_cndmask_b32_e64 v14, v18, 1, s26
	s_delay_alu instid0(VALU_DEP_1) | instskip(NEXT) | instid1(VALU_DEP_1)
	v_lshlrev_b32_e32 v17, 16, v14
	v_or3_b32 v18, v17, v15, v5
	v_mov_b32_e32 v17, v14
.LBB62_130:
	s_or_b32 exec_lo, exec_lo, s27
	ds_swizzle_b32 v15, v18 offset:swizzle(BROADCAST,32,15)
	v_and_b32_e32 v18, 16, v6
	s_mov_b32 s27, exec_lo
	s_delay_alu instid0(VALU_DEP_1)
	v_cmpx_ne_u32_e32 0, v18
	s_cbranch_execz .LBB62_132
; %bb.131:
	s_waitcnt lgkmcnt(0)
	v_lshrrev_b32_e32 v7, 16, v15
	v_and_b32_e32 v14, 1, v17
	v_and_b32_e32 v17, 0xff, v17
	v_max_i16 v15, v15, v16
	s_delay_alu instid0(VALU_DEP_4) | instskip(NEXT) | instid1(VALU_DEP_4)
	v_and_b32_e32 v7, 1, v7
	v_cmp_eq_u32_e64 s26, 1, v14
	s_delay_alu instid0(VALU_DEP_1) | instskip(SKIP_1) | instid1(VALU_DEP_1)
	v_cndmask_b32_e64 v14, v7, 1, s26
	v_cmp_eq_u16_e64 s26, 0, v17
	v_cndmask_b32_e64 v7, v16, v15, s26
.LBB62_132:
	s_or_b32 exec_lo, exec_lo, s27
	s_waitcnt lgkmcnt(0)
	v_add_nc_u32_e32 v15, -1, v6
	v_and_b32_e32 v14, 0xff, v14
	v_and_b32_e32 v7, 0xffff, v7
	v_cmp_eq_u32_e64 s27, 0, v4
	s_delay_alu instid0(VALU_DEP_4) | instskip(NEXT) | instid1(VALU_DEP_4)
	v_cmp_gt_i32_e64 s26, 0, v15
	v_lshlrev_b32_e32 v14, 16, v14
	s_delay_alu instid0(VALU_DEP_2) | instskip(NEXT) | instid1(VALU_DEP_2)
	v_cndmask_b32_e64 v6, v15, v6, s26
	v_or3_b32 v5, v14, v7, v5
	s_delay_alu instid0(VALU_DEP_2) | instskip(SKIP_2) | instid1(VALU_DEP_1)
	v_lshlrev_b32_e32 v6, 2, v6
	ds_bpermute_b32 v5, v6, v5
	v_and_b32_e32 v6, 0xff0000, v3
	v_cmp_eq_u32_e64 s26, 0, v6
	s_waitcnt lgkmcnt(0)
	v_max_i16 v7, v5, v3
	v_lshrrev_b32_e32 v5, 16, v5
	s_delay_alu instid0(VALU_DEP_2) | instskip(SKIP_1) | instid1(VALU_DEP_3)
	v_cndmask_b32_e64 v3, v3, v7, s26
	v_cmp_eq_u32_e64 s26, 0, v0
	v_and_b32_e32 v5, 1, v5
	s_delay_alu instid0(VALU_DEP_2) | instskip(NEXT) | instid1(VALU_DEP_2)
	v_cndmask_b32_e64 v3, v3, v12, s26
	v_cndmask_b32_e64 v4, 1, v5, s27
	s_delay_alu instid0(VALU_DEP_2) | instskip(NEXT) | instid1(VALU_DEP_2)
	v_max_i16 v5, v3, v2
	v_cndmask_b32_e64 v4, v4, v13, s26
	s_delay_alu instid0(VALU_DEP_2) | instskip(NEXT) | instid1(VALU_DEP_2)
	v_cndmask_b32_e64 v2, v2, v5, s24
	v_cndmask_b32_e64 v5, v4, 1, s25
	ds_store_b16 v1, v3
	ds_store_b8 v1, v4 offset:2
	ds_store_b16 v1, v2 offset:4
	ds_store_b8 v1, v5 offset:6
.LBB62_133:
	s_or_b32 exec_lo, exec_lo, s34
	v_cmp_eq_u32_e64 s24, 0, v0
	s_mov_b32 s26, exec_lo
	s_waitcnt lgkmcnt(0)
	s_barrier
	buffer_gl0_inv
	v_cmpx_ne_u32_e32 0, v0
	s_cbranch_execz .LBB62_135
; %bb.134:
	v_add_nc_u32_e32 v1, -1, v0
	s_delay_alu instid0(VALU_DEP_1) | instskip(NEXT) | instid1(VALU_DEP_1)
	v_lshrrev_b32_e32 v2, 5, v1
	v_add_lshl_u32 v1, v2, v1, 2
	ds_load_u16 v12, v1
	ds_load_u8 v13, v1 offset:2
.LBB62_135:
	s_or_b32 exec_lo, exec_lo, s26
	s_and_saveexec_b32 s34, vcc_lo
	s_cbranch_execz .LBB62_174
; %bb.136:
	v_mov_b32_e32 v4, 0
	v_mbcnt_lo_u32_b32 v23, -1, 0
	s_mov_b32 s27, 0
	ds_load_b32 v1, v4 offset:256
	v_cmp_eq_u32_e64 s25, 0, v23
	s_delay_alu instid0(VALU_DEP_1)
	s_and_saveexec_b32 s35, s25
	s_cbranch_execz .LBB62_138
; %bb.137:
	s_add_i32 s26, s15, 32
	v_mov_b32_e32 v2, 1
	s_lshl_b64 s[26:27], s[26:27], 3
	s_delay_alu instid0(SALU_CYCLE_1)
	s_add_u32 s26, s36, s26
	s_addc_u32 s27, s37, s27
	s_waitcnt lgkmcnt(0)
	global_store_b64 v4, v[1:2], s[26:27]
.LBB62_138:
	s_or_b32 exec_lo, exec_lo, s35
	v_xad_u32 v2, v23, -1, s15
	s_mov_b32 s26, exec_lo
	s_delay_alu instid0(VALU_DEP_1) | instskip(NEXT) | instid1(VALU_DEP_1)
	v_add_nc_u32_e32 v3, 32, v2
	v_lshlrev_b64 v[3:4], 3, v[3:4]
	s_delay_alu instid0(VALU_DEP_1) | instskip(NEXT) | instid1(VALU_DEP_2)
	v_add_co_u32 v6, vcc_lo, s36, v3
	v_add_co_ci_u32_e32 v7, vcc_lo, s37, v4, vcc_lo
	global_load_b64 v[4:5], v[6:7], off glc
	s_waitcnt vmcnt(0)
	v_and_b32_e32 v3, 0xff, v5
	s_delay_alu instid0(VALU_DEP_1)
	v_cmpx_eq_u16_e32 0, v3
	s_cbranch_execz .LBB62_142
; %bb.139:
	s_mov_b32 s27, 0
.LBB62_140:                             ; =>This Inner Loop Header: Depth=1
	global_load_b64 v[4:5], v[6:7], off glc
	s_waitcnt vmcnt(0)
	v_and_b32_e32 v3, 0xff, v5
	s_delay_alu instid0(VALU_DEP_1) | instskip(SKIP_1) | instid1(SALU_CYCLE_1)
	v_cmp_ne_u16_e32 vcc_lo, 0, v3
	s_or_b32 s27, vcc_lo, s27
	s_and_not1_b32 exec_lo, exec_lo, s27
	s_cbranch_execnz .LBB62_140
; %bb.141:
	s_or_b32 exec_lo, exec_lo, s27
.LBB62_142:
	s_delay_alu instid0(SALU_CYCLE_1)
	s_or_b32 exec_lo, exec_lo, s26
	v_cmp_ne_u32_e32 vcc_lo, 31, v23
	v_and_b32_e32 v24, 0xffffff, v4
	v_and_b32_e32 v6, 0xff, v5
	v_lshlrev_b32_e64 v15, v23, -1
	v_add_nc_u32_e32 v16, 1, v23
	v_add_co_ci_u32_e32 v3, vcc_lo, 0, v23, vcc_lo
	s_delay_alu instid0(VALU_DEP_4) | instskip(SKIP_2) | instid1(VALU_DEP_4)
	v_cmp_eq_u16_e32 vcc_lo, 2, v6
	v_lshrrev_b32_e32 v6, 16, v4
	v_bfe_u32 v7, v4, 16, 8
	v_lshlrev_b32_e32 v14, 2, v3
	s_mov_b32 s26, exec_lo
	v_and_or_b32 v3, vcc_lo, v15, 0x80000000
	ds_bpermute_b32 v17, v14, v24
	v_ctz_i32_b32_e32 v3, v3
	s_delay_alu instid0(VALU_DEP_1)
	v_cmpx_le_u32_e64 v16, v3
	s_cbranch_execz .LBB62_144
; %bb.143:
	v_and_b32_e32 v6, 0xff0000, v4
	s_waitcnt lgkmcnt(0)
	v_lshrrev_b32_e32 v7, 16, v17
	v_max_i16 v17, v17, v4
	s_delay_alu instid0(VALU_DEP_3) | instskip(SKIP_1) | instid1(VALU_DEP_3)
	v_and_b32_e32 v18, 0x10000, v6
	v_cmp_eq_u32_e32 vcc_lo, 0, v6
	v_dual_cndmask_b32 v4, v4, v17 :: v_dual_and_b32 v7, 1, v7
	s_delay_alu instid0(VALU_DEP_3) | instskip(NEXT) | instid1(VALU_DEP_2)
	v_cmp_ne_u32_e32 vcc_lo, 0, v18
	v_cndmask_b32_e64 v6, v7, 1, vcc_lo
	s_delay_alu instid0(VALU_DEP_3) | instskip(NEXT) | instid1(VALU_DEP_2)
	v_and_b32_e32 v7, 0xffff, v4
	v_lshlrev_b32_e32 v17, 16, v6
	s_delay_alu instid0(VALU_DEP_1)
	v_or_b32_e32 v24, v17, v7
	v_mov_b32_e32 v7, v6
.LBB62_144:
	s_or_b32 exec_lo, exec_lo, s26
	v_cmp_gt_u32_e32 vcc_lo, 30, v23
	v_add_nc_u32_e32 v18, 2, v23
	s_mov_b32 s26, exec_lo
	s_waitcnt lgkmcnt(0)
	v_cndmask_b32_e64 v17, 0, 1, vcc_lo
	s_delay_alu instid0(VALU_DEP_1) | instskip(NEXT) | instid1(VALU_DEP_1)
	v_lshlrev_b32_e32 v17, 1, v17
	v_add_lshl_u32 v17, v17, v23, 2
	ds_bpermute_b32 v19, v17, v24
	v_cmpx_le_u32_e64 v18, v3
	s_cbranch_execz .LBB62_146
; %bb.145:
	s_waitcnt lgkmcnt(0)
	v_lshrrev_b32_e32 v6, 16, v19
	v_max_i16 v19, v19, v4
	v_and_b32_e32 v20, 1, v7
	v_cmp_eq_u16_e32 vcc_lo, 0, v7
	s_delay_alu instid0(VALU_DEP_4) | instskip(NEXT) | instid1(VALU_DEP_4)
	v_and_b32_e32 v6, 1, v6
	v_cndmask_b32_e32 v4, v4, v19, vcc_lo
	s_delay_alu instid0(VALU_DEP_4) | instskip(NEXT) | instid1(VALU_DEP_3)
	v_cmp_eq_u32_e32 vcc_lo, 1, v20
	v_cndmask_b32_e64 v6, v6, 1, vcc_lo
	s_delay_alu instid0(VALU_DEP_1) | instskip(NEXT) | instid1(VALU_DEP_4)
	v_lshlrev_b32_e32 v19, 16, v6
	v_and_b32_e32 v7, 0xffff, v4
	s_delay_alu instid0(VALU_DEP_1)
	v_or_b32_e32 v24, v19, v7
	v_mov_b32_e32 v7, v6
.LBB62_146:
	s_or_b32 exec_lo, exec_lo, s26
	v_cmp_gt_u32_e32 vcc_lo, 28, v23
	v_add_nc_u32_e32 v20, 4, v23
	s_mov_b32 s26, exec_lo
	s_waitcnt lgkmcnt(0)
	v_cndmask_b32_e64 v19, 0, 1, vcc_lo
	s_delay_alu instid0(VALU_DEP_1) | instskip(NEXT) | instid1(VALU_DEP_1)
	v_lshlrev_b32_e32 v19, 2, v19
	v_add_lshl_u32 v19, v19, v23, 2
	ds_bpermute_b32 v21, v19, v24
	v_cmpx_le_u32_e64 v20, v3
	s_cbranch_execz .LBB62_148
; %bb.147:
	s_waitcnt lgkmcnt(0)
	v_lshrrev_b32_e32 v6, 16, v21
	v_max_i16 v21, v21, v4
	v_and_b32_e32 v22, 1, v7
	v_cmp_eq_u16_e32 vcc_lo, 0, v7
	s_delay_alu instid0(VALU_DEP_4) | instskip(NEXT) | instid1(VALU_DEP_4)
	v_and_b32_e32 v6, 1, v6
	v_cndmask_b32_e32 v4, v4, v21, vcc_lo
	s_delay_alu instid0(VALU_DEP_4) | instskip(NEXT) | instid1(VALU_DEP_3)
	v_cmp_eq_u32_e32 vcc_lo, 1, v22
	v_cndmask_b32_e64 v6, v6, 1, vcc_lo
	s_delay_alu instid0(VALU_DEP_1) | instskip(NEXT) | instid1(VALU_DEP_4)
	v_lshlrev_b32_e32 v21, 16, v6
	v_and_b32_e32 v7, 0xffff, v4
	s_delay_alu instid0(VALU_DEP_1)
	v_or_b32_e32 v24, v21, v7
	v_mov_b32_e32 v7, v6
.LBB62_148:
	s_or_b32 exec_lo, exec_lo, s26
	v_cmp_gt_u32_e32 vcc_lo, 24, v23
	v_add_nc_u32_e32 v22, 8, v23
	s_mov_b32 s26, exec_lo
	s_waitcnt lgkmcnt(0)
	v_cndmask_b32_e64 v21, 0, 1, vcc_lo
	s_delay_alu instid0(VALU_DEP_1) | instskip(NEXT) | instid1(VALU_DEP_1)
	v_lshlrev_b32_e32 v21, 3, v21
	v_add_lshl_u32 v21, v21, v23, 2
	ds_bpermute_b32 v25, v21, v24
	v_cmpx_le_u32_e64 v22, v3
	s_cbranch_execz .LBB62_150
; %bb.149:
	s_waitcnt lgkmcnt(0)
	v_lshrrev_b32_e32 v6, 16, v25
	v_max_i16 v24, v25, v4
	v_cmp_eq_u16_e32 vcc_lo, 0, v7
	v_and_b32_e32 v25, 1, v7
	s_delay_alu instid0(VALU_DEP_4) | instskip(NEXT) | instid1(VALU_DEP_4)
	v_and_b32_e32 v6, 1, v6
	v_cndmask_b32_e32 v4, v4, v24, vcc_lo
	s_delay_alu instid0(VALU_DEP_3) | instskip(NEXT) | instid1(VALU_DEP_2)
	v_cmp_eq_u32_e32 vcc_lo, 1, v25
	v_and_b32_e32 v7, 0xffff, v4
	s_delay_alu instid0(VALU_DEP_4) | instskip(NEXT) | instid1(VALU_DEP_1)
	v_cndmask_b32_e64 v6, v6, 1, vcc_lo
	v_lshlrev_b32_e32 v24, 16, v6
	s_delay_alu instid0(VALU_DEP_1)
	v_or_b32_e32 v24, v24, v7
	v_mov_b32_e32 v7, v6
.LBB62_150:
	s_or_b32 exec_lo, exec_lo, s26
	v_cmp_gt_u32_e32 vcc_lo, 16, v23
	v_add_nc_u32_e32 v26, 16, v23
	s_mov_b32 s26, exec_lo
	s_waitcnt lgkmcnt(0)
	v_cndmask_b32_e64 v25, 0, 1, vcc_lo
	s_delay_alu instid0(VALU_DEP_1) | instskip(NEXT) | instid1(VALU_DEP_1)
	v_lshlrev_b32_e32 v25, 4, v25
	v_add_lshl_u32 v25, v25, v23, 2
	ds_bpermute_b32 v24, v25, v24
	v_cmpx_le_u32_e64 v26, v3
	s_cbranch_execz .LBB62_152
; %bb.151:
	s_waitcnt lgkmcnt(0)
	v_lshrrev_b32_e32 v3, 16, v24
	v_max_i16 v6, v24, v4
	v_cmp_eq_u16_e32 vcc_lo, 0, v7
	v_and_b32_e32 v23, 1, v7
	s_delay_alu instid0(VALU_DEP_3) | instskip(NEXT) | instid1(VALU_DEP_2)
	v_dual_cndmask_b32 v4, v4, v6 :: v_dual_and_b32 v3, 1, v3
	v_cmp_eq_u32_e32 vcc_lo, 1, v23
	s_delay_alu instid0(VALU_DEP_2)
	v_cndmask_b32_e64 v6, v3, 1, vcc_lo
.LBB62_152:
	s_or_b32 exec_lo, exec_lo, s26
	v_mov_b32_e32 v3, 0
	s_branch .LBB62_154
.LBB62_153:                             ;   in Loop: Header=BB62_154 Depth=1
	s_or_b32 exec_lo, exec_lo, s26
	v_and_b32_e32 v6, 0xff, v23
	v_max_i16 v4, v4, v24
	v_and_b32_e32 v7, 1, v7
	v_subrev_nc_u32_e32 v2, 32, v2
	s_delay_alu instid0(VALU_DEP_4) | instskip(NEXT) | instid1(VALU_DEP_4)
	v_cmp_eq_u16_e32 vcc_lo, 0, v6
	v_dual_cndmask_b32 v4, v24, v4 :: v_dual_and_b32 v49, 1, v23
	s_delay_alu instid0(VALU_DEP_1)
	v_cmp_eq_u32_e32 vcc_lo, 1, v49
	v_cndmask_b32_e64 v6, v7, 1, vcc_lo
.LBB62_154:                             ; =>This Loop Header: Depth=1
                                        ;     Child Loop BB62_157 Depth 2
	s_waitcnt lgkmcnt(0)
	s_delay_alu instid0(VALU_DEP_3) | instskip(NEXT) | instid1(VALU_DEP_2)
	v_dual_mov_b32 v24, v4 :: v_dual_and_b32 v5, 0xff, v5
	v_mov_b32_e32 v23, v6
	s_delay_alu instid0(VALU_DEP_2) | instskip(SKIP_2) | instid1(VALU_DEP_1)
	v_cmp_ne_u16_e32 vcc_lo, 2, v5
	v_cndmask_b32_e64 v5, 0, 1, vcc_lo
	;;#ASMSTART
	;;#ASMEND
	v_cmp_ne_u32_e32 vcc_lo, 0, v5
	s_cmp_lg_u32 vcc_lo, exec_lo
	s_cbranch_scc1 .LBB62_169
; %bb.155:                              ;   in Loop: Header=BB62_154 Depth=1
	v_lshlrev_b64 v[4:5], 3, v[2:3]
	s_mov_b32 s26, exec_lo
	s_delay_alu instid0(VALU_DEP_1) | instskip(NEXT) | instid1(VALU_DEP_2)
	v_add_co_u32 v6, vcc_lo, s36, v4
	v_add_co_ci_u32_e32 v7, vcc_lo, s37, v5, vcc_lo
	global_load_b64 v[4:5], v[6:7], off glc
	s_waitcnt vmcnt(0)
	v_and_b32_e32 v49, 0xff, v5
	s_delay_alu instid0(VALU_DEP_1)
	v_cmpx_eq_u16_e32 0, v49
	s_cbranch_execz .LBB62_159
; %bb.156:                              ;   in Loop: Header=BB62_154 Depth=1
	s_mov_b32 s27, 0
.LBB62_157:                             ;   Parent Loop BB62_154 Depth=1
                                        ; =>  This Inner Loop Header: Depth=2
	global_load_b64 v[4:5], v[6:7], off glc
	s_waitcnt vmcnt(0)
	v_and_b32_e32 v49, 0xff, v5
	s_delay_alu instid0(VALU_DEP_1) | instskip(SKIP_1) | instid1(SALU_CYCLE_1)
	v_cmp_ne_u16_e32 vcc_lo, 0, v49
	s_or_b32 s27, vcc_lo, s27
	s_and_not1_b32 exec_lo, exec_lo, s27
	s_cbranch_execnz .LBB62_157
; %bb.158:                              ;   in Loop: Header=BB62_154 Depth=1
	s_or_b32 exec_lo, exec_lo, s27
.LBB62_159:                             ;   in Loop: Header=BB62_154 Depth=1
	s_delay_alu instid0(SALU_CYCLE_1)
	s_or_b32 exec_lo, exec_lo, s26
	v_and_b32_e32 v50, 0xffffff, v4
	v_and_b32_e32 v6, 0xff, v5
	v_lshrrev_b32_e32 v7, 16, v4
	v_bfe_u32 v49, v4, 16, 8
	s_mov_b32 s26, exec_lo
	ds_bpermute_b32 v51, v14, v50
	v_cmp_eq_u16_e32 vcc_lo, 2, v6
	v_and_or_b32 v6, vcc_lo, v15, 0x80000000
	s_delay_alu instid0(VALU_DEP_1) | instskip(NEXT) | instid1(VALU_DEP_1)
	v_ctz_i32_b32_e32 v6, v6
	v_cmpx_le_u32_e64 v16, v6
	s_cbranch_execz .LBB62_161
; %bb.160:                              ;   in Loop: Header=BB62_154 Depth=1
	s_waitcnt lgkmcnt(0)
	v_max_i16 v50, v51, v4
	v_and_b32_e32 v7, 0xff0000, v4
	v_lshrrev_b32_e32 v49, 16, v51
	s_delay_alu instid0(VALU_DEP_2) | instskip(NEXT) | instid1(VALU_DEP_2)
	v_cmp_eq_u32_e32 vcc_lo, 0, v7
	v_dual_cndmask_b32 v4, v4, v50 :: v_dual_and_b32 v49, 1, v49
	v_and_b32_e32 v51, 0x10000, v7
	s_delay_alu instid0(VALU_DEP_1) | instskip(NEXT) | instid1(VALU_DEP_3)
	v_cmp_ne_u32_e32 vcc_lo, 0, v51
	v_cndmask_b32_e64 v7, v49, 1, vcc_lo
	s_delay_alu instid0(VALU_DEP_4) | instskip(NEXT) | instid1(VALU_DEP_2)
	v_and_b32_e32 v49, 0xffff, v4
	v_lshlrev_b32_e32 v50, 16, v7
	s_delay_alu instid0(VALU_DEP_1)
	v_or_b32_e32 v50, v50, v49
	v_mov_b32_e32 v49, v7
.LBB62_161:                             ;   in Loop: Header=BB62_154 Depth=1
	s_or_b32 exec_lo, exec_lo, s26
	s_waitcnt lgkmcnt(0)
	ds_bpermute_b32 v51, v17, v50
	s_mov_b32 s26, exec_lo
	v_cmpx_le_u32_e64 v18, v6
	s_cbranch_execz .LBB62_163
; %bb.162:                              ;   in Loop: Header=BB62_154 Depth=1
	s_waitcnt lgkmcnt(0)
	v_lshrrev_b32_e32 v7, 16, v51
	v_max_i16 v50, v51, v4
	v_cmp_eq_u16_e32 vcc_lo, 0, v49
	v_and_b32_e32 v51, 1, v49
	s_delay_alu instid0(VALU_DEP_3) | instskip(NEXT) | instid1(VALU_DEP_2)
	v_dual_cndmask_b32 v4, v4, v50 :: v_dual_and_b32 v7, 1, v7
	v_cmp_eq_u32_e32 vcc_lo, 1, v51
	s_delay_alu instid0(VALU_DEP_2) | instskip(NEXT) | instid1(VALU_DEP_3)
	v_and_b32_e32 v49, 0xffff, v4
	v_cndmask_b32_e64 v7, v7, 1, vcc_lo
	s_delay_alu instid0(VALU_DEP_1) | instskip(NEXT) | instid1(VALU_DEP_1)
	v_lshlrev_b32_e32 v50, 16, v7
	v_or_b32_e32 v50, v50, v49
	v_mov_b32_e32 v49, v7
.LBB62_163:                             ;   in Loop: Header=BB62_154 Depth=1
	s_or_b32 exec_lo, exec_lo, s26
	s_waitcnt lgkmcnt(0)
	ds_bpermute_b32 v51, v19, v50
	s_mov_b32 s26, exec_lo
	v_cmpx_le_u32_e64 v20, v6
	s_cbranch_execz .LBB62_165
; %bb.164:                              ;   in Loop: Header=BB62_154 Depth=1
	s_waitcnt lgkmcnt(0)
	v_lshrrev_b32_e32 v7, 16, v51
	v_max_i16 v50, v51, v4
	v_cmp_eq_u16_e32 vcc_lo, 0, v49
	v_and_b32_e32 v51, 1, v49
	s_delay_alu instid0(VALU_DEP_3) | instskip(NEXT) | instid1(VALU_DEP_2)
	v_dual_cndmask_b32 v4, v4, v50 :: v_dual_and_b32 v7, 1, v7
	v_cmp_eq_u32_e32 vcc_lo, 1, v51
	s_delay_alu instid0(VALU_DEP_2) | instskip(NEXT) | instid1(VALU_DEP_3)
	v_and_b32_e32 v49, 0xffff, v4
	v_cndmask_b32_e64 v7, v7, 1, vcc_lo
	s_delay_alu instid0(VALU_DEP_1) | instskip(NEXT) | instid1(VALU_DEP_1)
	v_lshlrev_b32_e32 v50, 16, v7
	v_or_b32_e32 v50, v50, v49
	v_mov_b32_e32 v49, v7
.LBB62_165:                             ;   in Loop: Header=BB62_154 Depth=1
	;; [unrolled: 23-line block ×3, first 2 shown]
	s_or_b32 exec_lo, exec_lo, s26
	ds_bpermute_b32 v50, v25, v50
	s_mov_b32 s26, exec_lo
	v_cmpx_le_u32_e64 v26, v6
	s_cbranch_execz .LBB62_153
; %bb.168:                              ;   in Loop: Header=BB62_154 Depth=1
	s_waitcnt lgkmcnt(0)
	v_max_i16 v6, v50, v4
	v_cmp_eq_u16_e32 vcc_lo, 0, v49
	v_and_b32_e32 v7, 1, v49
	v_lshrrev_b32_e32 v50, 16, v50
	s_delay_alu instid0(VALU_DEP_4) | instskip(NEXT) | instid1(VALU_DEP_3)
	v_cndmask_b32_e32 v4, v4, v6, vcc_lo
	v_cmp_eq_u32_e32 vcc_lo, 1, v7
	s_delay_alu instid0(VALU_DEP_3)
	v_cndmask_b32_e64 v7, v50, 1, vcc_lo
	s_branch .LBB62_153
.LBB62_169:                             ;   in Loop: Header=BB62_154 Depth=1
                                        ; implicit-def: $vgpr6
                                        ; implicit-def: $vgpr4
	s_cbranch_execz .LBB62_154
; %bb.170:
	s_and_saveexec_b32 s26, s25
	s_cbranch_execz .LBB62_172
; %bb.171:
	v_and_b32_e32 v3, 0xff0000, v1
	v_max_i16 v4, v24, v1
	v_and_b32_e32 v5, 0x10000, v1
	s_mov_b32 s41, 0
	s_add_i32 s40, s15, 32
	v_cmp_eq_u32_e32 vcc_lo, 0, v3
	v_and_b32_e32 v2, 1, v23
	s_lshl_b64 s[40:41], s[40:41], 3
	v_mov_b32_e32 v3, 0
	s_add_u32 s40, s36, s40
	s_delay_alu instid0(VALU_DEP_2) | instskip(SKIP_2) | instid1(VALU_DEP_2)
	v_dual_cndmask_b32 v1, v1, v4 :: v_dual_lshlrev_b32 v2, 16, v2
	v_cmp_eq_u32_e32 vcc_lo, 0, v5
	s_addc_u32 s41, s37, s41
	v_and_b32_e32 v1, 0xffff, v1
	s_delay_alu instid0(VALU_DEP_3) | instskip(NEXT) | instid1(VALU_DEP_1)
	v_cndmask_b32_e32 v2, 0x10000, v2, vcc_lo
	v_or_b32_e32 v1, v2, v1
	v_mov_b32_e32 v2, 2
	global_store_b64 v3, v[1:2], s[40:41]
.LBB62_172:
	s_or_b32 exec_lo, exec_lo, s26
	s_delay_alu instid0(SALU_CYCLE_1)
	s_and_b32 exec_lo, exec_lo, s24
	s_cbranch_execz .LBB62_174
; %bb.173:
	v_mov_b32_e32 v1, 0
	ds_store_b16 v1, v24
	ds_store_b8 v1, v23 offset:2
.LBB62_174:
	s_or_b32 exec_lo, exec_lo, s34
	v_dual_mov_b32 v1, 0 :: v_dual_and_b32 v2, 0x10000, v28
	s_waitcnt lgkmcnt(0)
	s_waitcnt_vscnt null, 0x0
	s_barrier
	buffer_gl0_inv
	ds_load_b32 v1, v1
	v_cmp_ne_u32_e32 vcc_lo, 0, v2
	v_max_i16 v3, v12, v28
	v_cndmask_b32_e64 v2, v13, 1, vcc_lo
	v_cmp_gt_u32_e32 vcc_lo, 0x10000, v28
	s_delay_alu instid0(VALU_DEP_2) | instskip(NEXT) | instid1(VALU_DEP_1)
	v_cndmask_b32_e64 v2, v2, v11, s24
	v_dual_cndmask_b32 v3, v28, v3 :: v_dual_and_b32 v2, 0xff, v2
	s_delay_alu instid0(VALU_DEP_1) | instskip(NEXT) | instid1(VALU_DEP_2)
	v_cndmask_b32_e64 v3, v3, v28, s24
	v_cmp_eq_u16_e32 vcc_lo, 0, v2
	s_waitcnt lgkmcnt(0)
	s_delay_alu instid0(VALU_DEP_2) | instskip(NEXT) | instid1(VALU_DEP_1)
	v_max_i16 v1, v1, v3
	v_cndmask_b32_e32 v24, v3, v1, vcc_lo
	s_delay_alu instid0(VALU_DEP_1) | instskip(SKIP_1) | instid1(VALU_DEP_2)
	v_max_i16 v1, v24, v29
	v_and_b32_e32 v25, 0xffff, v24
	v_cndmask_b32_e64 v1, v29, v1, s23
	s_delay_alu instid0(VALU_DEP_1) | instskip(NEXT) | instid1(VALU_DEP_1)
	v_max_i16 v2, v1, v30
	v_cndmask_b32_e64 v2, v30, v2, s22
	s_delay_alu instid0(VALU_DEP_1) | instskip(NEXT) | instid1(VALU_DEP_1)
	v_max_i16 v3, v2, v31
	;; [unrolled: 3-line block ×20, first 2 shown]
	v_cndmask_b32_e64 v24, v8, v26, s2
	s_branch .LBB62_215
.LBB62_175:
	s_or_b32 exec_lo, exec_lo, s24
                                        ; implicit-def: $vgpr30
	s_and_saveexec_b32 s24, s2
	s_cbranch_execz .LBB62_49
.LBB62_176:
	global_load_u16 v30, v[21:22], off offset:128
	s_or_b32 exec_lo, exec_lo, s24
                                        ; implicit-def: $vgpr31
	s_and_saveexec_b32 s2, s3
	s_cbranch_execnz .LBB62_50
.LBB62_177:
	s_or_b32 exec_lo, exec_lo, s2
                                        ; implicit-def: $vgpr32
	s_and_saveexec_b32 s2, s4
	s_cbranch_execz .LBB62_51
.LBB62_178:
	global_load_u16 v32, v[21:22], off offset:384
	s_or_b32 exec_lo, exec_lo, s2
                                        ; implicit-def: $vgpr33
	s_and_saveexec_b32 s2, s5
	s_cbranch_execnz .LBB62_52
.LBB62_179:
	s_or_b32 exec_lo, exec_lo, s2
                                        ; implicit-def: $vgpr34
	s_and_saveexec_b32 s2, s6
	s_cbranch_execz .LBB62_53
.LBB62_180:
	global_load_u16 v34, v[21:22], off offset:640
	s_or_b32 exec_lo, exec_lo, s2
                                        ; implicit-def: $vgpr35
	s_and_saveexec_b32 s2, s7
	s_cbranch_execnz .LBB62_54
.LBB62_181:
	s_or_b32 exec_lo, exec_lo, s2
                                        ; implicit-def: $vgpr36
	s_and_saveexec_b32 s2, s8
	s_cbranch_execz .LBB62_55
.LBB62_182:
	global_load_u16 v36, v[21:22], off offset:896
	s_or_b32 exec_lo, exec_lo, s2
                                        ; implicit-def: $vgpr37
	s_and_saveexec_b32 s2, s9
	s_cbranch_execnz .LBB62_56
.LBB62_183:
	s_or_b32 exec_lo, exec_lo, s2
                                        ; implicit-def: $vgpr38
	s_and_saveexec_b32 s2, s10
	s_cbranch_execz .LBB62_57
.LBB62_184:
	global_load_u16 v38, v[21:22], off offset:1152
	s_or_b32 exec_lo, exec_lo, s2
                                        ; implicit-def: $vgpr39
	s_and_saveexec_b32 s2, s11
	s_cbranch_execnz .LBB62_58
.LBB62_185:
	s_or_b32 exec_lo, exec_lo, s2
                                        ; implicit-def: $vgpr40
	s_and_saveexec_b32 s2, s12
	s_cbranch_execz .LBB62_59
.LBB62_186:
	global_load_u16 v40, v[21:22], off offset:1408
	s_or_b32 exec_lo, exec_lo, s2
                                        ; implicit-def: $vgpr41
	s_and_saveexec_b32 s2, s13
	s_cbranch_execnz .LBB62_60
.LBB62_187:
	s_or_b32 exec_lo, exec_lo, s2
                                        ; implicit-def: $vgpr42
	s_and_saveexec_b32 s2, s14
	s_cbranch_execz .LBB62_61
.LBB62_188:
	global_load_u16 v42, v[21:22], off offset:1664
	s_or_b32 exec_lo, exec_lo, s2
                                        ; implicit-def: $vgpr43
	s_and_saveexec_b32 s2, s16
	s_cbranch_execnz .LBB62_62
.LBB62_189:
	s_or_b32 exec_lo, exec_lo, s2
                                        ; implicit-def: $vgpr44
	s_and_saveexec_b32 s2, s17
	s_cbranch_execz .LBB62_63
.LBB62_190:
	global_load_u16 v44, v[21:22], off offset:1920
	s_or_b32 exec_lo, exec_lo, s2
                                        ; implicit-def: $vgpr45
	s_and_saveexec_b32 s2, s18
	s_cbranch_execnz .LBB62_64
.LBB62_191:
	s_or_b32 exec_lo, exec_lo, s2
                                        ; implicit-def: $vgpr46
	s_and_saveexec_b32 s2, s19
	s_cbranch_execz .LBB62_65
.LBB62_192:
	global_load_u16 v46, v[21:22], off offset:2176
	s_or_b32 exec_lo, exec_lo, s2
                                        ; implicit-def: $vgpr47
	s_and_saveexec_b32 s2, s20
	s_cbranch_execnz .LBB62_66
.LBB62_193:
	s_or_b32 exec_lo, exec_lo, s2
                                        ; implicit-def: $vgpr48
	s_and_saveexec_b32 s2, s21
	s_cbranch_execz .LBB62_67
.LBB62_194:
	global_load_u16 v48, v[21:22], off offset:2432
	s_or_b32 exec_lo, exec_lo, s2
                                        ; implicit-def: $vgpr49
	s_and_saveexec_b32 s2, s22
	s_cbranch_execz .LBB62_69
	s_branch .LBB62_68
.LBB62_195:
                                        ; implicit-def: $vgpr25
                                        ; implicit-def: $vgpr1
                                        ; implicit-def: $vgpr2
                                        ; implicit-def: $vgpr3
                                        ; implicit-def: $vgpr4
                                        ; implicit-def: $vgpr5
                                        ; implicit-def: $vgpr6
                                        ; implicit-def: $vgpr7
                                        ; implicit-def: $vgpr11
                                        ; implicit-def: $vgpr12
                                        ; implicit-def: $vgpr13
                                        ; implicit-def: $vgpr14
                                        ; implicit-def: $vgpr15
                                        ; implicit-def: $vgpr16
                                        ; implicit-def: $vgpr17
                                        ; implicit-def: $vgpr18
                                        ; implicit-def: $vgpr19
                                        ; implicit-def: $vgpr20
                                        ; implicit-def: $vgpr21
                                        ; implicit-def: $vgpr22
                                        ; implicit-def: $vgpr23
                                        ; implicit-def: $vgpr24
	s_cbranch_execz .LBB62_215
; %bb.196:
	v_cmp_eq_u32_e32 vcc_lo, 0, v0
	s_cmp_lg_u64 s[30:31], 0
	v_cmp_ne_u32_e64 s2, 0, v0
	s_cselect_b32 s3, -1, 0
	s_delay_alu instid0(SALU_CYCLE_1) | instskip(NEXT) | instid1(SALU_CYCLE_1)
	s_and_b32 s3, vcc_lo, s3
	s_and_saveexec_b32 s4, s3
	s_cbranch_execz .LBB62_198
; %bb.197:
	v_mov_b32_e32 v1, 0
	v_cmp_gt_u32_e64 s3, 0x10000, v28
	v_and_b32_e32 v3, 0x10000, v28
	s_clause 0x1
	global_load_u16 v2, v1, s[30:31]
	global_load_u8 v1, v1, s[30:31] offset:2
	s_waitcnt vmcnt(1)
	v_max_i16 v2, v2, v28
	s_waitcnt vmcnt(0)
	v_and_b32_e32 v1, 1, v1
	s_delay_alu instid0(VALU_DEP_2) | instskip(NEXT) | instid1(VALU_DEP_2)
	v_cndmask_b32_e64 v2, v28, v2, s3
	v_lshlrev_b32_e32 v1, 16, v1
	v_cmp_eq_u32_e64 s3, 0, v3
	s_delay_alu instid0(VALU_DEP_3) | instskip(NEXT) | instid1(VALU_DEP_2)
	v_and_b32_e32 v2, 0xffff, v2
	v_cndmask_b32_e64 v1, 0x10000, v1, s3
	s_delay_alu instid0(VALU_DEP_1)
	v_or_b32_e32 v28, v1, v2
.LBB62_198:
	s_or_b32 exec_lo, exec_lo, s4
	s_delay_alu instid0(VALU_DEP_1)
	v_max_i16 v1, v28, v29
	v_cmp_gt_u32_e64 s3, 0x10000, v29
	v_cmp_gt_u32_e64 s4, 0x10000, v30
	;; [unrolled: 1-line block ×5, first 2 shown]
	v_cndmask_b32_e64 v1, v29, v1, s3
	v_cmp_gt_u32_e64 s8, 0x10000, v34
	v_cmp_gt_u32_e64 s9, 0x10000, v35
	;; [unrolled: 1-line block ×4, first 2 shown]
	v_max_i16 v2, v1, v30
	v_cmp_gt_u32_e64 s12, 0x10000, v38
	v_cmp_gt_u32_e64 s13, 0x10000, v39
	;; [unrolled: 1-line block ×4, first 2 shown]
	v_cndmask_b32_e64 v2, v30, v2, s4
	v_cmp_gt_u32_e64 s16, 0x10000, v42
	v_cmp_gt_u32_e64 s17, 0x10000, v43
	;; [unrolled: 1-line block ×3, first 2 shown]
	v_or3_b32 v10, v10, v44, v43
	v_max_i16 v3, v2, v31
	v_cmp_gt_u32_e64 s19, 0x10000, v45
	v_cmp_gt_u32_e64 s20, 0x10000, v46
	;; [unrolled: 1-line block ×3, first 2 shown]
	v_or3_b32 v10, v10, v42, v41
	v_cndmask_b32_e64 v3, v31, v3, s5
	v_cmp_gt_u32_e64 s22, 0x10000, v48
	v_lshrrev_b32_e32 v25, 16, v28
	v_cmp_gt_u32_e64 s23, 0x10000, v8
	v_or3_b32 v10, v10, v40, v39
	v_max_i16 v4, v3, v32
	v_add_lshl_u32 v26, v9, v0, 2
	s_mov_b32 s27, exec_lo
	s_delay_alu instid0(VALU_DEP_3) | instskip(NEXT) | instid1(VALU_DEP_3)
	v_or3_b32 v10, v10, v38, v37
	v_cndmask_b32_e64 v4, v32, v4, s6
	s_delay_alu instid0(VALU_DEP_2) | instskip(NEXT) | instid1(VALU_DEP_2)
	v_or3_b32 v10, v10, v36, v35
	v_max_i16 v5, v4, v33
	s_delay_alu instid0(VALU_DEP_2) | instskip(NEXT) | instid1(VALU_DEP_2)
	v_or3_b32 v10, v10, v34, v33
	v_cndmask_b32_e64 v5, v33, v5, s7
	s_delay_alu instid0(VALU_DEP_2) | instskip(NEXT) | instid1(VALU_DEP_2)
	v_or3_b32 v10, v10, v32, v31
	v_max_i16 v6, v5, v34
	s_delay_alu instid0(VALU_DEP_2) | instskip(NEXT) | instid1(VALU_DEP_2)
	v_or3_b32 v10, v10, v30, v29
	v_cndmask_b32_e64 v6, v34, v6, s8
	s_delay_alu instid0(VALU_DEP_2) | instskip(NEXT) | instid1(VALU_DEP_2)
	v_and_b32_e32 v10, 0x10000, v10
	v_max_i16 v7, v6, v35
	s_delay_alu instid0(VALU_DEP_2) | instskip(NEXT) | instid1(VALU_DEP_2)
	v_cmp_ne_u32_e64 s24, 0, v10
	v_cndmask_b32_e64 v7, v35, v7, s9
	s_delay_alu instid0(VALU_DEP_2) | instskip(NEXT) | instid1(VALU_DEP_2)
	v_cndmask_b32_e64 v9, v25, 1, s24
	v_max_i16 v11, v7, v36
	s_delay_alu instid0(VALU_DEP_1) | instskip(NEXT) | instid1(VALU_DEP_1)
	v_cndmask_b32_e64 v11, v36, v11, s10
	v_max_i16 v12, v11, v37
	s_delay_alu instid0(VALU_DEP_1) | instskip(NEXT) | instid1(VALU_DEP_1)
	;; [unrolled: 3-line block ×13, first 2 shown]
	v_cndmask_b32_e64 v23, v48, v23, s22
	v_max_i16 v24, v23, v8
	s_delay_alu instid0(VALU_DEP_1)
	v_cndmask_b32_e64 v24, v8, v24, s23
	ds_store_b16 v26, v24
	ds_store_b8 v26, v9 offset:2
	s_waitcnt lgkmcnt(0)
	s_barrier
	buffer_gl0_inv
	v_cmpx_gt_u32_e32 32, v0
	s_cbranch_execz .LBB62_210
; %bb.199:
	v_lshrrev_b32_e32 v10, 2, v0
	s_mov_b32 s30, exec_lo
	s_delay_alu instid0(VALU_DEP_1) | instskip(NEXT) | instid1(VALU_DEP_1)
	v_and_b32_e32 v10, 12, v10
	v_lshl_or_b32 v10, v0, 3, v10
	ds_load_b32 v26, v10
	ds_load_u16 v25, v10 offset:4
	ds_load_u8 v50, v10 offset:6
	s_waitcnt lgkmcnt(2)
	v_and_b32_e32 v49, 0x10000, v26
	s_waitcnt lgkmcnt(1)
	v_max_i16 v51, v26, v25
	s_waitcnt lgkmcnt(0)
	v_and_b32_e32 v53, 1, v50
	v_cmp_eq_u16_e64 s24, 0, v50
	v_and_b32_e32 v50, 0xff000000, v26
	s_delay_alu instid0(VALU_DEP_3) | instskip(NEXT) | instid1(VALU_DEP_3)
	v_cmp_eq_u32_e64 s25, 1, v53
	v_cndmask_b32_e64 v52, v25, v51, s24
	v_mbcnt_lo_u32_b32 v51, -1, 0
	s_delay_alu instid0(VALU_DEP_3) | instskip(NEXT) | instid1(VALU_DEP_3)
	v_cndmask_b32_e64 v53, v49, 0x10000, s25
	v_and_b32_e32 v54, 0xffff, v52
	s_delay_alu instid0(VALU_DEP_2) | instskip(NEXT) | instid1(VALU_DEP_2)
	v_or_b32_e32 v56, v53, v50
	v_or3_b32 v57, v50, v54, v53
	v_and_b32_e32 v54, 15, v51
	s_delay_alu instid0(VALU_DEP_3) | instskip(NEXT) | instid1(VALU_DEP_3)
	v_lshrrev_b32_e32 v53, 16, v56
	v_mov_b32_dpp v55, v57 row_shr:1 row_mask:0xf bank_mask:0xf
	s_delay_alu instid0(VALU_DEP_3)
	v_cmpx_ne_u32_e32 0, v54
	s_cbranch_execz .LBB62_201
; %bb.200:
	s_delay_alu instid0(VALU_DEP_2) | instskip(SKIP_3) | instid1(VALU_DEP_4)
	v_lshrrev_b32_e32 v53, 16, v55
	v_lshrrev_b32_e32 v57, 16, v56
	v_and_b32_e32 v56, 0x10000, v56
	v_max_i16 v55, v55, v52
	v_and_b32_e32 v53, 1, v53
	s_delay_alu instid0(VALU_DEP_4) | instskip(NEXT) | instid1(VALU_DEP_4)
	v_and_b32_e32 v57, 0xff, v57
	v_cmp_ne_u32_e64 s26, 0, v56
	s_delay_alu instid0(VALU_DEP_1) | instskip(NEXT) | instid1(VALU_DEP_3)
	v_cndmask_b32_e64 v53, v53, 1, s26
	v_cmp_eq_u16_e64 s26, 0, v57
	s_delay_alu instid0(VALU_DEP_1) | instskip(NEXT) | instid1(VALU_DEP_3)
	v_cndmask_b32_e64 v52, v52, v55, s26
	v_lshlrev_b32_e32 v55, 16, v53
	s_delay_alu instid0(VALU_DEP_2) | instskip(NEXT) | instid1(VALU_DEP_1)
	v_and_b32_e32 v56, 0xffff, v52
	v_or3_b32 v57, v55, v56, v50
.LBB62_201:
	s_or_b32 exec_lo, exec_lo, s30
	s_delay_alu instid0(VALU_DEP_1)
	v_lshrrev_b32_e32 v56, 16, v57
	v_mov_b32_dpp v58, v57 row_shr:2 row_mask:0xf bank_mask:0xf
	v_mov_b32_e32 v55, v57
	s_mov_b32 s30, exec_lo
	v_cmpx_lt_u32_e32 1, v54
	s_cbranch_execz .LBB62_203
; %bb.202:
	v_and_b32_e32 v53, 0xff, v56
	v_lshrrev_b32_e32 v52, 16, v58
	v_max_i16 v55, v58, v57
	s_delay_alu instid0(VALU_DEP_3) | instskip(NEXT) | instid1(VALU_DEP_3)
	v_cmp_eq_u16_e64 s26, 0, v53
	v_and_b32_e32 v58, 1, v52
	s_delay_alu instid0(VALU_DEP_2) | instskip(NEXT) | instid1(VALU_DEP_1)
	v_cndmask_b32_e64 v52, v57, v55, s26
	v_dual_mov_b32 v55, v52 :: v_dual_and_b32 v56, 0x10000, v57
	s_delay_alu instid0(VALU_DEP_1) | instskip(SKIP_1) | instid1(VALU_DEP_2)
	v_cmp_ne_u32_e64 s26, 0, v56
	v_and_b32_e32 v56, 0xffff, v52
	v_cndmask_b32_e64 v53, v58, 1, s26
	s_delay_alu instid0(VALU_DEP_1) | instskip(NEXT) | instid1(VALU_DEP_1)
	v_lshlrev_b32_e32 v57, 16, v53
	v_or3_b32 v57, v57, v56, v50
	v_mov_b32_e32 v56, v53
.LBB62_203:
	s_or_b32 exec_lo, exec_lo, s30
	s_delay_alu instid0(VALU_DEP_2)
	v_mov_b32_dpp v58, v57 row_shr:4 row_mask:0xf bank_mask:0xf
	s_mov_b32 s30, exec_lo
	v_cmpx_lt_u32_e32 3, v54
	s_cbranch_execz .LBB62_205
; %bb.204:
	v_and_b32_e32 v53, 0xff, v56
	v_lshrrev_b32_e32 v52, 16, v58
	v_max_i16 v57, v58, v55
	s_delay_alu instid0(VALU_DEP_3) | instskip(NEXT) | instid1(VALU_DEP_3)
	v_cmp_eq_u16_e64 s26, 0, v53
	v_and_b32_e32 v58, 1, v52
	s_delay_alu instid0(VALU_DEP_2) | instskip(NEXT) | instid1(VALU_DEP_1)
	v_cndmask_b32_e64 v52, v55, v57, s26
	v_dual_mov_b32 v55, v52 :: v_dual_and_b32 v56, 1, v56
	s_delay_alu instid0(VALU_DEP_1) | instskip(SKIP_1) | instid1(VALU_DEP_2)
	v_cmp_eq_u32_e64 s26, 1, v56
	v_and_b32_e32 v56, 0xffff, v52
	v_cndmask_b32_e64 v53, v58, 1, s26
	s_delay_alu instid0(VALU_DEP_1) | instskip(NEXT) | instid1(VALU_DEP_1)
	v_lshlrev_b32_e32 v57, 16, v53
	v_or3_b32 v57, v57, v56, v50
	v_mov_b32_e32 v56, v53
.LBB62_205:
	s_or_b32 exec_lo, exec_lo, s30
	s_delay_alu instid0(VALU_DEP_2)
	v_mov_b32_dpp v58, v57 row_shr:8 row_mask:0xf bank_mask:0xf
	s_mov_b32 s30, exec_lo
	v_cmpx_lt_u32_e32 7, v54
	s_cbranch_execz .LBB62_207
; %bb.206:
	v_and_b32_e32 v53, 0xff, v56
	v_lshrrev_b32_e32 v52, 16, v58
	v_max_i16 v54, v58, v55
	s_delay_alu instid0(VALU_DEP_3) | instskip(NEXT) | instid1(VALU_DEP_3)
	v_cmp_eq_u16_e64 s26, 0, v53
	v_and_b32_e32 v57, 1, v52
	s_delay_alu instid0(VALU_DEP_2) | instskip(NEXT) | instid1(VALU_DEP_1)
	v_cndmask_b32_e64 v52, v55, v54, s26
	v_dual_mov_b32 v55, v52 :: v_dual_and_b32 v56, 1, v56
	s_delay_alu instid0(VALU_DEP_1) | instskip(SKIP_1) | instid1(VALU_DEP_2)
	v_cmp_eq_u32_e64 s26, 1, v56
	v_and_b32_e32 v54, 0xffff, v52
	v_cndmask_b32_e64 v53, v57, 1, s26
	s_delay_alu instid0(VALU_DEP_1) | instskip(NEXT) | instid1(VALU_DEP_1)
	v_lshlrev_b32_e32 v56, 16, v53
	v_or3_b32 v57, v56, v54, v50
	v_mov_b32_e32 v56, v53
.LBB62_207:
	s_or_b32 exec_lo, exec_lo, s30
	ds_swizzle_b32 v54, v57 offset:swizzle(BROADCAST,32,15)
	v_and_b32_e32 v57, 16, v51
	s_mov_b32 s30, exec_lo
	s_delay_alu instid0(VALU_DEP_1)
	v_cmpx_ne_u32_e32 0, v57
	s_cbranch_execz .LBB62_209
; %bb.208:
	s_waitcnt lgkmcnt(0)
	v_lshrrev_b32_e32 v52, 16, v54
	v_and_b32_e32 v53, 1, v56
	v_and_b32_e32 v56, 0xff, v56
	v_max_i16 v54, v54, v55
	s_delay_alu instid0(VALU_DEP_4) | instskip(NEXT) | instid1(VALU_DEP_4)
	v_and_b32_e32 v52, 1, v52
	v_cmp_eq_u32_e64 s26, 1, v53
	s_delay_alu instid0(VALU_DEP_1) | instskip(SKIP_1) | instid1(VALU_DEP_1)
	v_cndmask_b32_e64 v53, v52, 1, s26
	v_cmp_eq_u16_e64 s26, 0, v56
	v_cndmask_b32_e64 v52, v55, v54, s26
.LBB62_209:
	s_or_b32 exec_lo, exec_lo, s30
	s_waitcnt lgkmcnt(0)
	v_add_nc_u32_e32 v54, -1, v51
	v_and_b32_e32 v53, 0xff, v53
	v_and_b32_e32 v52, 0xffff, v52
	s_delay_alu instid0(VALU_DEP_3) | instskip(NEXT) | instid1(VALU_DEP_3)
	v_cmp_gt_i32_e64 s26, 0, v54
	v_lshlrev_b32_e32 v53, 16, v53
	s_delay_alu instid0(VALU_DEP_2) | instskip(NEXT) | instid1(VALU_DEP_2)
	v_cndmask_b32_e64 v51, v54, v51, s26
	v_or3_b32 v50, v53, v52, v50
	s_delay_alu instid0(VALU_DEP_2) | instskip(SKIP_2) | instid1(VALU_DEP_1)
	v_lshlrev_b32_e32 v51, 2, v51
	ds_bpermute_b32 v50, v51, v50
	v_and_b32_e32 v51, 0xff0000, v26
	v_cmp_eq_u32_e64 s26, 0, v51
	s_waitcnt lgkmcnt(0)
	v_max_i16 v52, v50, v26
	v_lshrrev_b32_e32 v50, 16, v50
	s_delay_alu instid0(VALU_DEP_2) | instskip(NEXT) | instid1(VALU_DEP_2)
	v_cndmask_b32_e64 v26, v26, v52, s26
	v_and_b32_e32 v50, 1, v50
	v_cmp_eq_u32_e64 s26, 0, v49
	s_delay_alu instid0(VALU_DEP_3) | instskip(NEXT) | instid1(VALU_DEP_2)
	v_cndmask_b32_e32 v26, v26, v24, vcc_lo
	v_cndmask_b32_e64 v49, 1, v50, s26
	s_delay_alu instid0(VALU_DEP_2) | instskip(NEXT) | instid1(VALU_DEP_2)
	v_max_i16 v50, v26, v25
	v_cndmask_b32_e32 v9, v49, v9, vcc_lo
	s_delay_alu instid0(VALU_DEP_2) | instskip(NEXT) | instid1(VALU_DEP_2)
	v_cndmask_b32_e64 v25, v25, v50, s24
	v_cndmask_b32_e64 v49, v9, 1, s25
	ds_store_b16 v10, v26
	ds_store_b8 v10, v9 offset:2
	ds_store_b16 v10, v25 offset:4
	ds_store_b8 v10, v49 offset:6
.LBB62_210:
	s_or_b32 exec_lo, exec_lo, s27
	v_mov_b32_e32 v9, v24
	s_waitcnt lgkmcnt(0)
	s_barrier
	buffer_gl0_inv
	s_and_saveexec_b32 s24, s2
	s_cbranch_execz .LBB62_259
; %bb.211:
	v_add_nc_u32_e32 v9, -1, v0
	s_delay_alu instid0(VALU_DEP_1) | instskip(NEXT) | instid1(VALU_DEP_1)
	v_lshrrev_b32_e32 v10, 5, v9
	v_add_lshl_u32 v9, v10, v9, 2
	ds_load_u16 v9, v9
	s_or_b32 exec_lo, exec_lo, s24
	s_and_saveexec_b32 s24, s2
	s_cbranch_execnz .LBB62_260
.LBB62_212:
	s_or_b32 exec_lo, exec_lo, s24
	s_and_saveexec_b32 s2, vcc_lo
	s_cbranch_execz .LBB62_214
.LBB62_213:
	v_mov_b32_e32 v10, 0
	ds_load_u8 v8, v10 offset:258
	s_waitcnt lgkmcnt(1)
	ds_load_u16 v9, v10 offset:256
	s_waitcnt lgkmcnt(1)
	v_lshlrev_b32_e32 v8, 16, v8
	s_waitcnt lgkmcnt(0)
	s_delay_alu instid0(VALU_DEP_1)
	v_or_b32_e32 v8, v8, v9
	v_mov_b32_e32 v9, 2
	global_store_b64 v10, v[8:9], s[36:37] offset:256
.LBB62_214:
	s_or_b32 exec_lo, exec_lo, s2
	v_mov_b32_e32 v25, v28
.LBB62_215:
	s_load_b64 s[0:1], s[0:1], 0x18
	v_mul_u32_u24_e32 v10, 22, v0
	v_perm_b32 v8, v3, v2, 0x5040100
	s_waitcnt lgkmcnt(0)
	v_perm_b32 v9, v1, v25, 0x5040100
	v_perm_b32 v6, v7, v6, 0x5040100
	;; [unrolled: 1-line block ×10, first 2 shown]
	s_add_u32 s0, s0, s28
	s_addc_u32 s1, s1, s29
	s_and_b32 vcc_lo, exec_lo, s39
	s_cbranch_vccz .LBB62_261
; %bb.216:
	v_lshlrev_b32_e32 v37, 1, v10
	s_waitcnt_vscnt null, 0x0
	s_barrier
	buffer_gl0_inv
	v_add_co_u32 v2, s2, s0, v27
	v_mad_i32_i24 v1, 0xffffffd6, v0, v37
	ds_store_2addr_b32 v37, v9, v8 offset1:1
	ds_store_2addr_b32 v37, v5, v6 offset0:2 offset1:3
	ds_store_2addr_b32 v37, v11, v7 offset0:4 offset1:5
	;; [unrolled: 1-line block ×4, first 2 shown]
	ds_store_b32 v37, v16 offset:40
	s_waitcnt lgkmcnt(0)
	s_barrier
	buffer_gl0_inv
	ds_load_u16 v38, v1 offset:128
	ds_load_u16 v36, v1 offset:256
	;; [unrolled: 1-line block ×21, first 2 shown]
	v_mov_b32_e32 v1, 0
	v_add_co_ci_u32_e64 v3, null, s1, 0, s2
	s_add_i32 s33, s33, s38
	s_mov_b32 s2, exec_lo
	v_cmpx_gt_u32_e64 s33, v0
	s_cbranch_execz .LBB62_218
; %bb.217:
	v_mul_i32_i24_e32 v39, 0xffffffd6, v0
	s_delay_alu instid0(VALU_DEP_1)
	v_add_nc_u32_e32 v37, v37, v39
	ds_load_i16 v37, v37
	s_waitcnt lgkmcnt(0)
	v_cvt_f32_i32_e32 v37, v37
	global_store_b32 v[2:3], v37, off
.LBB62_218:
	s_or_b32 exec_lo, exec_lo, s2
	v_or_b32_e32 v37, 64, v0
	s_mov_b32 s2, exec_lo
	s_delay_alu instid0(VALU_DEP_1)
	v_cmpx_gt_u32_e64 s33, v37
	s_cbranch_execz .LBB62_220
; %bb.219:
	s_waitcnt lgkmcnt(20)
	v_bfe_i32 v37, v38, 0, 16
	s_delay_alu instid0(VALU_DEP_1)
	v_cvt_f32_i32_e32 v37, v37
	global_store_b32 v[2:3], v37, off offset:256
.LBB62_220:
	s_or_b32 exec_lo, exec_lo, s2
	v_or_b32_e32 v37, 0x80, v0
	s_mov_b32 s2, exec_lo
	s_delay_alu instid0(VALU_DEP_1)
	v_cmpx_gt_u32_e64 s33, v37
	s_cbranch_execz .LBB62_222
; %bb.221:
	s_waitcnt lgkmcnt(19)
	v_bfe_i32 v36, v36, 0, 16
	s_delay_alu instid0(VALU_DEP_1)
	v_cvt_f32_i32_e32 v36, v36
	global_store_b32 v[2:3], v36, off offset:512
.LBB62_222:
	s_or_b32 exec_lo, exec_lo, s2
	s_waitcnt lgkmcnt(19)
	v_or_b32_e32 v36, 0xc0, v0
	s_mov_b32 s2, exec_lo
	s_delay_alu instid0(VALU_DEP_1)
	v_cmpx_gt_u32_e64 s33, v36
	s_cbranch_execz .LBB62_224
; %bb.223:
	s_waitcnt lgkmcnt(18)
	v_bfe_i32 v35, v35, 0, 16
	s_delay_alu instid0(VALU_DEP_1)
	v_cvt_f32_i32_e32 v35, v35
	global_store_b32 v[2:3], v35, off offset:768
.LBB62_224:
	s_or_b32 exec_lo, exec_lo, s2
	s_waitcnt lgkmcnt(18)
	;; [unrolled: 14-line block ×14, first 2 shown]
	v_or_b32_e32 v22, 0x400, v0
	s_mov_b32 s2, exec_lo
	s_delay_alu instid0(VALU_DEP_1)
	v_cmpx_gt_u32_e64 s33, v22
	s_cbranch_execz .LBB62_250
; %bb.249:
	s_waitcnt lgkmcnt(5)
	v_bfe_i32 v21, v21, 0, 16
	s_delay_alu instid0(VALU_DEP_1)
	v_cvt_f32_i32_e32 v23, v21
	v_add_co_u32 v21, vcc_lo, 0x1000, v2
	v_add_co_ci_u32_e32 v22, vcc_lo, 0, v3, vcc_lo
	global_store_b32 v[21:22], v23, off
.LBB62_250:
	s_or_b32 exec_lo, exec_lo, s2
	s_waitcnt lgkmcnt(5)
	v_or_b32_e32 v21, 0x440, v0
	s_mov_b32 s2, exec_lo
	s_delay_alu instid0(VALU_DEP_1)
	v_cmpx_gt_u32_e64 s33, v21
	s_cbranch_execz .LBB62_252
; %bb.251:
	s_waitcnt lgkmcnt(4)
	v_bfe_i32 v20, v20, 0, 16
	s_delay_alu instid0(VALU_DEP_1)
	v_cvt_f32_i32_e32 v22, v20
	v_add_co_u32 v20, vcc_lo, 0x1000, v2
	v_add_co_ci_u32_e32 v21, vcc_lo, 0, v3, vcc_lo
	global_store_b32 v[20:21], v22, off offset:256
.LBB62_252:
	s_or_b32 exec_lo, exec_lo, s2
	s_waitcnt lgkmcnt(4)
	v_or_b32_e32 v20, 0x480, v0
	s_mov_b32 s2, exec_lo
	s_delay_alu instid0(VALU_DEP_1)
	v_cmpx_gt_u32_e64 s33, v20
	s_cbranch_execz .LBB62_254
; %bb.253:
	s_waitcnt lgkmcnt(3)
	v_bfe_i32 v19, v19, 0, 16
	s_delay_alu instid0(VALU_DEP_1)
	v_cvt_f32_i32_e32 v21, v19
	v_add_co_u32 v19, vcc_lo, 0x1000, v2
	v_add_co_ci_u32_e32 v20, vcc_lo, 0, v3, vcc_lo
	global_store_b32 v[19:20], v21, off offset:512
.LBB62_254:
	;; [unrolled: 16-line block ×3, first 2 shown]
	s_or_b32 exec_lo, exec_lo, s2
	s_waitcnt lgkmcnt(2)
	v_or_b32_e32 v18, 0x500, v0
	s_mov_b32 s2, exec_lo
	s_delay_alu instid0(VALU_DEP_1)
	v_cmpx_gt_u32_e64 s33, v18
	s_cbranch_execz .LBB62_258
; %bb.257:
	s_waitcnt lgkmcnt(1)
	v_bfe_i32 v17, v17, 0, 16
	v_add_co_u32 v2, vcc_lo, 0x1000, v2
	v_add_co_ci_u32_e32 v3, vcc_lo, 0, v3, vcc_lo
	s_delay_alu instid0(VALU_DEP_3)
	v_cvt_f32_i32_e32 v17, v17
	global_store_b32 v[2:3], v17, off offset:1024
.LBB62_258:
	s_or_b32 exec_lo, exec_lo, s2
	v_or_b32_e32 v2, 0x540, v0
	s_delay_alu instid0(VALU_DEP_1)
	v_cmp_gt_u32_e64 s2, s33, v2
	s_branch .LBB62_263
.LBB62_259:
	s_or_b32 exec_lo, exec_lo, s24
	s_and_saveexec_b32 s24, s2
	s_cbranch_execz .LBB62_212
.LBB62_260:
	s_waitcnt lgkmcnt(0)
	v_max_i16 v1, v9, v28
	v_cmp_gt_u32_e64 s2, 0x10000, v28
	s_delay_alu instid0(VALU_DEP_1) | instskip(NEXT) | instid1(VALU_DEP_1)
	v_cndmask_b32_e64 v9, v28, v1, s2
	v_max_i16 v1, v9, v29
	v_and_b32_e32 v28, 0xffff, v9
	s_delay_alu instid0(VALU_DEP_2) | instskip(NEXT) | instid1(VALU_DEP_1)
	v_cndmask_b32_e64 v1, v29, v1, s3
	v_max_i16 v2, v1, v30
	s_delay_alu instid0(VALU_DEP_1) | instskip(NEXT) | instid1(VALU_DEP_1)
	v_cndmask_b32_e64 v2, v30, v2, s4
	v_max_i16 v3, v2, v31
	s_delay_alu instid0(VALU_DEP_1) | instskip(NEXT) | instid1(VALU_DEP_1)
	;; [unrolled: 3-line block ×19, first 2 shown]
	v_cndmask_b32_e64 v23, v48, v10, s22
	v_max_i16 v10, v23, v8
	s_delay_alu instid0(VALU_DEP_1)
	v_cndmask_b32_e64 v24, v8, v10, s23
	s_or_b32 exec_lo, exec_lo, s24
	s_and_saveexec_b32 s2, vcc_lo
	s_cbranch_execnz .LBB62_213
	s_branch .LBB62_214
.LBB62_261:
	s_mov_b32 s2, 0
                                        ; implicit-def: $vgpr4
	s_cbranch_execz .LBB62_263
; %bb.262:
	v_lshlrev_b32_e32 v1, 1, v10
	s_waitcnt lgkmcnt(0)
	s_waitcnt_vscnt null, 0x0
	s_barrier
	buffer_gl0_inv
	s_or_b32 s2, s2, exec_lo
	v_mad_i32_i24 v2, 0xffffffd6, v0, v1
	ds_store_2addr_b32 v1, v9, v8 offset1:1
	ds_store_2addr_b32 v1, v5, v6 offset0:2 offset1:3
	ds_store_2addr_b32 v1, v11, v7 offset0:4 offset1:5
	;; [unrolled: 1-line block ×4, first 2 shown]
	ds_store_b32 v1, v16 offset:40
	s_waitcnt lgkmcnt(0)
	s_barrier
	buffer_gl0_inv
	ds_load_i16 v3, v2
	ds_load_i16 v5, v2 offset:128
	ds_load_i16 v6, v2 offset:256
	ds_load_i16 v7, v2 offset:384
	ds_load_i16 v8, v2 offset:512
	ds_load_i16 v9, v2 offset:640
	ds_load_i16 v10, v2 offset:768
	ds_load_i16 v11, v2 offset:896
	ds_load_i16 v12, v2 offset:1024
	ds_load_i16 v13, v2 offset:1152
	ds_load_i16 v14, v2 offset:1280
	ds_load_i16 v15, v2 offset:1408
	ds_load_i16 v16, v2 offset:1536
	ds_load_i16 v17, v2 offset:1664
	ds_load_i16 v18, v2 offset:1792
	ds_load_i16 v19, v2 offset:1920
	ds_load_i16 v20, v2 offset:2048
	ds_load_i16 v21, v2 offset:2176
	ds_load_i16 v22, v2 offset:2304
	ds_load_i16 v23, v2 offset:2432
	ds_load_i16 v24, v2 offset:2560
	ds_load_u16 v4, v2 offset:2688
	s_waitcnt lgkmcnt(20)
	v_cvt_f32_i32_e32 v2, v5
	s_waitcnt lgkmcnt(19)
	v_cvt_f32_i32_e32 v5, v6
	v_cvt_f32_i32_e32 v26, v3
	s_waitcnt lgkmcnt(17)
	v_cvt_f32_i32_e32 v3, v8
	s_clause 0x1
	global_store_b32 v27, v2, s[0:1] offset:256
	global_store_b32 v27, v5, s[0:1] offset:512
	v_cvt_f32_i32_e32 v2, v7
	s_waitcnt lgkmcnt(16)
	v_cvt_f32_i32_e32 v5, v9
	s_waitcnt lgkmcnt(15)
	;; [unrolled: 2-line block ×3, first 2 shown]
	v_cvt_f32_i32_e32 v8, v11
	v_add_co_u32 v6, s3, s0, v27
	s_waitcnt lgkmcnt(13)
	v_cvt_f32_i32_e32 v9, v12
	s_waitcnt lgkmcnt(12)
	v_cvt_f32_i32_e32 v10, v13
	;; [unrolled: 2-line block ×3, first 2 shown]
	s_clause 0x7
	global_store_b32 v27, v2, s[0:1] offset:768
	global_store_b32 v27, v3, s[0:1] offset:1024
	;; [unrolled: 1-line block ×8, first 2 shown]
	s_waitcnt lgkmcnt(10)
	v_cvt_f32_i32_e32 v2, v15
	s_waitcnt lgkmcnt(9)
	v_cvt_f32_i32_e32 v3, v16
	v_add_co_ci_u32_e64 v25, null, s1, 0, s3
	s_waitcnt lgkmcnt(8)
	v_cvt_f32_i32_e32 v5, v17
	s_waitcnt lgkmcnt(7)
	v_cvt_f32_i32_e32 v7, v18
	;; [unrolled: 2-line block ×3, first 2 shown]
	s_clause 0x4
	global_store_b32 v27, v2, s[0:1] offset:2816
	global_store_b32 v27, v3, s[0:1] offset:3072
	;; [unrolled: 1-line block ×5, first 2 shown]
	v_add_co_u32 v2, vcc_lo, 0x1000, v6
	v_mov_b32_e32 v1, 0
	s_waitcnt lgkmcnt(5)
	v_cvt_f32_i32_e32 v5, v20
	v_add_co_ci_u32_e32 v3, vcc_lo, 0, v25, vcc_lo
	s_waitcnt lgkmcnt(4)
	v_cvt_f32_i32_e32 v6, v21
	s_waitcnt lgkmcnt(1)
	v_cvt_f32_i32_e32 v9, v24
	v_cvt_f32_i32_e32 v7, v22
	;; [unrolled: 1-line block ×3, first 2 shown]
	s_clause 0x5
	global_store_b32 v[2:3], v5, off
	global_store_b32 v[2:3], v6, off offset:256
	global_store_b32 v[2:3], v7, off offset:512
	;; [unrolled: 1-line block ×3, first 2 shown]
	global_store_b32 v27, v26, s[0:1]
	global_store_b32 v[2:3], v9, off offset:1024
.LBB62_263:
	s_delay_alu instid0(VALU_DEP_1)
	s_and_saveexec_b32 s3, s2
	s_cbranch_execz .LBB62_265
; %bb.264:
	v_lshlrev_b64 v[0:1], 2, v[0:1]
	s_waitcnt lgkmcnt(0)
	v_bfe_i32 v2, v4, 0, 16
	s_delay_alu instid0(VALU_DEP_1) | instskip(NEXT) | instid1(VALU_DEP_3)
	v_cvt_f32_i32_e32 v2, v2
	v_add_co_u32 v0, vcc_lo, s0, v0
	s_delay_alu instid0(VALU_DEP_4) | instskip(NEXT) | instid1(VALU_DEP_2)
	v_add_co_ci_u32_e32 v1, vcc_lo, s1, v1, vcc_lo
	v_add_co_u32 v0, vcc_lo, 0x1000, v0
	s_delay_alu instid0(VALU_DEP_2)
	v_add_co_ci_u32_e32 v1, vcc_lo, 0, v1, vcc_lo
	global_store_b32 v[0:1], v2, off offset:1280
	s_nop 0
	s_sendmsg sendmsg(MSG_DEALLOC_VGPRS)
	s_endpgm
.LBB62_265:
	s_nop 0
	s_sendmsg sendmsg(MSG_DEALLOC_VGPRS)
	s_endpgm
	.section	.rodata,"a",@progbits
	.p2align	6, 0x0
	.amdhsa_kernel _ZN7rocprim6detail25device_scan_by_key_kernelILNS0_25lookback_scan_determinismE0ELb0ENS0_26wrapped_scan_by_key_configINS_14default_configEisEEPiN6hipcub22TransformInputIteratorIsNS7_6CastOpIsEEPslEEPfsNS7_8EqualityENS7_3MaxENS0_19lookback_scan_stateINS_5tupleIJsbEEELb0ELb1EEEsEEvT2_T3_T4_T5_T6_T7_T8_mmmPKNSH_IJT9_bEEE
		.amdhsa_group_segment_fixed_size 6144
		.amdhsa_private_segment_fixed_size 0
		.amdhsa_kernarg_size 80
		.amdhsa_user_sgpr_count 15
		.amdhsa_user_sgpr_dispatch_ptr 0
		.amdhsa_user_sgpr_queue_ptr 0
		.amdhsa_user_sgpr_kernarg_segment_ptr 1
		.amdhsa_user_sgpr_dispatch_id 0
		.amdhsa_user_sgpr_private_segment_size 0
		.amdhsa_wavefront_size32 1
		.amdhsa_uses_dynamic_stack 0
		.amdhsa_enable_private_segment 0
		.amdhsa_system_sgpr_workgroup_id_x 1
		.amdhsa_system_sgpr_workgroup_id_y 0
		.amdhsa_system_sgpr_workgroup_id_z 0
		.amdhsa_system_sgpr_workgroup_info 0
		.amdhsa_system_vgpr_workitem_id 0
		.amdhsa_next_free_vgpr 59
		.amdhsa_next_free_sgpr 44
		.amdhsa_reserve_vcc 1
		.amdhsa_float_round_mode_32 0
		.amdhsa_float_round_mode_16_64 0
		.amdhsa_float_denorm_mode_32 3
		.amdhsa_float_denorm_mode_16_64 3
		.amdhsa_dx10_clamp 1
		.amdhsa_ieee_mode 1
		.amdhsa_fp16_overflow 0
		.amdhsa_workgroup_processor_mode 1
		.amdhsa_memory_ordered 1
		.amdhsa_forward_progress 0
		.amdhsa_shared_vgpr_count 0
		.amdhsa_exception_fp_ieee_invalid_op 0
		.amdhsa_exception_fp_denorm_src 0
		.amdhsa_exception_fp_ieee_div_zero 0
		.amdhsa_exception_fp_ieee_overflow 0
		.amdhsa_exception_fp_ieee_underflow 0
		.amdhsa_exception_fp_ieee_inexact 0
		.amdhsa_exception_int_div_zero 0
	.end_amdhsa_kernel
	.section	.text._ZN7rocprim6detail25device_scan_by_key_kernelILNS0_25lookback_scan_determinismE0ELb0ENS0_26wrapped_scan_by_key_configINS_14default_configEisEEPiN6hipcub22TransformInputIteratorIsNS7_6CastOpIsEEPslEEPfsNS7_8EqualityENS7_3MaxENS0_19lookback_scan_stateINS_5tupleIJsbEEELb0ELb1EEEsEEvT2_T3_T4_T5_T6_T7_T8_mmmPKNSH_IJT9_bEEE,"axG",@progbits,_ZN7rocprim6detail25device_scan_by_key_kernelILNS0_25lookback_scan_determinismE0ELb0ENS0_26wrapped_scan_by_key_configINS_14default_configEisEEPiN6hipcub22TransformInputIteratorIsNS7_6CastOpIsEEPslEEPfsNS7_8EqualityENS7_3MaxENS0_19lookback_scan_stateINS_5tupleIJsbEEELb0ELb1EEEsEEvT2_T3_T4_T5_T6_T7_T8_mmmPKNSH_IJT9_bEEE,comdat
.Lfunc_end62:
	.size	_ZN7rocprim6detail25device_scan_by_key_kernelILNS0_25lookback_scan_determinismE0ELb0ENS0_26wrapped_scan_by_key_configINS_14default_configEisEEPiN6hipcub22TransformInputIteratorIsNS7_6CastOpIsEEPslEEPfsNS7_8EqualityENS7_3MaxENS0_19lookback_scan_stateINS_5tupleIJsbEEELb0ELb1EEEsEEvT2_T3_T4_T5_T6_T7_T8_mmmPKNSH_IJT9_bEEE, .Lfunc_end62-_ZN7rocprim6detail25device_scan_by_key_kernelILNS0_25lookback_scan_determinismE0ELb0ENS0_26wrapped_scan_by_key_configINS_14default_configEisEEPiN6hipcub22TransformInputIteratorIsNS7_6CastOpIsEEPslEEPfsNS7_8EqualityENS7_3MaxENS0_19lookback_scan_stateINS_5tupleIJsbEEELb0ELb1EEEsEEvT2_T3_T4_T5_T6_T7_T8_mmmPKNSH_IJT9_bEEE
                                        ; -- End function
	.section	.AMDGPU.csdata,"",@progbits
; Kernel info:
; codeLenInByte = 16364
; NumSgprs: 46
; NumVgprs: 59
; ScratchSize: 0
; MemoryBound: 0
; FloatMode: 240
; IeeeMode: 1
; LDSByteSize: 6144 bytes/workgroup (compile time only)
; SGPRBlocks: 5
; VGPRBlocks: 7
; NumSGPRsForWavesPerEU: 46
; NumVGPRsForWavesPerEU: 59
; Occupancy: 11
; WaveLimiterHint : 1
; COMPUTE_PGM_RSRC2:SCRATCH_EN: 0
; COMPUTE_PGM_RSRC2:USER_SGPR: 15
; COMPUTE_PGM_RSRC2:TRAP_HANDLER: 0
; COMPUTE_PGM_RSRC2:TGID_X_EN: 1
; COMPUTE_PGM_RSRC2:TGID_Y_EN: 0
; COMPUTE_PGM_RSRC2:TGID_Z_EN: 0
; COMPUTE_PGM_RSRC2:TIDIG_COMP_CNT: 0
	.section	.text._ZN7rocprim6detail31init_lookback_scan_state_kernelINS0_19lookback_scan_stateINS_5tupleIJmbEEELb1ELb0EEEEEvT_jjPNS6_10value_typeE,"axG",@progbits,_ZN7rocprim6detail31init_lookback_scan_state_kernelINS0_19lookback_scan_stateINS_5tupleIJmbEEELb1ELb0EEEEEvT_jjPNS6_10value_typeE,comdat
	.protected	_ZN7rocprim6detail31init_lookback_scan_state_kernelINS0_19lookback_scan_stateINS_5tupleIJmbEEELb1ELb0EEEEEvT_jjPNS6_10value_typeE ; -- Begin function _ZN7rocprim6detail31init_lookback_scan_state_kernelINS0_19lookback_scan_stateINS_5tupleIJmbEEELb1ELb0EEEEEvT_jjPNS6_10value_typeE
	.globl	_ZN7rocprim6detail31init_lookback_scan_state_kernelINS0_19lookback_scan_stateINS_5tupleIJmbEEELb1ELb0EEEEEvT_jjPNS6_10value_typeE
	.p2align	8
	.type	_ZN7rocprim6detail31init_lookback_scan_state_kernelINS0_19lookback_scan_stateINS_5tupleIJmbEEELb1ELb0EEEEEvT_jjPNS6_10value_typeE,@function
_ZN7rocprim6detail31init_lookback_scan_state_kernelINS0_19lookback_scan_stateINS_5tupleIJmbEEELb1ELb0EEEEEvT_jjPNS6_10value_typeE: ; @_ZN7rocprim6detail31init_lookback_scan_state_kernelINS0_19lookback_scan_stateINS_5tupleIJmbEEELb1ELb0EEEEEvT_jjPNS6_10value_typeE
; %bb.0:
	s_clause 0x2
	s_load_b32 s2, s[0:1], 0x34
	s_load_b64 s[8:9], s[0:1], 0x20
	s_load_b128 s[4:7], s[0:1], 0x10
	s_waitcnt lgkmcnt(0)
	s_and_b32 s2, s2, 0xffff
	s_cmp_eq_u64 s[8:9], 0
	v_mad_u64_u32 v[1:2], null, s15, s2, v[0:1]
	s_cbranch_scc1 .LBB63_11
; %bb.1:
	s_cmp_lt_u32 s7, s6
	s_mov_b32 s11, 0
	s_cselect_b32 s2, s7, 0
	s_mov_b32 s14, exec_lo
	s_delay_alu instid0(VALU_DEP_1)
	v_cmpx_eq_u32_e64 s2, v1
	s_cbranch_execz .LBB63_10
; %bb.2:
	s_add_i32 s10, s7, 32
	s_load_b128 s[0:3], s[0:1], 0x0
	v_mov_b32_e32 v0, s10
	s_add_u32 s12, s4, s10
	s_addc_u32 s13, s5, 0
	global_load_u8 v0, v0, s[4:5] glc
	s_waitcnt vmcnt(0)
	v_cmp_ne_u16_e32 vcc_lo, 0, v0
	v_readfirstlane_b32 s7, v0
	s_cbranch_vccz .LBB63_4
; %bb.3:
	s_delay_alu instid0(VALU_DEP_1)
	s_and_b32 s7, 0xffff, s7
	s_branch .LBB63_9
.LBB63_4:
	v_mov_b32_e32 v0, 0
	s_mov_b32 s7, 1
.LBB63_5:                               ; =>This Loop Header: Depth=1
                                        ;     Child Loop BB63_6 Depth 2
	s_delay_alu instid0(SALU_CYCLE_1)
	s_max_u32 s15, s7, 1
.LBB63_6:                               ;   Parent Loop BB63_5 Depth=1
                                        ; =>  This Inner Loop Header: Depth=2
	s_delay_alu instid0(SALU_CYCLE_1)
	s_add_i32 s15, s15, -1
	s_sleep 1
	s_cmp_eq_u32 s15, 0
	s_cbranch_scc0 .LBB63_6
; %bb.7:                                ;   in Loop: Header=BB63_5 Depth=1
	global_load_u8 v2, v0, s[12:13] glc
	s_cmp_lt_u32 s7, 32
	s_cselect_b32 s15, -1, 0
	s_delay_alu instid0(SALU_CYCLE_1)
	s_cmp_lg_u32 s15, 0
	s_addc_u32 s7, s7, 0
	s_waitcnt vmcnt(0)
	v_cmp_ne_u16_e32 vcc_lo, 0, v2
	v_readfirstlane_b32 s15, v2
	s_cbranch_vccz .LBB63_5
; %bb.8:
	s_delay_alu instid0(VALU_DEP_1)
	s_and_b32 s7, 0xffff, s15
.LBB63_9:
	s_delay_alu instid0(SALU_CYCLE_1)
	s_cmp_eq_u32 s7, 1
	v_mov_b32_e32 v0, 0
	s_waitcnt lgkmcnt(0)
	s_cselect_b32 s3, s1, s3
	s_cselect_b32 s2, s0, s2
	s_lshl_b64 s[0:1], s[10:11], 4
	buffer_gl1_inv
	buffer_gl0_inv
	s_add_u32 s0, s2, s0
	s_addc_u32 s1, s3, s1
	s_clause 0x1
	global_load_b64 v[2:3], v0, s[0:1]
	global_load_u8 v4, v0, s[0:1] offset:8
	s_waitcnt vmcnt(1)
	global_store_b64 v0, v[2:3], s[8:9]
	s_waitcnt vmcnt(0)
	global_store_b8 v0, v4, s[8:9] offset:8
.LBB63_10:
	s_or_b32 exec_lo, exec_lo, s14
.LBB63_11:
	s_delay_alu instid0(SALU_CYCLE_1) | instskip(NEXT) | instid1(VALU_DEP_1)
	s_mov_b32 s0, exec_lo
	v_cmpx_gt_u32_e64 s6, v1
	s_cbranch_execz .LBB63_13
; %bb.12:
	v_add_nc_u32_e32 v0, 32, v1
	v_mov_b32_e32 v2, 0
	global_store_b8 v0, v2, s[4:5]
.LBB63_13:
	s_or_b32 exec_lo, exec_lo, s0
	s_delay_alu instid0(SALU_CYCLE_1)
	s_mov_b32 s0, exec_lo
	v_cmpx_gt_u32_e32 32, v1
	s_cbranch_execz .LBB63_15
; %bb.14:
	v_mov_b32_e32 v0, 0xff
	global_store_b8 v1, v0, s[4:5]
.LBB63_15:
	s_nop 0
	s_sendmsg sendmsg(MSG_DEALLOC_VGPRS)
	s_endpgm
	.section	.rodata,"a",@progbits
	.p2align	6, 0x0
	.amdhsa_kernel _ZN7rocprim6detail31init_lookback_scan_state_kernelINS0_19lookback_scan_stateINS_5tupleIJmbEEELb1ELb0EEEEEvT_jjPNS6_10value_typeE
		.amdhsa_group_segment_fixed_size 0
		.amdhsa_private_segment_fixed_size 0
		.amdhsa_kernarg_size 296
		.amdhsa_user_sgpr_count 15
		.amdhsa_user_sgpr_dispatch_ptr 0
		.amdhsa_user_sgpr_queue_ptr 0
		.amdhsa_user_sgpr_kernarg_segment_ptr 1
		.amdhsa_user_sgpr_dispatch_id 0
		.amdhsa_user_sgpr_private_segment_size 0
		.amdhsa_wavefront_size32 1
		.amdhsa_uses_dynamic_stack 0
		.amdhsa_enable_private_segment 0
		.amdhsa_system_sgpr_workgroup_id_x 1
		.amdhsa_system_sgpr_workgroup_id_y 0
		.amdhsa_system_sgpr_workgroup_id_z 0
		.amdhsa_system_sgpr_workgroup_info 0
		.amdhsa_system_vgpr_workitem_id 0
		.amdhsa_next_free_vgpr 5
		.amdhsa_next_free_sgpr 16
		.amdhsa_reserve_vcc 1
		.amdhsa_float_round_mode_32 0
		.amdhsa_float_round_mode_16_64 0
		.amdhsa_float_denorm_mode_32 3
		.amdhsa_float_denorm_mode_16_64 3
		.amdhsa_dx10_clamp 1
		.amdhsa_ieee_mode 1
		.amdhsa_fp16_overflow 0
		.amdhsa_workgroup_processor_mode 1
		.amdhsa_memory_ordered 1
		.amdhsa_forward_progress 0
		.amdhsa_shared_vgpr_count 0
		.amdhsa_exception_fp_ieee_invalid_op 0
		.amdhsa_exception_fp_denorm_src 0
		.amdhsa_exception_fp_ieee_div_zero 0
		.amdhsa_exception_fp_ieee_overflow 0
		.amdhsa_exception_fp_ieee_underflow 0
		.amdhsa_exception_fp_ieee_inexact 0
		.amdhsa_exception_int_div_zero 0
	.end_amdhsa_kernel
	.section	.text._ZN7rocprim6detail31init_lookback_scan_state_kernelINS0_19lookback_scan_stateINS_5tupleIJmbEEELb1ELb0EEEEEvT_jjPNS6_10value_typeE,"axG",@progbits,_ZN7rocprim6detail31init_lookback_scan_state_kernelINS0_19lookback_scan_stateINS_5tupleIJmbEEELb1ELb0EEEEEvT_jjPNS6_10value_typeE,comdat
.Lfunc_end63:
	.size	_ZN7rocprim6detail31init_lookback_scan_state_kernelINS0_19lookback_scan_stateINS_5tupleIJmbEEELb1ELb0EEEEEvT_jjPNS6_10value_typeE, .Lfunc_end63-_ZN7rocprim6detail31init_lookback_scan_state_kernelINS0_19lookback_scan_stateINS_5tupleIJmbEEELb1ELb0EEEEEvT_jjPNS6_10value_typeE
                                        ; -- End function
	.section	.AMDGPU.csdata,"",@progbits
; Kernel info:
; codeLenInByte = 428
; NumSgprs: 18
; NumVgprs: 5
; ScratchSize: 0
; MemoryBound: 0
; FloatMode: 240
; IeeeMode: 1
; LDSByteSize: 0 bytes/workgroup (compile time only)
; SGPRBlocks: 2
; VGPRBlocks: 0
; NumSGPRsForWavesPerEU: 18
; NumVGPRsForWavesPerEU: 5
; Occupancy: 16
; WaveLimiterHint : 0
; COMPUTE_PGM_RSRC2:SCRATCH_EN: 0
; COMPUTE_PGM_RSRC2:USER_SGPR: 15
; COMPUTE_PGM_RSRC2:TRAP_HANDLER: 0
; COMPUTE_PGM_RSRC2:TGID_X_EN: 1
; COMPUTE_PGM_RSRC2:TGID_Y_EN: 0
; COMPUTE_PGM_RSRC2:TGID_Z_EN: 0
; COMPUTE_PGM_RSRC2:TIDIG_COMP_CNT: 0
	.section	.text._ZN7rocprim6detail31init_lookback_scan_state_kernelINS0_19lookback_scan_stateINS_5tupleIJmbEEELb0ELb0EEEEEvT_jjPNS6_10value_typeE,"axG",@progbits,_ZN7rocprim6detail31init_lookback_scan_state_kernelINS0_19lookback_scan_stateINS_5tupleIJmbEEELb0ELb0EEEEEvT_jjPNS6_10value_typeE,comdat
	.protected	_ZN7rocprim6detail31init_lookback_scan_state_kernelINS0_19lookback_scan_stateINS_5tupleIJmbEEELb0ELb0EEEEEvT_jjPNS6_10value_typeE ; -- Begin function _ZN7rocprim6detail31init_lookback_scan_state_kernelINS0_19lookback_scan_stateINS_5tupleIJmbEEELb0ELb0EEEEEvT_jjPNS6_10value_typeE
	.globl	_ZN7rocprim6detail31init_lookback_scan_state_kernelINS0_19lookback_scan_stateINS_5tupleIJmbEEELb0ELb0EEEEEvT_jjPNS6_10value_typeE
	.p2align	8
	.type	_ZN7rocprim6detail31init_lookback_scan_state_kernelINS0_19lookback_scan_stateINS_5tupleIJmbEEELb0ELb0EEEEEvT_jjPNS6_10value_typeE,@function
_ZN7rocprim6detail31init_lookback_scan_state_kernelINS0_19lookback_scan_stateINS_5tupleIJmbEEELb0ELb0EEEEEvT_jjPNS6_10value_typeE: ; @_ZN7rocprim6detail31init_lookback_scan_state_kernelINS0_19lookback_scan_stateINS_5tupleIJmbEEELb0ELb0EEEEEvT_jjPNS6_10value_typeE
; %bb.0:
	s_clause 0x2
	s_load_b32 s2, s[0:1], 0x34
	s_load_b64 s[8:9], s[0:1], 0x20
	s_load_b128 s[4:7], s[0:1], 0x10
	s_waitcnt lgkmcnt(0)
	s_and_b32 s2, s2, 0xffff
	s_cmp_eq_u64 s[8:9], 0
	v_mad_u64_u32 v[1:2], null, s15, s2, v[0:1]
	s_cbranch_scc1 .LBB64_7
; %bb.1:
	s_cmp_lt_u32 s7, s6
	s_mov_b32 s11, 0
	s_cselect_b32 s2, s7, 0
	s_mov_b32 s14, exec_lo
	s_delay_alu instid0(VALU_DEP_1)
	v_cmpx_eq_u32_e64 s2, v1
	s_cbranch_execz .LBB64_6
; %bb.2:
	s_add_i32 s10, s7, 32
	s_load_b128 s[0:3], s[0:1], 0x0
	v_mov_b32_e32 v0, s10
	s_add_u32 s12, s4, s10
	s_addc_u32 s13, s5, 0
	global_load_u8 v0, v0, s[4:5] glc
	s_waitcnt vmcnt(0)
	v_cmp_ne_u16_e32 vcc_lo, 0, v0
	v_readfirstlane_b32 s7, v0
	s_cbranch_vccnz .LBB64_5
; %bb.3:
	v_mov_b32_e32 v0, 0
.LBB64_4:                               ; =>This Inner Loop Header: Depth=1
	global_load_u8 v2, v0, s[12:13] glc
	s_waitcnt vmcnt(0)
	v_cmp_eq_u16_e32 vcc_lo, 0, v2
	v_readfirstlane_b32 s7, v2
	s_cbranch_vccnz .LBB64_4
.LBB64_5:
	s_delay_alu instid0(VALU_DEP_1)
	s_and_b32 s7, 0xffff, s7
	v_mov_b32_e32 v0, 0
	s_cmp_eq_u32 s7, 1
	s_waitcnt lgkmcnt(0)
	buffer_gl1_inv
	buffer_gl0_inv
	s_cselect_b32 s3, s1, s3
	s_cselect_b32 s2, s0, s2
	s_lshl_b64 s[0:1], s[10:11], 4
	s_delay_alu instid0(SALU_CYCLE_1)
	s_add_u32 s0, s2, s0
	s_addc_u32 s1, s3, s1
	s_clause 0x1
	global_load_b64 v[2:3], v0, s[0:1]
	global_load_u8 v4, v0, s[0:1] offset:8
	s_waitcnt vmcnt(1)
	global_store_b64 v0, v[2:3], s[8:9]
	s_waitcnt vmcnt(0)
	global_store_b8 v0, v4, s[8:9] offset:8
.LBB64_6:
	s_or_b32 exec_lo, exec_lo, s14
.LBB64_7:
	s_delay_alu instid0(SALU_CYCLE_1) | instskip(NEXT) | instid1(VALU_DEP_1)
	s_mov_b32 s0, exec_lo
	v_cmpx_gt_u32_e64 s6, v1
	s_cbranch_execz .LBB64_9
; %bb.8:
	v_add_nc_u32_e32 v0, 32, v1
	v_mov_b32_e32 v2, 0
	global_store_b8 v0, v2, s[4:5]
.LBB64_9:
	s_or_b32 exec_lo, exec_lo, s0
	s_delay_alu instid0(SALU_CYCLE_1)
	s_mov_b32 s0, exec_lo
	v_cmpx_gt_u32_e32 32, v1
	s_cbranch_execz .LBB64_11
; %bb.10:
	v_mov_b32_e32 v0, 0xff
	global_store_b8 v1, v0, s[4:5]
.LBB64_11:
	s_nop 0
	s_sendmsg sendmsg(MSG_DEALLOC_VGPRS)
	s_endpgm
	.section	.rodata,"a",@progbits
	.p2align	6, 0x0
	.amdhsa_kernel _ZN7rocprim6detail31init_lookback_scan_state_kernelINS0_19lookback_scan_stateINS_5tupleIJmbEEELb0ELb0EEEEEvT_jjPNS6_10value_typeE
		.amdhsa_group_segment_fixed_size 0
		.amdhsa_private_segment_fixed_size 0
		.amdhsa_kernarg_size 296
		.amdhsa_user_sgpr_count 15
		.amdhsa_user_sgpr_dispatch_ptr 0
		.amdhsa_user_sgpr_queue_ptr 0
		.amdhsa_user_sgpr_kernarg_segment_ptr 1
		.amdhsa_user_sgpr_dispatch_id 0
		.amdhsa_user_sgpr_private_segment_size 0
		.amdhsa_wavefront_size32 1
		.amdhsa_uses_dynamic_stack 0
		.amdhsa_enable_private_segment 0
		.amdhsa_system_sgpr_workgroup_id_x 1
		.amdhsa_system_sgpr_workgroup_id_y 0
		.amdhsa_system_sgpr_workgroup_id_z 0
		.amdhsa_system_sgpr_workgroup_info 0
		.amdhsa_system_vgpr_workitem_id 0
		.amdhsa_next_free_vgpr 5
		.amdhsa_next_free_sgpr 16
		.amdhsa_reserve_vcc 1
		.amdhsa_float_round_mode_32 0
		.amdhsa_float_round_mode_16_64 0
		.amdhsa_float_denorm_mode_32 3
		.amdhsa_float_denorm_mode_16_64 3
		.amdhsa_dx10_clamp 1
		.amdhsa_ieee_mode 1
		.amdhsa_fp16_overflow 0
		.amdhsa_workgroup_processor_mode 1
		.amdhsa_memory_ordered 1
		.amdhsa_forward_progress 0
		.amdhsa_shared_vgpr_count 0
		.amdhsa_exception_fp_ieee_invalid_op 0
		.amdhsa_exception_fp_denorm_src 0
		.amdhsa_exception_fp_ieee_div_zero 0
		.amdhsa_exception_fp_ieee_overflow 0
		.amdhsa_exception_fp_ieee_underflow 0
		.amdhsa_exception_fp_ieee_inexact 0
		.amdhsa_exception_int_div_zero 0
	.end_amdhsa_kernel
	.section	.text._ZN7rocprim6detail31init_lookback_scan_state_kernelINS0_19lookback_scan_stateINS_5tupleIJmbEEELb0ELb0EEEEEvT_jjPNS6_10value_typeE,"axG",@progbits,_ZN7rocprim6detail31init_lookback_scan_state_kernelINS0_19lookback_scan_stateINS_5tupleIJmbEEELb0ELb0EEEEEvT_jjPNS6_10value_typeE,comdat
.Lfunc_end64:
	.size	_ZN7rocprim6detail31init_lookback_scan_state_kernelINS0_19lookback_scan_stateINS_5tupleIJmbEEELb0ELb0EEEEEvT_jjPNS6_10value_typeE, .Lfunc_end64-_ZN7rocprim6detail31init_lookback_scan_state_kernelINS0_19lookback_scan_stateINS_5tupleIJmbEEELb0ELb0EEEEEvT_jjPNS6_10value_typeE
                                        ; -- End function
	.section	.AMDGPU.csdata,"",@progbits
; Kernel info:
; codeLenInByte = 360
; NumSgprs: 18
; NumVgprs: 5
; ScratchSize: 0
; MemoryBound: 0
; FloatMode: 240
; IeeeMode: 1
; LDSByteSize: 0 bytes/workgroup (compile time only)
; SGPRBlocks: 2
; VGPRBlocks: 0
; NumSGPRsForWavesPerEU: 18
; NumVGPRsForWavesPerEU: 5
; Occupancy: 16
; WaveLimiterHint : 0
; COMPUTE_PGM_RSRC2:SCRATCH_EN: 0
; COMPUTE_PGM_RSRC2:USER_SGPR: 15
; COMPUTE_PGM_RSRC2:TRAP_HANDLER: 0
; COMPUTE_PGM_RSRC2:TGID_X_EN: 1
; COMPUTE_PGM_RSRC2:TGID_Y_EN: 0
; COMPUTE_PGM_RSRC2:TGID_Z_EN: 0
; COMPUTE_PGM_RSRC2:TIDIG_COMP_CNT: 0
	.section	.text._ZN7rocprim6detail25device_scan_by_key_kernelILNS0_25lookback_scan_determinismE0ELb0ENS0_26wrapped_scan_by_key_configINS_14default_configEimEEPiN6hipcub22TransformInputIteratorImNS7_6CastOpImEEPmlEESB_mNS7_8EqualityENS7_3SumENS0_19lookback_scan_stateINS_5tupleIJmbEEELb1ELb0EEEmEEvT2_T3_T4_T5_T6_T7_T8_mmmPKNSG_IJT9_bEEE,"axG",@progbits,_ZN7rocprim6detail25device_scan_by_key_kernelILNS0_25lookback_scan_determinismE0ELb0ENS0_26wrapped_scan_by_key_configINS_14default_configEimEEPiN6hipcub22TransformInputIteratorImNS7_6CastOpImEEPmlEESB_mNS7_8EqualityENS7_3SumENS0_19lookback_scan_stateINS_5tupleIJmbEEELb1ELb0EEEmEEvT2_T3_T4_T5_T6_T7_T8_mmmPKNSG_IJT9_bEEE,comdat
	.protected	_ZN7rocprim6detail25device_scan_by_key_kernelILNS0_25lookback_scan_determinismE0ELb0ENS0_26wrapped_scan_by_key_configINS_14default_configEimEEPiN6hipcub22TransformInputIteratorImNS7_6CastOpImEEPmlEESB_mNS7_8EqualityENS7_3SumENS0_19lookback_scan_stateINS_5tupleIJmbEEELb1ELb0EEEmEEvT2_T3_T4_T5_T6_T7_T8_mmmPKNSG_IJT9_bEEE ; -- Begin function _ZN7rocprim6detail25device_scan_by_key_kernelILNS0_25lookback_scan_determinismE0ELb0ENS0_26wrapped_scan_by_key_configINS_14default_configEimEEPiN6hipcub22TransformInputIteratorImNS7_6CastOpImEEPmlEESB_mNS7_8EqualityENS7_3SumENS0_19lookback_scan_stateINS_5tupleIJmbEEELb1ELb0EEEmEEvT2_T3_T4_T5_T6_T7_T8_mmmPKNSG_IJT9_bEEE
	.globl	_ZN7rocprim6detail25device_scan_by_key_kernelILNS0_25lookback_scan_determinismE0ELb0ENS0_26wrapped_scan_by_key_configINS_14default_configEimEEPiN6hipcub22TransformInputIteratorImNS7_6CastOpImEEPmlEESB_mNS7_8EqualityENS7_3SumENS0_19lookback_scan_stateINS_5tupleIJmbEEELb1ELb0EEEmEEvT2_T3_T4_T5_T6_T7_T8_mmmPKNSG_IJT9_bEEE
	.p2align	8
	.type	_ZN7rocprim6detail25device_scan_by_key_kernelILNS0_25lookback_scan_determinismE0ELb0ENS0_26wrapped_scan_by_key_configINS_14default_configEimEEPiN6hipcub22TransformInputIteratorImNS7_6CastOpImEEPmlEESB_mNS7_8EqualityENS7_3SumENS0_19lookback_scan_stateINS_5tupleIJmbEEELb1ELb0EEEmEEvT2_T3_T4_T5_T6_T7_T8_mmmPKNSG_IJT9_bEEE,@function
_ZN7rocprim6detail25device_scan_by_key_kernelILNS0_25lookback_scan_determinismE0ELb0ENS0_26wrapped_scan_by_key_configINS_14default_configEimEEPiN6hipcub22TransformInputIteratorImNS7_6CastOpImEEPmlEESB_mNS7_8EqualityENS7_3SumENS0_19lookback_scan_stateINS_5tupleIJmbEEELb1ELb0EEEmEEvT2_T3_T4_T5_T6_T7_T8_mmmPKNSG_IJT9_bEEE: ; @_ZN7rocprim6detail25device_scan_by_key_kernelILNS0_25lookback_scan_determinismE0ELb0ENS0_26wrapped_scan_by_key_configINS_14default_configEimEEPiN6hipcub22TransformInputIteratorImNS7_6CastOpImEEPmlEESB_mNS7_8EqualityENS7_3SumENS0_19lookback_scan_stateINS_5tupleIJmbEEELb1ELb0EEEmEEvT2_T3_T4_T5_T6_T7_T8_mmmPKNSG_IJT9_bEEE
; %bb.0:
	s_endpgm
	.section	.rodata,"a",@progbits
	.p2align	6, 0x0
	.amdhsa_kernel _ZN7rocprim6detail25device_scan_by_key_kernelILNS0_25lookback_scan_determinismE0ELb0ENS0_26wrapped_scan_by_key_configINS_14default_configEimEEPiN6hipcub22TransformInputIteratorImNS7_6CastOpImEEPmlEESB_mNS7_8EqualityENS7_3SumENS0_19lookback_scan_stateINS_5tupleIJmbEEELb1ELb0EEEmEEvT2_T3_T4_T5_T6_T7_T8_mmmPKNSG_IJT9_bEEE
		.amdhsa_group_segment_fixed_size 0
		.amdhsa_private_segment_fixed_size 0
		.amdhsa_kernarg_size 104
		.amdhsa_user_sgpr_count 15
		.amdhsa_user_sgpr_dispatch_ptr 0
		.amdhsa_user_sgpr_queue_ptr 0
		.amdhsa_user_sgpr_kernarg_segment_ptr 1
		.amdhsa_user_sgpr_dispatch_id 0
		.amdhsa_user_sgpr_private_segment_size 0
		.amdhsa_wavefront_size32 1
		.amdhsa_uses_dynamic_stack 0
		.amdhsa_enable_private_segment 0
		.amdhsa_system_sgpr_workgroup_id_x 1
		.amdhsa_system_sgpr_workgroup_id_y 0
		.amdhsa_system_sgpr_workgroup_id_z 0
		.amdhsa_system_sgpr_workgroup_info 0
		.amdhsa_system_vgpr_workitem_id 0
		.amdhsa_next_free_vgpr 1
		.amdhsa_next_free_sgpr 1
		.amdhsa_reserve_vcc 0
		.amdhsa_float_round_mode_32 0
		.amdhsa_float_round_mode_16_64 0
		.amdhsa_float_denorm_mode_32 3
		.amdhsa_float_denorm_mode_16_64 3
		.amdhsa_dx10_clamp 1
		.amdhsa_ieee_mode 1
		.amdhsa_fp16_overflow 0
		.amdhsa_workgroup_processor_mode 1
		.amdhsa_memory_ordered 1
		.amdhsa_forward_progress 0
		.amdhsa_shared_vgpr_count 0
		.amdhsa_exception_fp_ieee_invalid_op 0
		.amdhsa_exception_fp_denorm_src 0
		.amdhsa_exception_fp_ieee_div_zero 0
		.amdhsa_exception_fp_ieee_overflow 0
		.amdhsa_exception_fp_ieee_underflow 0
		.amdhsa_exception_fp_ieee_inexact 0
		.amdhsa_exception_int_div_zero 0
	.end_amdhsa_kernel
	.section	.text._ZN7rocprim6detail25device_scan_by_key_kernelILNS0_25lookback_scan_determinismE0ELb0ENS0_26wrapped_scan_by_key_configINS_14default_configEimEEPiN6hipcub22TransformInputIteratorImNS7_6CastOpImEEPmlEESB_mNS7_8EqualityENS7_3SumENS0_19lookback_scan_stateINS_5tupleIJmbEEELb1ELb0EEEmEEvT2_T3_T4_T5_T6_T7_T8_mmmPKNSG_IJT9_bEEE,"axG",@progbits,_ZN7rocprim6detail25device_scan_by_key_kernelILNS0_25lookback_scan_determinismE0ELb0ENS0_26wrapped_scan_by_key_configINS_14default_configEimEEPiN6hipcub22TransformInputIteratorImNS7_6CastOpImEEPmlEESB_mNS7_8EqualityENS7_3SumENS0_19lookback_scan_stateINS_5tupleIJmbEEELb1ELb0EEEmEEvT2_T3_T4_T5_T6_T7_T8_mmmPKNSG_IJT9_bEEE,comdat
.Lfunc_end65:
	.size	_ZN7rocprim6detail25device_scan_by_key_kernelILNS0_25lookback_scan_determinismE0ELb0ENS0_26wrapped_scan_by_key_configINS_14default_configEimEEPiN6hipcub22TransformInputIteratorImNS7_6CastOpImEEPmlEESB_mNS7_8EqualityENS7_3SumENS0_19lookback_scan_stateINS_5tupleIJmbEEELb1ELb0EEEmEEvT2_T3_T4_T5_T6_T7_T8_mmmPKNSG_IJT9_bEEE, .Lfunc_end65-_ZN7rocprim6detail25device_scan_by_key_kernelILNS0_25lookback_scan_determinismE0ELb0ENS0_26wrapped_scan_by_key_configINS_14default_configEimEEPiN6hipcub22TransformInputIteratorImNS7_6CastOpImEEPmlEESB_mNS7_8EqualityENS7_3SumENS0_19lookback_scan_stateINS_5tupleIJmbEEELb1ELb0EEEmEEvT2_T3_T4_T5_T6_T7_T8_mmmPKNSG_IJT9_bEEE
                                        ; -- End function
	.section	.AMDGPU.csdata,"",@progbits
; Kernel info:
; codeLenInByte = 4
; NumSgprs: 0
; NumVgprs: 0
; ScratchSize: 0
; MemoryBound: 0
; FloatMode: 240
; IeeeMode: 1
; LDSByteSize: 0 bytes/workgroup (compile time only)
; SGPRBlocks: 0
; VGPRBlocks: 0
; NumSGPRsForWavesPerEU: 1
; NumVGPRsForWavesPerEU: 1
; Occupancy: 16
; WaveLimiterHint : 0
; COMPUTE_PGM_RSRC2:SCRATCH_EN: 0
; COMPUTE_PGM_RSRC2:USER_SGPR: 15
; COMPUTE_PGM_RSRC2:TRAP_HANDLER: 0
; COMPUTE_PGM_RSRC2:TGID_X_EN: 1
; COMPUTE_PGM_RSRC2:TGID_Y_EN: 0
; COMPUTE_PGM_RSRC2:TGID_Z_EN: 0
; COMPUTE_PGM_RSRC2:TIDIG_COMP_CNT: 0
	.section	.text._ZN7rocprim6detail25device_scan_by_key_kernelILNS0_25lookback_scan_determinismE0ELb0ENS0_26wrapped_scan_by_key_configINS_14default_configEimEEPiN6hipcub22TransformInputIteratorImNS7_6CastOpImEEPmlEESB_mNS7_8EqualityENS7_3SumENS0_19lookback_scan_stateINS_5tupleIJmbEEELb0ELb0EEEmEEvT2_T3_T4_T5_T6_T7_T8_mmmPKNSG_IJT9_bEEE,"axG",@progbits,_ZN7rocprim6detail25device_scan_by_key_kernelILNS0_25lookback_scan_determinismE0ELb0ENS0_26wrapped_scan_by_key_configINS_14default_configEimEEPiN6hipcub22TransformInputIteratorImNS7_6CastOpImEEPmlEESB_mNS7_8EqualityENS7_3SumENS0_19lookback_scan_stateINS_5tupleIJmbEEELb0ELb0EEEmEEvT2_T3_T4_T5_T6_T7_T8_mmmPKNSG_IJT9_bEEE,comdat
	.protected	_ZN7rocprim6detail25device_scan_by_key_kernelILNS0_25lookback_scan_determinismE0ELb0ENS0_26wrapped_scan_by_key_configINS_14default_configEimEEPiN6hipcub22TransformInputIteratorImNS7_6CastOpImEEPmlEESB_mNS7_8EqualityENS7_3SumENS0_19lookback_scan_stateINS_5tupleIJmbEEELb0ELb0EEEmEEvT2_T3_T4_T5_T6_T7_T8_mmmPKNSG_IJT9_bEEE ; -- Begin function _ZN7rocprim6detail25device_scan_by_key_kernelILNS0_25lookback_scan_determinismE0ELb0ENS0_26wrapped_scan_by_key_configINS_14default_configEimEEPiN6hipcub22TransformInputIteratorImNS7_6CastOpImEEPmlEESB_mNS7_8EqualityENS7_3SumENS0_19lookback_scan_stateINS_5tupleIJmbEEELb0ELb0EEEmEEvT2_T3_T4_T5_T6_T7_T8_mmmPKNSG_IJT9_bEEE
	.globl	_ZN7rocprim6detail25device_scan_by_key_kernelILNS0_25lookback_scan_determinismE0ELb0ENS0_26wrapped_scan_by_key_configINS_14default_configEimEEPiN6hipcub22TransformInputIteratorImNS7_6CastOpImEEPmlEESB_mNS7_8EqualityENS7_3SumENS0_19lookback_scan_stateINS_5tupleIJmbEEELb0ELb0EEEmEEvT2_T3_T4_T5_T6_T7_T8_mmmPKNSG_IJT9_bEEE
	.p2align	8
	.type	_ZN7rocprim6detail25device_scan_by_key_kernelILNS0_25lookback_scan_determinismE0ELb0ENS0_26wrapped_scan_by_key_configINS_14default_configEimEEPiN6hipcub22TransformInputIteratorImNS7_6CastOpImEEPmlEESB_mNS7_8EqualityENS7_3SumENS0_19lookback_scan_stateINS_5tupleIJmbEEELb0ELb0EEEmEEvT2_T3_T4_T5_T6_T7_T8_mmmPKNSG_IJT9_bEEE,@function
_ZN7rocprim6detail25device_scan_by_key_kernelILNS0_25lookback_scan_determinismE0ELb0ENS0_26wrapped_scan_by_key_configINS_14default_configEimEEPiN6hipcub22TransformInputIteratorImNS7_6CastOpImEEPmlEESB_mNS7_8EqualityENS7_3SumENS0_19lookback_scan_stateINS_5tupleIJmbEEELb0ELb0EEEmEEvT2_T3_T4_T5_T6_T7_T8_mmmPKNSG_IJT9_bEEE: ; @_ZN7rocprim6detail25device_scan_by_key_kernelILNS0_25lookback_scan_determinismE0ELb0ENS0_26wrapped_scan_by_key_configINS_14default_configEimEEPiN6hipcub22TransformInputIteratorImNS7_6CastOpImEEPmlEESB_mNS7_8EqualityENS7_3SumENS0_19lookback_scan_stateINS_5tupleIJmbEEELb0ELb0EEEmEEvT2_T3_T4_T5_T6_T7_T8_mmmPKNSG_IJT9_bEEE
; %bb.0:
	s_clause 0x1
	s_load_b128 s[4:7], s[0:1], 0x0
	s_load_b128 s[24:27], s[0:1], 0x50
	s_mov_b32 s3, 0
	s_lshl_b32 s2, s15, 11
	s_load_b64 s[30:31], s[0:1], 0x60
	s_lshl_b64 s[8:9], s[2:3], 2
	s_load_b256 s[16:23], s[0:1], 0x30
	v_lshlrev_b32_e32 v29, 2, v0
	s_waitcnt lgkmcnt(0)
	s_add_u32 s12, s4, s8
	s_addc_u32 s13, s5, s9
	s_lshl_b64 s[28:29], s[2:3], 3
	s_delay_alu instid0(SALU_CYCLE_1)
	s_add_u32 s10, s6, s28
	s_addc_u32 s11, s7, s29
	s_add_u32 s4, s15, s24
	s_addc_u32 s5, 0, s25
	s_add_u32 s26, s26, -1
	s_addc_u32 s27, s27, -1
	s_delay_alu instid0(SALU_CYCLE_1) | instskip(NEXT) | instid1(VALU_DEP_1)
	v_cmp_ge_u64_e64 s14, s[4:5], s[26:27]
	s_and_b32 vcc_lo, exec_lo, s14
	s_cbranch_vccz .LBB66_43
; %bb.1:
	s_load_b32 s9, s[12:13], 0x0
	s_lshl_b32 s2, s26, 11
	s_delay_alu instid0(SALU_CYCLE_1) | instskip(SKIP_1) | instid1(VALU_DEP_1)
	s_sub_i32 s23, s22, s2
	v_add_co_u32 v1, s2, s12, v29
	v_add_co_ci_u32_e64 v2, null, s13, 0, s2
	v_cmp_gt_u32_e32 vcc_lo, s23, v0
	s_waitcnt lgkmcnt(0)
	v_mov_b32_e32 v3, s9
	s_and_saveexec_b32 s2, vcc_lo
	s_cbranch_execz .LBB66_3
; %bb.2:
	global_load_b32 v3, v[1:2], off
.LBB66_3:
	s_or_b32 exec_lo, exec_lo, s2
	v_or_b32_e32 v7, 0x100, v0
	v_mov_b32_e32 v4, s9
	s_delay_alu instid0(VALU_DEP_2) | instskip(NEXT) | instid1(VALU_DEP_1)
	v_cmp_gt_u32_e64 s2, s23, v7
	s_and_saveexec_b32 s3, s2
	s_cbranch_execz .LBB66_5
; %bb.4:
	global_load_b32 v4, v[1:2], off offset:1024
.LBB66_5:
	s_or_b32 exec_lo, exec_lo, s3
	v_or_b32_e32 v8, 0x200, v0
	v_mov_b32_e32 v6, s9
	s_delay_alu instid0(VALU_DEP_2) | instskip(NEXT) | instid1(VALU_DEP_1)
	v_cmp_gt_u32_e64 s5, s23, v8
	s_and_saveexec_b32 s3, s5
	s_cbranch_execz .LBB66_7
; %bb.6:
	global_load_b32 v6, v[1:2], off offset:2048
.LBB66_7:
	;; [unrolled: 10-line block ×3, first 2 shown]
	s_or_b32 exec_lo, exec_lo, s3
	v_or_b32_e32 v12, 0x400, v0
	v_mov_b32_e32 v9, s9
	s_delay_alu instid0(VALU_DEP_2) | instskip(NEXT) | instid1(VALU_DEP_1)
	v_cmp_gt_u32_e64 s3, s23, v12
	s_and_saveexec_b32 s7, s3
	s_cbranch_execz .LBB66_11
; %bb.10:
	v_add_co_u32 v13, s6, 0x1000, v1
	s_delay_alu instid0(VALU_DEP_1)
	v_add_co_ci_u32_e64 v14, s6, 0, v2, s6
	global_load_b32 v9, v[13:14], off
.LBB66_11:
	s_or_b32 exec_lo, exec_lo, s7
	v_or_b32_e32 v13, 0x500, v0
	v_mov_b32_e32 v11, s9
	s_delay_alu instid0(VALU_DEP_2) | instskip(NEXT) | instid1(VALU_DEP_1)
	v_cmp_gt_u32_e64 s6, s23, v13
	s_and_saveexec_b32 s8, s6
	s_cbranch_execz .LBB66_13
; %bb.12:
	v_add_co_u32 v14, s7, 0x1000, v1
	s_delay_alu instid0(VALU_DEP_1)
	v_add_co_ci_u32_e64 v15, s7, 0, v2, s7
	global_load_b32 v11, v[14:15], off offset:1024
.LBB66_13:
	s_or_b32 exec_lo, exec_lo, s8
	v_or_b32_e32 v15, 0x600, v0
	v_mov_b32_e32 v14, s9
	s_delay_alu instid0(VALU_DEP_2) | instskip(NEXT) | instid1(VALU_DEP_1)
	v_cmp_gt_u32_e64 s7, s23, v15
	s_and_saveexec_b32 s27, s7
	s_cbranch_execz .LBB66_15
; %bb.14:
	v_add_co_u32 v16, s8, 0x1000, v1
	s_delay_alu instid0(VALU_DEP_1)
	v_add_co_ci_u32_e64 v17, s8, 0, v2, s8
	global_load_b32 v14, v[16:17], off offset:2048
.LBB66_15:
	;; [unrolled: 13-line block ×3, first 2 shown]
	s_or_b32 exec_lo, exec_lo, s27
	v_lshrrev_b32_e32 v1, 5, v0
	v_lshrrev_b32_e32 v2, 5, v7
	;; [unrolled: 1-line block ×3, first 2 shown]
	s_sub_u32 s34, 0, s15
	s_subb_u32 s35, 0, 0
	v_add_nc_u32_e32 v30, v1, v0
	v_add_nc_u32_e32 v28, v2, v0
	;; [unrolled: 1-line block ×3, first 2 shown]
	v_lshrrev_b32_e32 v1, 5, v10
	v_lshrrev_b32_e32 v2, 5, v12
	v_lshlrev_b32_e32 v7, 2, v30
	v_lshlrev_b32_e32 v8, 2, v28
	;; [unrolled: 1-line block ×3, first 2 shown]
	v_add_nc_u32_e32 v32, v1, v0
	v_lshrrev_b32_e32 v1, 5, v13
	v_add_nc_u32_e32 v31, v2, v0
	v_lshrrev_b32_e32 v2, 5, v15
	s_waitcnt vmcnt(0)
	ds_store_b32 v7, v3
	ds_store_b32 v8, v4 offset:1024
	ds_store_b32 v10, v6 offset:2048
	v_lshrrev_b32_e32 v3, 5, v17
	v_lshlrev_b32_e32 v4, 2, v32
	v_add_nc_u32_e32 v38, v1, v0
	v_lshlrev_b32_e32 v6, 2, v31
	v_add_nc_u32_e32 v37, v2, v0
	v_add_nc_u32_e32 v36, v3, v0
	ds_store_b32 v4, v5 offset:3072
	ds_store_b32 v6, v9 offset:4096
	v_lshlrev_b32_e32 v1, 2, v38
	v_lshlrev_b32_e32 v33, 3, v0
	v_lshrrev_b32_e32 v4, 2, v0
	s_cmp_eq_u64 s[34:35], s[24:25]
	v_lshlrev_b32_e32 v2, 2, v37
	v_lshlrev_b32_e32 v3, 2, v36
	s_cselect_b32 s9, 0, -4
	s_cselect_b32 s27, 0, -1
	s_add_u32 s34, s12, s9
	ds_store_b32 v1, v11 offset:5120
	ds_store_b32 v2, v14 offset:6144
	;; [unrolled: 1-line block ×3, first 2 shown]
	v_add_nc_u32_e32 v1, v4, v33
	s_addc_u32 s35, s13, s27
	s_waitcnt lgkmcnt(0)
	s_barrier
	buffer_gl0_inv
	s_load_b32 s27, s[34:35], 0x0
	v_lshlrev_b32_e32 v34, 2, v1
	ds_load_2addr_b32 v[3:4], v34 offset0:6 offset1:7
	ds_load_2addr_b32 v[19:20], v34 offset1:1
	ds_load_2addr_b32 v[7:8], v34 offset0:4 offset1:5
	ds_load_2addr_b32 v[15:16], v34 offset0:2 offset1:3
	s_waitcnt lgkmcnt(0)
	v_mov_b32_e32 v35, s27
	s_mov_b32 s27, exec_lo
	ds_store_b32 v29, v4 offset:8448
	s_waitcnt lgkmcnt(0)
	s_barrier
	buffer_gl0_inv
	v_cmpx_ne_u32_e32 0, v0
	s_cbranch_execz .LBB66_19
; %bb.18:
	ds_load_b32 v35, v29 offset:8444
.LBB66_19:
	s_or_b32 exec_lo, exec_lo, s27
	v_add_co_u32 v5, s9, s10, v33
	s_delay_alu instid0(VALU_DEP_1)
	v_add_co_ci_u32_e64 v6, null, s11, 0, s9
	s_waitcnt lgkmcnt(0)
	s_barrier
	buffer_gl0_inv
                                        ; implicit-def: $vgpr1_vgpr2
	s_and_saveexec_b32 s9, vcc_lo
	s_cbranch_execnz .LBB66_160
; %bb.20:
	s_or_b32 exec_lo, exec_lo, s9
                                        ; implicit-def: $vgpr9_vgpr10
	s_and_saveexec_b32 s9, s2
	s_cbranch_execnz .LBB66_161
.LBB66_21:
	s_or_b32 exec_lo, exec_lo, s9
                                        ; implicit-def: $vgpr11_vgpr12
	s_and_saveexec_b32 s2, s5
	s_cbranch_execnz .LBB66_162
.LBB66_22:
	s_or_b32 exec_lo, exec_lo, s2
                                        ; implicit-def: $vgpr13_vgpr14
	s_and_saveexec_b32 s2, s4
	s_cbranch_execnz .LBB66_163
.LBB66_23:
	s_or_b32 exec_lo, exec_lo, s2
                                        ; implicit-def: $vgpr17_vgpr18
	s_and_saveexec_b32 s2, s3
	s_cbranch_execnz .LBB66_164
.LBB66_24:
	s_or_b32 exec_lo, exec_lo, s2
                                        ; implicit-def: $vgpr21_vgpr22
	s_and_saveexec_b32 s2, s6
	s_cbranch_execnz .LBB66_165
.LBB66_25:
	s_or_b32 exec_lo, exec_lo, s2
                                        ; implicit-def: $vgpr23_vgpr24
	s_and_saveexec_b32 s2, s7
	s_cbranch_execnz .LBB66_166
.LBB66_26:
	s_or_b32 exec_lo, exec_lo, s2
                                        ; implicit-def: $vgpr25_vgpr26
	s_and_saveexec_b32 s2, s8
	s_cbranch_execz .LBB66_28
.LBB66_27:
	v_add_co_u32 v5, vcc_lo, 0x3000, v5
	v_add_co_ci_u32_e32 v6, vcc_lo, 0, v6, vcc_lo
	global_load_b64 v[25:26], v[5:6], off offset:2048
.LBB66_28:
	s_or_b32 exec_lo, exec_lo, s2
	v_lshlrev_b32_e32 v5, 3, v30
	v_lshlrev_b32_e32 v6, 3, v28
	v_dual_mov_b32 v50, 0 :: v_dual_lshlrev_b32 v27, 3, v27
	v_mov_b32_e32 v41, 0
	s_waitcnt vmcnt(0)
	ds_store_b64 v5, v[1:2]
	ds_store_b64 v6, v[9:10] offset:2048
	ds_store_b64 v27, v[11:12] offset:4096
	v_dual_mov_b32 v30, 0 :: v_dual_lshlrev_b32 v1, 3, v32
	v_dual_mov_b32 v31, 0 :: v_dual_lshlrev_b32 v2, 3, v31
	v_lshlrev_b32_e32 v5, 3, v38
	v_lshlrev_b32_e32 v6, 3, v37
	;; [unrolled: 1-line block ×3, first 2 shown]
	ds_store_b64 v1, v[13:14] offset:6144
	ds_store_b64 v2, v[17:18] offset:8192
	;; [unrolled: 1-line block ×5, first 2 shown]
	v_mov_b32_e32 v1, 0
	v_mov_b32_e32 v2, 0
	s_mov_b32 s3, 0
	s_mov_b32 s5, 0
	s_mov_b64 s[6:7], 0
	s_mov_b32 s8, exec_lo
	v_dual_mov_b32 v22, v2 :: v_dual_mov_b32 v21, v1
	v_dual_mov_b32 v14, v2 :: v_dual_mov_b32 v13, v1
	;; [unrolled: 1-line block ×3, first 2 shown]
	v_mov_b32_e32 v6, v2
	v_dual_mov_b32 v40, v2 :: v_dual_mov_b32 v5, v1
	v_dual_mov_b32 v10, v2 :: v_dual_mov_b32 v39, v1
	v_mov_b32_e32 v9, v1
	s_waitcnt lgkmcnt(0)
	s_barrier
	buffer_gl0_inv
                                        ; implicit-def: $sgpr4
                                        ; implicit-def: $vgpr32
                                        ; implicit-def: $vgpr27_vgpr28
	v_cmpx_gt_u32_e64 s23, v33
	s_cbranch_execz .LBB66_42
; %bb.29:
	v_add_nc_u32_e32 v25, v34, v34
	v_dual_mov_b32 v39, 0 :: v_dual_mov_b32 v50, 0
	v_mov_b32_e32 v40, 0
	v_or_b32_e32 v5, 1, v33
	ds_load_b64 v[1:2], v25
	v_cmp_ne_u32_e32 vcc_lo, v35, v19
	v_dual_mov_b32 v30, 0 :: v_dual_mov_b32 v21, v39
	v_dual_mov_b32 v22, v40 :: v_dual_mov_b32 v13, v39
	v_dual_mov_b32 v14, v40 :: v_dual_mov_b32 v17, v39
	v_cndmask_b32_e64 v41, 0, 1, vcc_lo
	v_cmp_gt_u32_e32 vcc_lo, s23, v5
	v_dual_mov_b32 v18, v40 :: v_dual_mov_b32 v5, v39
	v_dual_mov_b32 v6, v40 :: v_dual_mov_b32 v31, 0
	;; [unrolled: 1-line block ×3, first 2 shown]
	s_mov_b32 s2, 0
                                        ; implicit-def: $sgpr4
                                        ; implicit-def: $vgpr32
                                        ; implicit-def: $vgpr27_vgpr28
	s_and_saveexec_b32 s9, vcc_lo
	s_cbranch_execz .LBB66_41
; %bb.30:
	ds_load_2addr_b64 v[9:12], v25 offset0:1 offset1:2
	v_dual_mov_b32 v39, 0 :: v_dual_mov_b32 v50, 0
	v_mov_b32_e32 v40, 0
	v_or_b32_e32 v5, 2, v33
	v_cmp_ne_u32_e32 vcc_lo, v19, v20
	s_delay_alu instid0(VALU_DEP_4) | instskip(NEXT) | instid1(VALU_DEP_4)
	v_dual_mov_b32 v30, 0 :: v_dual_mov_b32 v21, v39
	v_dual_mov_b32 v22, v40 :: v_dual_mov_b32 v13, v39
	;; [unrolled: 1-line block ×3, first 2 shown]
	v_cndmask_b32_e64 v31, 0, 1, vcc_lo
	v_cmp_gt_u32_e32 vcc_lo, s23, v5
	v_dual_mov_b32 v18, v40 :: v_dual_mov_b32 v5, v39
	v_mov_b32_e32 v6, v40
                                        ; implicit-def: $sgpr3
                                        ; implicit-def: $vgpr32
                                        ; implicit-def: $vgpr27_vgpr28
	s_and_saveexec_b32 s27, vcc_lo
	s_cbranch_execz .LBB66_40
; %bb.31:
	s_waitcnt lgkmcnt(0)
	v_dual_mov_b32 v39, 0 :: v_dual_mov_b32 v6, v12
	v_dual_mov_b32 v5, v11 :: v_dual_mov_b32 v40, 0
	v_cmp_ne_u32_e32 vcc_lo, v20, v15
	s_delay_alu instid0(VALU_DEP_3) | instskip(NEXT) | instid1(VALU_DEP_3)
	v_dual_mov_b32 v50, 0 :: v_dual_mov_b32 v21, v39
	v_dual_mov_b32 v13, v39 :: v_dual_mov_b32 v22, v40
	;; [unrolled: 1-line block ×3, first 2 shown]
	v_or_b32_e32 v11, 3, v33
	v_cndmask_b32_e64 v30, 0, 1, vcc_lo
	v_mov_b32_e32 v18, v40
	s_mov_b32 s33, exec_lo
                                        ; implicit-def: $sgpr3
                                        ; implicit-def: $vgpr32
                                        ; implicit-def: $vgpr27_vgpr28
	s_delay_alu instid0(VALU_DEP_3)
	v_cmpx_gt_u32_e64 s23, v11
	s_cbranch_execz .LBB66_39
; %bb.32:
	ds_load_2addr_b64 v[17:20], v25 offset0:3 offset1:4
	v_mov_b32_e32 v39, 0
	v_mov_b32_e32 v40, 0
	v_cmp_ne_u32_e64 s4, v15, v16
	v_cmp_ne_u32_e32 vcc_lo, v7, v8
	v_or_b32_e32 v11, 4, v33
	v_cmp_ne_u32_e64 s2, v8, v3
	v_cmp_ne_u32_e64 s3, v16, v7
	v_cndmask_b32_e64 v50, 0, 1, s4
	v_dual_mov_b32 v21, v39 :: v_dual_mov_b32 v22, v40
	v_dual_mov_b32 v13, v39 :: v_dual_mov_b32 v14, v40
	s_mov_b32 s35, 0
	s_mov_b32 s34, exec_lo
                                        ; implicit-def: $sgpr36
                                        ; implicit-def: $vgpr32
                                        ; implicit-def: $vgpr27_vgpr28
	v_cmpx_gt_u32_e64 s23, v11
	s_cbranch_execz .LBB66_38
; %bb.33:
	v_cndmask_b32_e64 v7, 0, 1, s3
	v_cndmask_b32_e64 v8, 0, 1, s2
	v_cndmask_b32_e64 v11, 0, 1, vcc_lo
	s_waitcnt lgkmcnt(0)
	v_dual_mov_b32 v13, v19 :: v_dual_mov_b32 v14, v20
	v_lshlrev_b16 v7, 8, v7
	v_lshlrev_b16 v8, 8, v8
	s_mov_b32 s2, 0
	s_mov_b32 s3, exec_lo
                                        ; implicit-def: $sgpr4
                                        ; implicit-def: $vgpr27_vgpr28
	v_mov_b32_e32 v39, 0
	v_or_b32_e32 v7, v50, v7
	v_or_b32_e32 v8, v11, v8
	;; [unrolled: 1-line block ×3, first 2 shown]
	v_mov_b32_e32 v40, 0
	v_mov_b32_e32 v21, v39
	v_and_b32_e32 v7, 0xffff, v7
	v_lshlrev_b32_e32 v8, 16, v8
	s_delay_alu instid0(VALU_DEP_4) | instskip(NEXT) | instid1(VALU_DEP_2)
	v_mov_b32_e32 v22, v40
	v_or_b32_e32 v32, v7, v8
	s_delay_alu instid0(VALU_DEP_1)
	v_and_b32_e32 v50, 0xffff, v32
	v_cmpx_gt_u32_e64 s23, v11
	s_cbranch_execz .LBB66_37
; %bb.34:
	ds_load_2addr_b64 v[21:24], v25 offset0:5 offset1:6
	v_dual_mov_b32 v39, 0 :: v_dual_and_b32 v50, 0xffffff, v32
	v_or_b32_e32 v7, 6, v33
	v_mov_b32_e32 v40, 0
	s_mov_b32 s35, exec_lo
                                        ; implicit-def: $sgpr4
                                        ; implicit-def: $vgpr27_vgpr28
	s_delay_alu instid0(VALU_DEP_2)
	v_cmpx_gt_u32_e64 s23, v7
	s_xor_b32 s35, exec_lo, s35
	s_cbranch_execz .LBB66_36
; %bb.35:
	ds_load_b64 v[27:28], v25 offset:56
	v_or_b32_e32 v7, 7, v33
	v_cmp_ne_u32_e32 vcc_lo, v3, v4
	s_waitcnt lgkmcnt(1)
	v_mov_b32_e32 v40, v24
	v_dual_mov_b32 v26, v24 :: v_dual_mov_b32 v25, v23
	v_cmp_gt_u32_e64 s2, s23, v7
	v_dual_mov_b32 v50, v32 :: v_dual_mov_b32 v39, v23
	s_and_b32 s4, vcc_lo, exec_lo
	s_delay_alu instid0(VALU_DEP_2)
	s_and_b32 s2, s2, exec_lo
.LBB66_36:
	s_or_b32 exec_lo, exec_lo, s35
	s_delay_alu instid0(SALU_CYCLE_1)
	s_and_b32 s4, s4, exec_lo
	s_and_b32 s2, s2, exec_lo
.LBB66_37:
	s_or_b32 exec_lo, exec_lo, s3
	s_waitcnt lgkmcnt(0)
	v_dual_mov_b32 v15, v21 :: v_dual_mov_b32 v16, v22
	v_dual_mov_b32 v7, v17 :: v_dual_mov_b32 v8, v18
	;; [unrolled: 1-line block ×3, first 2 shown]
	s_and_b32 s36, s4, exec_lo
	s_and_b32 s35, s2, exec_lo
.LBB66_38:
	s_or_b32 exec_lo, exec_lo, s34
	s_delay_alu instid0(SALU_CYCLE_1)
	s_and_b32 s3, s36, exec_lo
	s_and_b32 s2, s35, exec_lo
.LBB66_39:
	s_or_b32 exec_lo, exec_lo, s33
	s_delay_alu instid0(SALU_CYCLE_1)
	s_and_b32 s3, s3, exec_lo
	s_and_b32 s2, s2, exec_lo
.LBB66_40:
	s_or_b32 exec_lo, exec_lo, s27
	s_delay_alu instid0(SALU_CYCLE_1)
	s_and_b32 s4, s3, exec_lo
	s_and_b32 s3, s2, exec_lo
.LBB66_41:
	s_or_b32 exec_lo, exec_lo, s9
	s_delay_alu instid0(SALU_CYCLE_1)
	s_and_b32 s4, s4, exec_lo
	s_and_b32 s3, s3, exec_lo
.LBB66_42:
	s_or_b32 exec_lo, exec_lo, s8
	s_mov_b32 s8, 0
	s_branch .LBB66_44
.LBB66_43:
	s_mov_b32 s5, -1
                                        ; implicit-def: $sgpr4
                                        ; implicit-def: $vgpr32
                                        ; implicit-def: $vgpr27_vgpr28
                                        ; implicit-def: $vgpr1_vgpr2
                                        ; implicit-def: $vgpr15_vgpr16
                                        ; implicit-def: $vgpr7_vgpr8
                                        ; implicit-def: $vgpr30
                                        ; implicit-def: $vgpr31
                                        ; implicit-def: $vgpr41
                                        ; implicit-def: $vgpr50
                                        ; implicit-def: $sgpr8
                                        ; implicit-def: $sgpr6_sgpr7
                                        ; implicit-def: $vgpr39_vgpr40
                                        ; implicit-def: $vgpr21_vgpr22
                                        ; implicit-def: $vgpr17_vgpr18
                                        ; implicit-def: $vgpr9_vgpr10
.LBB66_44:
	v_lshrrev_b32_e32 v47, 5, v0
	v_or_b32_e32 v49, 0x100, v0
	v_or_b32_e32 v48, 0x200, v0
	;; [unrolled: 1-line block ×7, first 2 shown]
	v_cmp_ne_u32_e64 s2, 0, v0
	s_and_b32 vcc_lo, exec_lo, s5
	s_cbranch_vccz .LBB66_48
; %bb.45:
	s_waitcnt lgkmcnt(0)
	v_add_co_u32 v1, s3, s12, v29
	s_delay_alu instid0(VALU_DEP_1) | instskip(SKIP_1) | instid1(VALU_DEP_3)
	v_add_co_ci_u32_e64 v2, null, s13, 0, s3
	v_lshrrev_b32_e32 v4, 5, v48
	v_add_co_u32 v1, vcc_lo, 0x1000, v1
	s_delay_alu instid0(VALU_DEP_3)
	v_add_co_ci_u32_e32 v2, vcc_lo, 0, v2, vcc_lo
	s_clause 0x7
	global_load_b32 v9, v29, s[12:13]
	global_load_b32 v10, v29, s[12:13] offset:1024
	global_load_b32 v11, v29, s[12:13] offset:2048
	;; [unrolled: 1-line block ×3, first 2 shown]
	global_load_b32 v17, v[1:2], off
	global_load_b32 v18, v[1:2], off offset:1024
	global_load_b32 v19, v[1:2], off offset:2048
	;; [unrolled: 1-line block ×3, first 2 shown]
	v_lshrrev_b32_e32 v2, 5, v49
	v_lshrrev_b32_e32 v5, 5, v46
	;; [unrolled: 1-line block ×3, first 2 shown]
	v_add_nc_u32_e32 v3, v47, v0
	v_lshrrev_b32_e32 v7, 5, v44
	v_lshrrev_b32_e32 v16, 5, v43
	;; [unrolled: 1-line block ×3, first 2 shown]
	s_sub_u32 s4, 0, s15
	s_subb_u32 s5, 0, 0
	v_add_nc_u32_e32 v15, v2, v0
	v_add_nc_u32_e32 v14, v4, v0
	v_lshrrev_b32_e32 v21, 2, v0
	s_cmp_eq_u64 s[4:5], s[24:25]
	v_add_nc_u32_e32 v13, v5, v0
	v_add_nc_u32_e32 v8, v6, v0
	v_lshlrev_b32_e32 v22, 2, v3
	v_add_nc_u32_e32 v7, v7, v0
	v_add_nc_u32_e32 v6, v16, v0
	;; [unrolled: 1-line block ×3, first 2 shown]
	s_cselect_b32 s3, 0, -4
	s_cselect_b32 s5, 0, -1
	v_lshlrev_b32_e32 v2, 2, v15
	s_add_u32 s4, s12, s3
	v_lshlrev_b32_e32 v20, 2, v14
	v_lshl_add_u32 v4, v0, 3, v21
	s_addc_u32 s5, s13, s5
	v_lshlrev_b32_e32 v21, 2, v13
	v_lshlrev_b32_e32 v23, 2, v8
	;; [unrolled: 1-line block ×6, first 2 shown]
	s_mov_b32 s3, -1
	s_waitcnt vmcnt(7)
	ds_store_b32 v22, v9
	s_waitcnt vmcnt(6)
	ds_store_b32 v2, v10 offset:1024
	s_waitcnt vmcnt(5)
	ds_store_b32 v20, v11 offset:2048
	;; [unrolled: 2-line block ×7, first 2 shown]
	s_waitcnt lgkmcnt(0)
	s_barrier
	buffer_gl0_inv
	s_load_b32 s4, s[4:5], 0x0
	ds_load_2addr_b32 v[11:12], v16 offset0:6 offset1:7
	ds_load_2addr_b32 v[9:10], v16 offset1:1
	ds_load_2addr_b32 v[1:2], v16 offset0:4 offset1:5
	ds_load_2addr_b32 v[17:18], v16 offset0:2 offset1:3
	s_waitcnt lgkmcnt(0)
	ds_store_b32 v29, v12 offset:8448
	s_waitcnt lgkmcnt(0)
	v_mov_b32_e32 v19, s4
	s_barrier
	buffer_gl0_inv
	s_and_saveexec_b32 s4, s2
	s_cbranch_execz .LBB66_47
; %bb.46:
	ds_load_b32 v19, v29 offset:8444
.LBB66_47:
	s_or_b32 exec_lo, exec_lo, s4
	v_lshlrev_b32_e32 v30, 3, v0
	s_waitcnt lgkmcnt(0)
	s_barrier
	buffer_gl0_inv
	v_lshlrev_b32_e32 v14, 3, v14
	v_add_co_u32 v26, s2, s10, v30
	s_delay_alu instid0(VALU_DEP_1) | instskip(SKIP_1) | instid1(VALU_DEP_3)
	v_add_co_ci_u32_e64 v27, null, s11, 0, s2
	v_lshlrev_b32_e32 v13, 3, v13
	v_add_co_u32 v20, vcc_lo, 0x1000, v26
	s_delay_alu instid0(VALU_DEP_3)
	v_add_co_ci_u32_e32 v21, vcc_lo, 0, v27, vcc_lo
	v_add_co_u32 v22, vcc_lo, v26, 0x2000
	v_add_co_ci_u32_e32 v23, vcc_lo, 0, v27, vcc_lo
	v_add_co_u32 v24, vcc_lo, 0x2000, v26
	;; [unrolled: 2-line block ×3, first 2 shown]
	v_add_co_ci_u32_e32 v27, vcc_lo, 0, v27, vcc_lo
	s_clause 0x7
	global_load_b64 v[28:29], v30, s[10:11]
	global_load_b64 v[30:31], v30, s[10:11] offset:2048
	global_load_b64 v[32:33], v[22:23], off offset:-4096
	global_load_b64 v[20:21], v[20:21], off offset:2048
	global_load_b64 v[22:23], v[22:23], off
	global_load_b64 v[24:25], v[24:25], off offset:2048
	global_load_b64 v[34:35], v[26:27], off
	global_load_b64 v[26:27], v[26:27], off offset:2048
	v_cmp_ne_u32_e32 vcc_lo, v18, v1
	v_lshlrev_b32_e32 v8, 3, v8
	v_lshlrev_b32_e32 v7, 3, v7
	;; [unrolled: 1-line block ×4, first 2 shown]
	v_cndmask_b32_e64 v36, 0, 1, vcc_lo
	v_cmp_ne_u32_e32 vcc_lo, v17, v18
	v_cmp_ne_u32_e64 s4, v11, v12
                                        ; implicit-def: $vgpr50
                                        ; implicit-def: $sgpr8
                                        ; implicit-def: $sgpr6_sgpr7
                                        ; implicit-def: $vgpr39_vgpr40
	v_cndmask_b32_e64 v18, 0, 1, vcc_lo
	v_cmp_ne_u32_e32 vcc_lo, v2, v11
	v_cndmask_b32_e64 v37, 0, 1, vcc_lo
	v_cmp_ne_u32_e32 vcc_lo, v1, v2
	v_lshlrev_b32_e32 v2, 3, v3
	v_lshlrev_b32_e32 v3, 3, v15
	v_lshlrev_b16 v15, 8, v36
	v_lshlrev_b16 v36, 8, v37
	v_cndmask_b32_e64 v1, 0, 1, vcc_lo
	v_lshl_add_u32 v37, v4, 2, v16
	v_cmp_ne_u32_e32 vcc_lo, v10, v17
	v_or_b32_e32 v18, v18, v15
	s_waitcnt vmcnt(7)
	ds_store_b64 v2, v[28:29]
	s_waitcnt vmcnt(6)
	ds_store_b64 v3, v[30:31] offset:2048
	s_waitcnt vmcnt(5)
	ds_store_b64 v14, v[32:33] offset:4096
	;; [unrolled: 2-line block ×7, first 2 shown]
	v_or_b32_e32 v36, v1, v36
	s_waitcnt lgkmcnt(0)
	s_barrier
	buffer_gl0_inv
	ds_load_2addr_b64 v[1:4], v37 offset1:1
	ds_load_2addr_b64 v[5:8], v37 offset0:2 offset1:3
	ds_load_2addr_b64 v[13:16], v37 offset0:4 offset1:5
	;; [unrolled: 1-line block ×3, first 2 shown]
	v_cndmask_b32_e64 v30, 0, 1, vcc_lo
	v_cmp_ne_u32_e32 vcc_lo, v9, v10
	v_and_b32_e32 v18, 0xffff, v18
	v_lshlrev_b32_e32 v20, 16, v36
                                        ; implicit-def: $vgpr21_vgpr22
	v_cndmask_b32_e64 v31, 0, 1, vcc_lo
	v_cmp_ne_u32_e32 vcc_lo, v19, v9
	s_delay_alu instid0(VALU_DEP_3)
	v_or_b32_e32 v32, v18, v20
                                        ; implicit-def: $vgpr17_vgpr18
                                        ; implicit-def: $vgpr9_vgpr10
	v_cndmask_b32_e64 v41, 0, 1, vcc_lo
.LBB66_48:
	s_waitcnt lgkmcnt(0)
	v_dual_mov_b32 v12, s7 :: v_dual_mov_b32 v11, s6
	v_mov_b32_e32 v19, s8
	s_and_saveexec_b32 s2, s3
; %bb.49:
	v_cndmask_b32_e64 v19, 0, 1, s4
	v_dual_mov_b32 v10, v4 :: v_dual_mov_b32 v9, v3
	v_dual_mov_b32 v18, v8 :: v_dual_mov_b32 v17, v7
	v_dual_mov_b32 v22, v16 :: v_dual_mov_b32 v21, v15
	v_dual_mov_b32 v40, v26 :: v_dual_mov_b32 v39, v25
	v_dual_mov_b32 v11, v27 :: v_dual_mov_b32 v12, v28
	v_mov_b32_e32 v50, v32
; %bb.50:
	s_or_b32 exec_lo, exec_lo, s2
	v_and_b32_e32 v52, 1, v31
	v_and_b32_e32 v53, 1, v30
	v_and_b32_e32 v54, 1, v19
	v_lshrrev_b32_e32 v57, 16, v50
	v_and_b32_e32 v61, 0xff, v31
	v_cmp_eq_u32_e32 vcc_lo, 1, v52
	v_and_b32_e32 v60, 0xff, v30
	v_cmp_eq_u32_e64 s10, 1, v53
	v_and_b32_e32 v59, 0xff, v50
	v_lshrrev_b32_e32 v58, 8, v50
	v_lshrrev_b32_e32 v56, 24, v50
	v_and_b32_e32 v55, 0xff, v19
	v_cmp_eq_u32_e64 s8, 1, v54
	v_mbcnt_lo_u32_b32 v51, -1, 0
	s_cmp_lg_u32 s15, 0
	s_barrier
	buffer_gl0_inv
	s_cbranch_scc0 .LBB66_115
; %bb.51:
	v_cmp_eq_u16_e64 s5, 0, v61
	v_cmp_eq_u16_e64 s3, 0, v60
	v_and_b32_e32 v7, 0xff, v58
	v_and_b32_e32 v15, 0xff, v57
	;; [unrolled: 1-line block ×3, first 2 shown]
	v_cndmask_b32_e64 v4, 0, v1, s5
	v_cndmask_b32_e64 v3, 0, v2, s5
	v_and_b32_e32 v16, 0x10000, v50
	v_and_b32_e32 v8, 1, v50
	v_cmp_ne_u32_e64 s12, 0, v19
	v_add_co_u32 v4, s2, v4, v9
	s_delay_alu instid0(VALU_DEP_1) | instskip(SKIP_1) | instid1(VALU_DEP_3)
	v_add_co_ci_u32_e64 v3, s2, v3, v10, s2
	v_cmp_ne_u32_e64 s11, 0, v16
	v_cndmask_b32_e64 v4, 0, v4, s3
	s_or_b32 s12, s8, s12
	s_delay_alu instid0(VALU_DEP_3) | instskip(SKIP_3) | instid1(VALU_DEP_1)
	v_cndmask_b32_e64 v3, 0, v3, s3
	v_cmp_eq_u32_e64 s8, 1, v8
	s_or_b32 s11, s12, s11
	v_add_co_u32 v4, s2, v4, v5
	v_add_co_ci_u32_e64 v3, s2, v3, v6, s2
	v_cmp_eq_u16_e64 s2, 0, v59
	s_delay_alu instid0(VALU_DEP_1) | instskip(NEXT) | instid1(VALU_DEP_3)
	v_cndmask_b32_e64 v4, 0, v4, s2
	v_cndmask_b32_e64 v3, 0, v3, s2
	s_delay_alu instid0(VALU_DEP_2) | instskip(NEXT) | instid1(VALU_DEP_1)
	v_add_co_u32 v4, s4, v4, v17
	v_add_co_ci_u32_e64 v3, s4, v3, v18, s4
	v_cmp_eq_u16_e64 s4, 0, v7
	v_and_b32_e32 v7, 1, v41
	s_delay_alu instid0(VALU_DEP_2) | instskip(NEXT) | instid1(VALU_DEP_4)
	v_cndmask_b32_e64 v4, 0, v4, s4
	v_cndmask_b32_e64 v3, 0, v3, s4
	s_delay_alu instid0(VALU_DEP_2) | instskip(NEXT) | instid1(VALU_DEP_1)
	v_add_co_u32 v4, s6, v4, v13
	v_add_co_ci_u32_e64 v3, s6, v3, v14, s6
	v_cmp_eq_u16_e64 s6, 0, v15
	v_and_b32_e32 v15, 0x100, v50
	s_delay_alu instid0(VALU_DEP_2) | instskip(NEXT) | instid1(VALU_DEP_4)
	v_cndmask_b32_e64 v4, 0, v4, s6
	v_cndmask_b32_e64 v3, 0, v3, s6
	s_delay_alu instid0(VALU_DEP_3) | instskip(NEXT) | instid1(VALU_DEP_3)
	v_cmp_ne_u32_e64 s9, 0, v15
	v_add_co_u32 v4, s7, v4, v21
	s_delay_alu instid0(VALU_DEP_1) | instskip(SKIP_1) | instid1(VALU_DEP_4)
	v_add_co_ci_u32_e64 v3, s7, v3, v22, s7
	v_cmp_eq_u16_e64 s7, 0, v56
	s_or_b32 s11, s11, s9
	v_cmp_eq_u32_e64 s9, 1, v7
	s_or_b32 s11, s11, s8
	s_delay_alu instid0(VALU_DEP_2)
	v_cndmask_b32_e64 v4, 0, v4, s7
	v_cndmask_b32_e64 v3, 0, v3, s7
	s_or_b32 s10, s11, s10
	s_mov_b32 s11, exec_lo
	s_or_b32 s10, s10, vcc_lo
	v_add_co_u32 v4, s8, v4, v39
	s_delay_alu instid0(VALU_DEP_1) | instskip(SKIP_2) | instid1(SALU_CYCLE_1)
	v_add_co_ci_u32_e64 v3, s8, v3, v40, s8
	v_cmp_eq_u16_e64 s8, 0, v55
	s_or_b32 s10, s10, s9
	v_cndmask_b32_e64 v15, 0, 1, s10
	s_delay_alu instid0(VALU_DEP_2) | instskip(SKIP_2) | instid1(VALU_DEP_3)
	v_cndmask_b32_e64 v7, 0, v4, s8
	v_cndmask_b32_e64 v3, 0, v3, s8
	;; [unrolled: 1-line block ×3, first 2 shown]
	v_add_co_u32 v7, vcc_lo, v7, v11
	s_delay_alu instid0(VALU_DEP_3) | instskip(SKIP_1) | instid1(VALU_DEP_4)
	v_add_co_ci_u32_e32 v8, vcc_lo, v3, v12, vcc_lo
	v_and_b32_e32 v3, 15, v51
	v_mov_b32_dpp v20, v4 row_shr:1 row_mask:0xf bank_mask:0xf
	s_delay_alu instid0(VALU_DEP_4) | instskip(NEXT) | instid1(VALU_DEP_4)
	v_mov_b32_dpp v16, v7 row_shr:1 row_mask:0xf bank_mask:0xf
	v_mov_b32_dpp v19, v8 row_shr:1 row_mask:0xf bank_mask:0xf
	s_delay_alu instid0(VALU_DEP_4)
	v_cmpx_ne_u32_e32 0, v3
; %bb.52:
	s_delay_alu instid0(VALU_DEP_4) | instskip(NEXT) | instid1(VALU_DEP_4)
	v_and_b32_e32 v4, 1, v20
	v_cndmask_b32_e64 v16, v16, 0, s10
	s_delay_alu instid0(VALU_DEP_4) | instskip(NEXT) | instid1(VALU_DEP_3)
	v_cndmask_b32_e64 v19, v19, 0, s10
	v_or_b32_e32 v15, v4, v15
	s_delay_alu instid0(VALU_DEP_3) | instskip(NEXT) | instid1(VALU_DEP_3)
	v_add_co_u32 v7, vcc_lo, v16, v7
	v_add_co_ci_u32_e32 v8, vcc_lo, v19, v8, vcc_lo
	s_delay_alu instid0(VALU_DEP_3)
	v_and_b32_e32 v4, 0xffff, v15
; %bb.53:
	s_or_b32 exec_lo, exec_lo, s11
	s_delay_alu instid0(VALU_DEP_3) | instskip(NEXT) | instid1(VALU_DEP_3)
	v_mov_b32_dpp v16, v7 row_shr:2 row_mask:0xf bank_mask:0xf
	v_mov_b32_dpp v19, v8 row_shr:2 row_mask:0xf bank_mask:0xf
	s_delay_alu instid0(VALU_DEP_3)
	v_mov_b32_dpp v20, v4 row_shr:2 row_mask:0xf bank_mask:0xf
	s_mov_b32 s12, exec_lo
	v_cmpx_lt_u32_e32 1, v3
	s_cbranch_execz .LBB66_55
; %bb.54:
	s_delay_alu instid0(VALU_DEP_2) | instskip(SKIP_2) | instid1(VALU_DEP_3)
	v_and_b32_e32 v20, 1, v20
	v_cmp_eq_u16_e32 vcc_lo, 0, v15
	v_and_b32_e32 v4, 1, v15
	v_cmp_eq_u32_e64 s11, 1, v20
	v_cndmask_b32_e32 v15, 0, v16, vcc_lo
	s_delay_alu instid0(VALU_DEP_3) | instskip(SKIP_1) | instid1(VALU_DEP_3)
	v_cmp_eq_u32_e64 s10, 1, v4
	v_cndmask_b32_e32 v4, 0, v19, vcc_lo
	v_add_co_u32 v7, vcc_lo, v15, v7
	s_delay_alu instid0(VALU_DEP_3) | instskip(NEXT) | instid1(VALU_DEP_2)
	s_or_b32 s10, s10, s11
	v_add_co_ci_u32_e32 v8, vcc_lo, v4, v8, vcc_lo
	v_cndmask_b32_e64 v16, 0, 1, s10
	v_cndmask_b32_e64 v4, 0, 1, s10
	s_delay_alu instid0(VALU_DEP_2)
	v_mov_b32_e32 v15, v16
.LBB66_55:
	s_or_b32 exec_lo, exec_lo, s12
	v_mov_b32_dpp v16, v7 row_shr:4 row_mask:0xf bank_mask:0xf
	v_mov_b32_dpp v19, v8 row_shr:4 row_mask:0xf bank_mask:0xf
	;; [unrolled: 1-line block ×3, first 2 shown]
	s_mov_b32 s12, exec_lo
	v_cmpx_lt_u32_e32 3, v3
	s_cbranch_execz .LBB66_57
; %bb.56:
	s_delay_alu instid0(VALU_DEP_2) | instskip(SKIP_2) | instid1(VALU_DEP_3)
	v_and_b32_e32 v20, 1, v20
	v_cmp_eq_u16_e32 vcc_lo, 0, v15
	v_and_b32_e32 v4, 1, v15
	v_cmp_eq_u32_e64 s11, 1, v20
	v_cndmask_b32_e32 v15, 0, v16, vcc_lo
	s_delay_alu instid0(VALU_DEP_3) | instskip(SKIP_1) | instid1(VALU_DEP_3)
	v_cmp_eq_u32_e64 s10, 1, v4
	v_cndmask_b32_e32 v4, 0, v19, vcc_lo
	v_add_co_u32 v7, vcc_lo, v15, v7
	s_delay_alu instid0(VALU_DEP_3) | instskip(NEXT) | instid1(VALU_DEP_2)
	s_or_b32 s10, s10, s11
	v_add_co_ci_u32_e32 v8, vcc_lo, v4, v8, vcc_lo
	v_cndmask_b32_e64 v16, 0, 1, s10
	v_cndmask_b32_e64 v4, 0, 1, s10
	s_delay_alu instid0(VALU_DEP_2)
	v_mov_b32_e32 v15, v16
.LBB66_57:
	s_or_b32 exec_lo, exec_lo, s12
	v_mov_b32_dpp v16, v7 row_shr:8 row_mask:0xf bank_mask:0xf
	v_mov_b32_dpp v19, v8 row_shr:8 row_mask:0xf bank_mask:0xf
	;; [unrolled: 1-line block ×3, first 2 shown]
	s_mov_b32 s12, exec_lo
	v_cmpx_lt_u32_e32 7, v3
	s_cbranch_execz .LBB66_59
; %bb.58:
	v_cmp_eq_u16_e32 vcc_lo, 0, v15
	v_and_b32_e32 v3, 1, v15
	v_and_b32_e32 v4, 1, v20
	s_delay_alu instid0(VALU_DEP_1) | instskip(SKIP_1) | instid1(VALU_DEP_4)
	v_cmp_eq_u32_e64 s11, 1, v4
	v_cndmask_b32_e32 v4, 0, v16, vcc_lo
	v_cmp_eq_u32_e64 s10, 1, v3
	v_cndmask_b32_e32 v3, 0, v19, vcc_lo
	s_delay_alu instid0(VALU_DEP_3) | instskip(NEXT) | instid1(VALU_DEP_3)
	v_add_co_u32 v7, vcc_lo, v4, v7
	s_or_b32 s10, s10, s11
	s_delay_alu instid0(VALU_DEP_2)
	v_add_co_ci_u32_e32 v8, vcc_lo, v3, v8, vcc_lo
	v_cndmask_b32_e64 v15, 0, 1, s10
	v_cndmask_b32_e64 v4, 0, 1, s10
.LBB66_59:
	s_or_b32 exec_lo, exec_lo, s12
	ds_swizzle_b32 v3, v7 offset:swizzle(BROADCAST,32,15)
	ds_swizzle_b32 v16, v8 offset:swizzle(BROADCAST,32,15)
	;; [unrolled: 1-line block ×3, first 2 shown]
	v_and_b32_e32 v19, 16, v51
	s_mov_b32 s12, exec_lo
	s_delay_alu instid0(VALU_DEP_1)
	v_cmpx_ne_u32_e32 0, v19
	s_cbranch_execz .LBB66_61
; %bb.60:
	v_cmp_eq_u16_e32 vcc_lo, 0, v15
	v_and_b32_e32 v19, 1, v15
	s_waitcnt lgkmcnt(0)
	v_dual_cndmask_b32 v3, 0, v3 :: v_dual_and_b32 v4, 1, v4
	s_delay_alu instid0(VALU_DEP_1) | instskip(SKIP_2) | instid1(VALU_DEP_4)
	v_cmp_eq_u32_e64 s11, 1, v4
	v_cndmask_b32_e32 v4, 0, v16, vcc_lo
	v_cmp_eq_u32_e64 s10, 1, v19
	v_add_co_u32 v7, vcc_lo, v3, v7
	s_delay_alu instid0(VALU_DEP_3) | instskip(NEXT) | instid1(VALU_DEP_3)
	v_add_co_ci_u32_e32 v8, vcc_lo, v4, v8, vcc_lo
	s_or_b32 s10, s10, s11
	s_delay_alu instid0(SALU_CYCLE_1)
	v_cndmask_b32_e64 v15, 0, 1, s10
.LBB66_61:
	s_or_b32 exec_lo, exec_lo, s12
	s_waitcnt lgkmcnt(2)
	v_or_b32_e32 v3, 31, v0
	s_mov_b32 s10, exec_lo
	s_delay_alu instid0(VALU_DEP_1)
	v_cmpx_eq_u32_e64 v3, v0
	s_cbranch_execz .LBB66_63
; %bb.62:
	v_lshlrev_b32_e32 v3, 4, v47
	ds_store_b64 v3, v[7:8]
	ds_store_b8 v3, v15 offset:8
.LBB66_63:
	s_or_b32 exec_lo, exec_lo, s10
	s_delay_alu instid0(SALU_CYCLE_1)
	s_mov_b32 s12, exec_lo
	s_waitcnt lgkmcnt(0)
	s_barrier
	buffer_gl0_inv
	v_cmpx_gt_u32_e32 8, v0
	s_cbranch_execz .LBB66_71
; %bb.64:
	v_lshlrev_b32_e32 v16, 4, v0
	s_mov_b32 s10, exec_lo
	ds_load_b64 v[3:4], v16
	ds_load_b32 v24, v16 offset:8
	v_and_b32_e32 v19, 7, v51
	s_waitcnt lgkmcnt(1)
	v_mov_b32_dpp v26, v3 row_shr:1 row_mask:0xf bank_mask:0xf
	s_waitcnt lgkmcnt(0)
	v_mov_b32_e32 v20, v24
	v_mov_b32_dpp v27, v4 row_shr:1 row_mask:0xf bank_mask:0xf
	v_and_b32_e32 v23, 0xffffff00, v24
	v_mov_b32_dpp v28, v24 row_shr:1 row_mask:0xf bank_mask:0xf
	v_mov_b32_e32 v25, v24
	v_cmpx_ne_u32_e32 0, v19
; %bb.65:
	v_and_b32_e32 v20, 0xff, v24
	s_delay_alu instid0(VALU_DEP_4) | instskip(NEXT) | instid1(VALU_DEP_2)
	v_or_b32_e32 v24, v28, v24
	v_cmp_eq_u16_e32 vcc_lo, 0, v20
	s_delay_alu instid0(VALU_DEP_2) | instskip(SKIP_2) | instid1(VALU_DEP_2)
	v_and_b32_e32 v20, 1, v24
	v_and_b32_e32 v25, 1, v24
	v_dual_cndmask_b32 v27, 0, v27 :: v_dual_cndmask_b32 v26, 0, v26
	v_or_b32_e32 v24, v25, v23
	s_delay_alu instid0(VALU_DEP_2) | instskip(NEXT) | instid1(VALU_DEP_3)
	v_add_co_u32 v3, vcc_lo, v26, v3
	v_add_co_ci_u32_e32 v4, vcc_lo, v27, v4, vcc_lo
; %bb.66:
	s_or_b32 exec_lo, exec_lo, s10
	s_delay_alu instid0(VALU_DEP_2) | instskip(NEXT) | instid1(VALU_DEP_2)
	v_mov_b32_dpp v26, v3 row_shr:2 row_mask:0xf bank_mask:0xf
	v_mov_b32_dpp v27, v4 row_shr:2 row_mask:0xf bank_mask:0xf
	;; [unrolled: 1-line block ×3, first 2 shown]
	s_mov_b32 s13, exec_lo
	v_cmpx_lt_u32_e32 1, v19
	s_cbranch_execz .LBB66_68
; %bb.67:
	v_and_b32_e32 v20, 1, v25
	v_and_b32_e32 v24, 0xff, v25
	;; [unrolled: 1-line block ×3, first 2 shown]
	s_delay_alu instid0(VALU_DEP_3) | instskip(NEXT) | instid1(VALU_DEP_3)
	v_cmp_eq_u32_e32 vcc_lo, 1, v20
	v_cmp_eq_u16_e64 s10, 0, v24
	s_delay_alu instid0(VALU_DEP_3) | instskip(NEXT) | instid1(VALU_DEP_2)
	v_cmp_eq_u32_e64 s11, 1, v25
	v_cndmask_b32_e64 v24, 0, v27, s10
	v_cndmask_b32_e64 v25, 0, v26, s10
	s_delay_alu instid0(VALU_DEP_3) | instskip(NEXT) | instid1(SALU_CYCLE_1)
	s_or_b32 s10, vcc_lo, s11
	v_cndmask_b32_e64 v20, 0, 1, s10
	v_cndmask_b32_e64 v26, 0, 1, s10
	s_delay_alu instid0(VALU_DEP_3) | instskip(SKIP_1) | instid1(VALU_DEP_4)
	v_add_co_u32 v3, vcc_lo, v25, v3
	v_add_co_ci_u32_e32 v4, vcc_lo, v24, v4, vcc_lo
	v_mov_b32_e32 v25, v20
	s_delay_alu instid0(VALU_DEP_4)
	v_or_b32_e32 v24, v23, v26
.LBB66_68:
	s_or_b32 exec_lo, exec_lo, s13
	v_mov_b32_dpp v23, v3 row_shr:4 row_mask:0xf bank_mask:0xf
	v_mov_b32_dpp v26, v4 row_shr:4 row_mask:0xf bank_mask:0xf
	s_delay_alu instid0(VALU_DEP_3)
	v_mov_b32_dpp v24, v24 row_shr:4 row_mask:0xf bank_mask:0xf
	s_mov_b32 s13, exec_lo
	v_cmpx_lt_u32_e32 3, v19
; %bb.69:
	v_and_b32_e32 v19, 0xff, v25
	s_delay_alu instid0(VALU_DEP_1) | instskip(SKIP_3) | instid1(VALU_DEP_3)
	v_cmp_eq_u16_e32 vcc_lo, 0, v19
	v_and_b32_e32 v20, 1, v25
	v_dual_cndmask_b32 v23, 0, v23 :: v_dual_and_b32 v24, 1, v24
	v_cndmask_b32_e32 v19, 0, v26, vcc_lo
	v_cmp_eq_u32_e64 s10, 1, v20
	s_delay_alu instid0(VALU_DEP_3) | instskip(NEXT) | instid1(VALU_DEP_4)
	v_cmp_eq_u32_e64 s11, 1, v24
	v_add_co_u32 v3, vcc_lo, v23, v3
	s_delay_alu instid0(VALU_DEP_4) | instskip(NEXT) | instid1(VALU_DEP_3)
	v_add_co_ci_u32_e32 v4, vcc_lo, v19, v4, vcc_lo
	s_or_b32 s10, s10, s11
	s_delay_alu instid0(SALU_CYCLE_1)
	v_cndmask_b32_e64 v20, 0, 1, s10
; %bb.70:
	s_or_b32 exec_lo, exec_lo, s13
	ds_store_b64 v16, v[3:4]
	ds_store_b8 v16, v20 offset:8
.LBB66_71:
	s_or_b32 exec_lo, exec_lo, s12
	v_mov_b32_e32 v3, 0
	v_cmp_gt_u32_e32 vcc_lo, 32, v0
	v_dual_mov_b32 v4, 0 :: v_dual_mov_b32 v25, 0
	s_mov_b32 s11, exec_lo
	s_waitcnt lgkmcnt(0)
	s_barrier
	buffer_gl0_inv
	v_cmpx_lt_u32_e32 31, v0
	s_cbranch_execz .LBB66_73
; %bb.72:
	v_lshl_add_u32 v16, v47, 4, -16
	v_cmp_eq_u16_e64 s10, 0, v15
	ds_load_b64 v[3:4], v16
	ds_load_u8 v25, v16 offset:8
	s_waitcnt lgkmcnt(1)
	v_cndmask_b32_e64 v19, 0, v3, s10
	v_cndmask_b32_e64 v16, 0, v4, s10
	s_waitcnt lgkmcnt(0)
	v_or_b32_e32 v15, v15, v25
	s_delay_alu instid0(VALU_DEP_3) | instskip(NEXT) | instid1(VALU_DEP_1)
	v_add_co_u32 v7, s10, v7, v19
	v_add_co_ci_u32_e64 v8, s10, v8, v16, s10
	s_delay_alu instid0(VALU_DEP_3)
	v_and_b32_e32 v15, 1, v15
.LBB66_73:
	s_or_b32 exec_lo, exec_lo, s11
	v_add_nc_u32_e32 v16, -1, v51
	s_delay_alu instid0(VALU_DEP_2) | instskip(NEXT) | instid1(VALU_DEP_2)
	v_and_b32_e32 v15, 0xffff, v15
	v_cmp_gt_i32_e64 s10, 0, v16
	s_delay_alu instid0(VALU_DEP_1) | instskip(SKIP_1) | instid1(VALU_DEP_2)
	v_cndmask_b32_e64 v16, v16, v51, s10
	v_cmp_eq_u32_e64 s10, 0, v51
	v_lshlrev_b32_e32 v16, 2, v16
	ds_bpermute_b32 v26, v16, v7
	ds_bpermute_b32 v27, v16, v8
	;; [unrolled: 1-line block ×3, first 2 shown]
	s_and_saveexec_b32 s13, vcc_lo
	s_cbranch_execz .LBB66_112
; %bb.74:
	v_mov_b32_e32 v20, 0
	ds_load_b64 v[7:8], v20 offset:112
	ds_load_u8 v29, v20 offset:120
	s_and_saveexec_b32 s11, s10
	s_cbranch_execz .LBB66_76
; %bb.75:
	s_add_i32 s24, s15, 32
	s_mov_b32 s25, 0
	v_dual_mov_b32 v15, s24 :: v_dual_mov_b32 v16, 1
	s_lshl_b64 s[34:35], s[24:25], 4
	s_delay_alu instid0(SALU_CYCLE_1)
	s_add_u32 s24, s16, s34
	s_addc_u32 s25, s17, s35
	s_waitcnt lgkmcnt(1)
	global_store_b64 v20, v[7:8], s[24:25]
	s_waitcnt lgkmcnt(0)
	global_store_b8 v20, v29, s[24:25] offset:8
	s_waitcnt_vscnt null, 0x0
	buffer_gl1_inv
	buffer_gl0_inv
	global_store_b8 v15, v16, s[20:21]
.LBB66_76:
	s_or_b32 exec_lo, exec_lo, s11
	v_xad_u32 v15, v51, -1, s15
	s_mov_b32 s12, 0
	s_mov_b32 s11, exec_lo
	s_delay_alu instid0(VALU_DEP_1)
	v_add_nc_u32_e32 v19, 32, v15
	global_load_u8 v30, v19, s[20:21] glc
	s_waitcnt vmcnt(0)
	v_cmpx_eq_u16_e32 0, v30
	s_cbranch_execz .LBB66_80
; %bb.77:
	v_add_co_u32 v23, s23, s20, v19
	s_delay_alu instid0(VALU_DEP_1)
	v_add_co_ci_u32_e64 v24, null, s21, 0, s23
.LBB66_78:                              ; =>This Inner Loop Header: Depth=1
	global_load_u8 v30, v[23:24], off glc
	s_waitcnt vmcnt(0)
	v_cmp_ne_u16_e32 vcc_lo, 0, v30
	s_or_b32 s12, vcc_lo, s12
	s_delay_alu instid0(SALU_CYCLE_1)
	s_and_not1_b32 exec_lo, exec_lo, s12
	s_cbranch_execnz .LBB66_78
; %bb.79:
	s_or_b32 exec_lo, exec_lo, s12
.LBB66_80:
	s_delay_alu instid0(SALU_CYCLE_1)
	s_or_b32 exec_lo, exec_lo, s11
	v_dual_mov_b32 v16, s17 :: v_dual_mov_b32 v23, s16
	v_cmp_eq_u16_e32 vcc_lo, 1, v30
	v_lshlrev_b64 v[19:20], 4, v[19:20]
	s_waitcnt lgkmcnt(0)
	s_waitcnt_vscnt null, 0x0
	buffer_gl1_inv
	buffer_gl0_inv
	v_lshlrev_b32_e64 v32, v51, -1
	v_add_nc_u32_e32 v33, 1, v51
	v_cndmask_b32_e32 v23, s18, v23, vcc_lo
	v_cndmask_b32_e32 v16, s19, v16, vcc_lo
	s_mov_b32 s11, exec_lo
	s_delay_alu instid0(VALU_DEP_2) | instskip(NEXT) | instid1(VALU_DEP_2)
	v_add_co_u32 v19, vcc_lo, v23, v19
	v_add_co_ci_u32_e32 v20, vcc_lo, v16, v20, vcc_lo
	v_cmp_ne_u32_e32 vcc_lo, 31, v51
	s_clause 0x1
	global_load_u8 v66, v[19:20], off offset:8
	global_load_b64 v[23:24], v[19:20], off
	v_add_co_ci_u32_e32 v16, vcc_lo, 0, v51, vcc_lo
	v_cmp_eq_u16_e32 vcc_lo, 2, v30
	s_delay_alu instid0(VALU_DEP_2) | instskip(SKIP_1) | instid1(VALU_DEP_1)
	v_lshlrev_b32_e32 v31, 2, v16
	v_and_or_b32 v16, vcc_lo, v32, 0x80000000
	v_ctz_i32_b32_e32 v16, v16
	s_waitcnt vmcnt(1)
	v_and_b32_e32 v19, 1, v66
	s_waitcnt vmcnt(0)
	ds_bpermute_b32 v20, v31, v23
	ds_bpermute_b32 v34, v31, v24
	;; [unrolled: 1-line block ×3, first 2 shown]
	v_cmpx_le_u32_e64 v33, v16
	s_cbranch_execz .LBB66_82
; %bb.81:
	v_and_b32_e32 v19, 0xff, v66
	s_delay_alu instid0(VALU_DEP_1) | instskip(SKIP_3) | instid1(VALU_DEP_2)
	v_cmp_eq_u16_e32 vcc_lo, 0, v19
	s_waitcnt lgkmcnt(0)
	v_dual_cndmask_b32 v34, 0, v34 :: v_dual_and_b32 v19, 1, v35
	v_cndmask_b32_e32 v20, 0, v20, vcc_lo
	v_or_b32_e32 v66, v19, v66
	s_delay_alu instid0(VALU_DEP_2) | instskip(NEXT) | instid1(VALU_DEP_4)
	v_add_co_u32 v23, vcc_lo, v20, v23
	v_add_co_ci_u32_e32 v24, vcc_lo, v34, v24, vcc_lo
	s_delay_alu instid0(VALU_DEP_3)
	v_and_b32_e32 v19, 0xff, v66
.LBB66_82:
	s_or_b32 exec_lo, exec_lo, s11
	v_cmp_gt_u32_e32 vcc_lo, 30, v51
	s_waitcnt lgkmcnt(0)
	v_add_nc_u32_e32 v35, 2, v51
	s_mov_b32 s23, exec_lo
	v_cndmask_b32_e64 v20, 0, 1, vcc_lo
	s_delay_alu instid0(VALU_DEP_1) | instskip(NEXT) | instid1(VALU_DEP_1)
	v_lshlrev_b32_e32 v20, 1, v20
	v_add_lshl_u32 v34, v20, v51, 2
	ds_bpermute_b32 v20, v34, v23
	ds_bpermute_b32 v36, v34, v24
	;; [unrolled: 1-line block ×3, first 2 shown]
	v_cmpx_le_u32_e64 v35, v16
	s_cbranch_execz .LBB66_84
; %bb.83:
	v_and_b32_e32 v19, 0xff, v66
	s_waitcnt lgkmcnt(0)
	v_and_b32_e32 v37, 1, v37
	s_delay_alu instid0(VALU_DEP_2) | instskip(SKIP_1) | instid1(VALU_DEP_3)
	v_cmp_eq_u16_e32 vcc_lo, 0, v19
	v_and_b32_e32 v38, 1, v66
	v_cmp_eq_u32_e64 s12, 1, v37
	v_cndmask_b32_e32 v19, 0, v36, vcc_lo
	s_delay_alu instid0(VALU_DEP_3) | instskip(SKIP_1) | instid1(VALU_DEP_2)
	v_cmp_eq_u32_e64 s11, 1, v38
	v_cndmask_b32_e32 v20, 0, v20, vcc_lo
	s_or_b32 s11, s11, s12
	s_delay_alu instid0(VALU_DEP_1)
	v_add_co_u32 v23, vcc_lo, v20, v23
	v_cndmask_b32_e64 v66, 0, 1, s11
	v_add_co_ci_u32_e32 v24, vcc_lo, v19, v24, vcc_lo
	v_cndmask_b32_e64 v19, 0, 1, s11
.LBB66_84:
	s_or_b32 exec_lo, exec_lo, s23
	v_cmp_gt_u32_e32 vcc_lo, 28, v51
	s_waitcnt lgkmcnt(0)
	v_add_nc_u32_e32 v37, 4, v51
	s_mov_b32 s23, exec_lo
	v_cndmask_b32_e64 v20, 0, 1, vcc_lo
	s_delay_alu instid0(VALU_DEP_1) | instskip(NEXT) | instid1(VALU_DEP_1)
	v_lshlrev_b32_e32 v20, 2, v20
	v_add_lshl_u32 v36, v20, v51, 2
	ds_bpermute_b32 v20, v36, v23
	ds_bpermute_b32 v38, v36, v24
	;; [unrolled: 1-line block ×3, first 2 shown]
	v_cmpx_le_u32_e64 v37, v16
	s_cbranch_execz .LBB66_86
; %bb.85:
	v_and_b32_e32 v19, 0xff, v66
	v_and_b32_e32 v63, 1, v66
	s_waitcnt lgkmcnt(0)
	v_and_b32_e32 v62, 1, v62
	s_delay_alu instid0(VALU_DEP_3) | instskip(NEXT) | instid1(VALU_DEP_3)
	v_cmp_eq_u16_e32 vcc_lo, 0, v19
	v_cmp_eq_u32_e64 s11, 1, v63
	s_delay_alu instid0(VALU_DEP_3) | instskip(SKIP_1) | instid1(VALU_DEP_2)
	v_cmp_eq_u32_e64 s12, 1, v62
	v_dual_cndmask_b32 v20, 0, v20 :: v_dual_cndmask_b32 v19, 0, v38
	s_or_b32 s11, s11, s12
	s_delay_alu instid0(SALU_CYCLE_1) | instskip(NEXT) | instid1(VALU_DEP_2)
	v_cndmask_b32_e64 v66, 0, 1, s11
	v_add_co_u32 v23, vcc_lo, v20, v23
	s_delay_alu instid0(VALU_DEP_3)
	v_add_co_ci_u32_e32 v24, vcc_lo, v19, v24, vcc_lo
	v_cndmask_b32_e64 v19, 0, 1, s11
.LBB66_86:
	s_or_b32 exec_lo, exec_lo, s23
	v_cmp_gt_u32_e32 vcc_lo, 24, v51
	s_waitcnt lgkmcnt(0)
	v_add_nc_u32_e32 v62, 8, v51
	s_mov_b32 s23, exec_lo
	v_cndmask_b32_e64 v20, 0, 1, vcc_lo
	s_delay_alu instid0(VALU_DEP_1) | instskip(NEXT) | instid1(VALU_DEP_1)
	v_lshlrev_b32_e32 v20, 3, v20
	v_add_lshl_u32 v38, v20, v51, 2
	ds_bpermute_b32 v20, v38, v23
	ds_bpermute_b32 v63, v38, v24
	;; [unrolled: 1-line block ×3, first 2 shown]
	v_cmpx_le_u32_e64 v62, v16
	s_cbranch_execz .LBB66_88
; %bb.87:
	v_and_b32_e32 v19, 0xff, v66
	v_and_b32_e32 v65, 1, v66
	s_delay_alu instid0(VALU_DEP_2) | instskip(SKIP_2) | instid1(VALU_DEP_3)
	v_cmp_eq_u16_e32 vcc_lo, 0, v19
	s_waitcnt lgkmcnt(0)
	v_and_b32_e32 v64, 1, v64
	v_cmp_eq_u32_e64 s11, 1, v65
	v_cndmask_b32_e32 v19, 0, v63, vcc_lo
	s_delay_alu instid0(VALU_DEP_3) | instskip(SKIP_1) | instid1(VALU_DEP_2)
	v_cmp_eq_u32_e64 s12, 1, v64
	v_cndmask_b32_e32 v20, 0, v20, vcc_lo
	s_or_b32 s11, s11, s12
	s_delay_alu instid0(VALU_DEP_1)
	v_add_co_u32 v23, vcc_lo, v20, v23
	v_cndmask_b32_e64 v66, 0, 1, s11
	v_add_co_ci_u32_e32 v24, vcc_lo, v19, v24, vcc_lo
	v_cndmask_b32_e64 v19, 0, 1, s11
.LBB66_88:
	s_or_b32 exec_lo, exec_lo, s23
	v_cmp_gt_u32_e32 vcc_lo, 16, v51
	v_add_nc_u32_e32 v65, 16, v51
	s_mov_b32 s23, exec_lo
	s_waitcnt lgkmcnt(2)
	v_cndmask_b32_e64 v20, 0, 1, vcc_lo
	s_delay_alu instid0(VALU_DEP_1) | instskip(SKIP_1) | instid1(VALU_DEP_1)
	v_lshlrev_b32_e32 v20, 4, v20
	s_waitcnt lgkmcnt(0)
	v_add_lshl_u32 v64, v20, v51, 2
	ds_bpermute_b32 v20, v64, v23
	ds_bpermute_b32 v63, v64, v24
	;; [unrolled: 1-line block ×3, first 2 shown]
	v_cmpx_le_u32_e64 v65, v16
	s_cbranch_execz .LBB66_90
; %bb.89:
	v_and_b32_e32 v16, 0xff, v66
	s_delay_alu instid0(VALU_DEP_1) | instskip(SKIP_4) | instid1(VALU_DEP_3)
	v_cmp_eq_u16_e32 vcc_lo, 0, v16
	v_and_b32_e32 v16, 1, v66
	s_waitcnt lgkmcnt(0)
	v_dual_cndmask_b32 v20, 0, v20 :: v_dual_and_b32 v19, 1, v19
	v_cndmask_b32_e32 v63, 0, v63, vcc_lo
	v_cmp_eq_u32_e32 vcc_lo, 1, v16
	s_delay_alu instid0(VALU_DEP_3) | instskip(NEXT) | instid1(VALU_DEP_4)
	v_cmp_eq_u32_e64 s11, 1, v19
	v_add_co_u32 v23, s12, v20, v23
	s_delay_alu instid0(VALU_DEP_1) | instskip(NEXT) | instid1(VALU_DEP_3)
	v_add_co_ci_u32_e64 v24, s12, v63, v24, s12
	s_or_b32 s11, vcc_lo, s11
	s_delay_alu instid0(SALU_CYCLE_1)
	v_cndmask_b32_e64 v66, 0, 1, s11
.LBB66_90:
	s_or_b32 exec_lo, exec_lo, s23
	v_mov_b32_e32 v16, 0
	s_branch .LBB66_92
.LBB66_91:                              ;   in Loop: Header=BB66_92 Depth=1
	s_or_b32 exec_lo, exec_lo, s24
	v_and_b32_e32 v66, 0xff, v63
	v_subrev_nc_u32_e32 v15, 32, v15
	s_delay_alu instid0(VALU_DEP_2) | instskip(SKIP_2) | instid1(VALU_DEP_2)
	v_cmp_eq_u16_e32 vcc_lo, 0, v66
	v_and_b32_e32 v66, 1, v63
	v_dual_cndmask_b32 v24, 0, v24 :: v_dual_cndmask_b32 v23, 0, v23
	v_cmp_eq_u32_e32 vcc_lo, 1, v66
	s_delay_alu instid0(VALU_DEP_2) | instskip(NEXT) | instid1(VALU_DEP_1)
	v_add_co_u32 v23, s11, v23, v19
	v_add_co_ci_u32_e64 v24, s11, v24, v20, s11
	s_or_b32 s11, vcc_lo, s23
	s_delay_alu instid0(SALU_CYCLE_1)
	v_cndmask_b32_e64 v66, 0, 1, s11
.LBB66_92:                              ; =>This Loop Header: Depth=1
                                        ;     Child Loop BB66_95 Depth 2
	s_waitcnt lgkmcnt(0)
	v_and_b32_e32 v19, 0xff, v30
	s_delay_alu instid0(VALU_DEP_2) | instskip(NEXT) | instid1(VALU_DEP_2)
	v_mov_b32_e32 v63, v66
	v_cmp_ne_u16_e32 vcc_lo, 2, v19
	v_cndmask_b32_e64 v19, 0, 1, vcc_lo
	;;#ASMSTART
	;;#ASMEND
	s_delay_alu instid0(VALU_DEP_1)
	v_cmp_ne_u32_e32 vcc_lo, 0, v19
	v_dual_mov_b32 v19, v23 :: v_dual_mov_b32 v20, v24
	s_cmp_lg_u32 vcc_lo, exec_lo
	s_cbranch_scc1 .LBB66_107
; %bb.93:                               ;   in Loop: Header=BB66_92 Depth=1
	global_load_u8 v30, v15, s[20:21] glc
	s_mov_b32 s11, exec_lo
	s_waitcnt vmcnt(0)
	v_cmpx_eq_u16_e32 0, v30
	s_cbranch_execz .LBB66_97
; %bb.94:                               ;   in Loop: Header=BB66_92 Depth=1
	v_add_co_u32 v23, s12, s20, v15
	s_delay_alu instid0(VALU_DEP_1)
	v_add_co_ci_u32_e64 v24, null, s21, 0, s12
	s_mov_b32 s12, 0
.LBB66_95:                              ;   Parent Loop BB66_92 Depth=1
                                        ; =>  This Inner Loop Header: Depth=2
	global_load_u8 v30, v[23:24], off glc
	s_waitcnt vmcnt(0)
	v_cmp_ne_u16_e32 vcc_lo, 0, v30
	s_or_b32 s12, vcc_lo, s12
	s_delay_alu instid0(SALU_CYCLE_1)
	s_and_not1_b32 exec_lo, exec_lo, s12
	s_cbranch_execnz .LBB66_95
; %bb.96:                               ;   in Loop: Header=BB66_92 Depth=1
	s_or_b32 exec_lo, exec_lo, s12
.LBB66_97:                              ;   in Loop: Header=BB66_92 Depth=1
	s_delay_alu instid0(SALU_CYCLE_1)
	s_or_b32 exec_lo, exec_lo, s11
	v_dual_mov_b32 v66, s17 :: v_dual_mov_b32 v67, s16
	v_cmp_eq_u16_e32 vcc_lo, 1, v30
	v_lshlrev_b64 v[23:24], 4, v[15:16]
	buffer_gl1_inv
	buffer_gl0_inv
	s_mov_b32 s12, exec_lo
	v_cndmask_b32_e32 v67, s18, v67, vcc_lo
	v_cndmask_b32_e32 v66, s19, v66, vcc_lo
	s_delay_alu instid0(VALU_DEP_2) | instskip(NEXT) | instid1(VALU_DEP_2)
	v_add_co_u32 v23, vcc_lo, v67, v23
	v_add_co_ci_u32_e32 v24, vcc_lo, v66, v24, vcc_lo
	v_cmp_eq_u16_e32 vcc_lo, 2, v30
	s_clause 0x1
	global_load_u8 v66, v[23:24], off offset:8
	global_load_b64 v[23:24], v[23:24], off
	v_and_or_b32 v67, vcc_lo, v32, 0x80000000
	s_delay_alu instid0(VALU_DEP_1)
	v_ctz_i32_b32_e32 v67, v67
	s_waitcnt vmcnt(1)
	v_and_b32_e32 v68, 1, v66
	s_waitcnt vmcnt(0)
	ds_bpermute_b32 v69, v31, v23
	ds_bpermute_b32 v70, v31, v24
	ds_bpermute_b32 v71, v31, v68
	v_cmp_eq_u32_e64 s23, 1, v68
	v_cmpx_le_u32_e64 v33, v67
	s_cbranch_execz .LBB66_99
; %bb.98:                               ;   in Loop: Header=BB66_92 Depth=1
	s_waitcnt lgkmcnt(0)
	v_and_b32_e32 v68, 1, v71
	v_and_b32_e32 v71, 0xff, v66
	s_delay_alu instid0(VALU_DEP_1) | instskip(SKIP_1) | instid1(VALU_DEP_4)
	v_cmp_eq_u16_e32 vcc_lo, 0, v71
	v_cndmask_b32_e32 v69, 0, v69, vcc_lo
	v_or_b32_e32 v66, v68, v66
	v_cndmask_b32_e32 v70, 0, v70, vcc_lo
	s_delay_alu instid0(VALU_DEP_3) | instskip(NEXT) | instid1(VALU_DEP_3)
	v_add_co_u32 v23, s11, v69, v23
	v_and_b32_e32 v68, 1, v66
	s_delay_alu instid0(VALU_DEP_3) | instskip(SKIP_1) | instid1(VALU_DEP_2)
	v_add_co_ci_u32_e64 v24, s11, v70, v24, s11
	s_and_not1_b32 s11, s23, exec_lo
	v_cmp_eq_u32_e32 vcc_lo, 1, v68
	v_and_b32_e32 v68, 0xff, v66
	s_and_b32 s23, vcc_lo, exec_lo
	s_delay_alu instid0(SALU_CYCLE_1)
	s_or_b32 s23, s11, s23
.LBB66_99:                              ;   in Loop: Header=BB66_92 Depth=1
	s_or_b32 exec_lo, exec_lo, s12
	s_waitcnt lgkmcnt(2)
	ds_bpermute_b32 v69, v34, v23
	s_waitcnt lgkmcnt(2)
	ds_bpermute_b32 v70, v34, v24
	s_waitcnt lgkmcnt(2)
	ds_bpermute_b32 v71, v34, v68
	s_mov_b32 s24, exec_lo
	v_cmpx_le_u32_e64 v35, v67
	s_cbranch_execz .LBB66_101
; %bb.100:                              ;   in Loop: Header=BB66_92 Depth=1
	v_and_b32_e32 v68, 1, v66
	v_and_b32_e32 v66, 0xff, v66
	s_waitcnt lgkmcnt(0)
	v_and_b32_e32 v71, 1, v71
	s_delay_alu instid0(VALU_DEP_3) | instskip(NEXT) | instid1(VALU_DEP_3)
	v_cmp_eq_u32_e32 vcc_lo, 1, v68
	v_cmp_eq_u16_e64 s11, 0, v66
	s_delay_alu instid0(VALU_DEP_3) | instskip(NEXT) | instid1(VALU_DEP_2)
	v_cmp_eq_u32_e64 s12, 1, v71
	v_cndmask_b32_e64 v69, 0, v69, s11
	v_cndmask_b32_e64 v70, 0, v70, s11
	s_delay_alu instid0(VALU_DEP_3)
	s_or_b32 s11, vcc_lo, s12
	s_and_not1_b32 s12, s23, exec_lo
	v_cndmask_b32_e64 v66, 0, 1, s11
	v_add_co_u32 v23, vcc_lo, v69, v23
	v_cndmask_b32_e64 v68, 0, 1, s11
	v_add_co_ci_u32_e32 v24, vcc_lo, v70, v24, vcc_lo
	s_and_b32 s11, s11, exec_lo
	s_delay_alu instid0(SALU_CYCLE_1)
	s_or_b32 s23, s12, s11
.LBB66_101:                             ;   in Loop: Header=BB66_92 Depth=1
	s_or_b32 exec_lo, exec_lo, s24
	s_waitcnt lgkmcnt(2)
	ds_bpermute_b32 v69, v36, v23
	s_waitcnt lgkmcnt(2)
	ds_bpermute_b32 v70, v36, v24
	s_waitcnt lgkmcnt(2)
	ds_bpermute_b32 v71, v36, v68
	s_mov_b32 s24, exec_lo
	v_cmpx_le_u32_e64 v37, v67
	s_cbranch_execz .LBB66_103
; %bb.102:                              ;   in Loop: Header=BB66_92 Depth=1
	v_and_b32_e32 v68, 1, v66
	v_and_b32_e32 v66, 0xff, v66
	s_waitcnt lgkmcnt(0)
	v_and_b32_e32 v71, 1, v71
	s_delay_alu instid0(VALU_DEP_3) | instskip(NEXT) | instid1(VALU_DEP_3)
	v_cmp_eq_u32_e32 vcc_lo, 1, v68
	v_cmp_eq_u16_e64 s11, 0, v66
	s_delay_alu instid0(VALU_DEP_3) | instskip(NEXT) | instid1(VALU_DEP_2)
	v_cmp_eq_u32_e64 s12, 1, v71
	v_cndmask_b32_e64 v69, 0, v69, s11
	v_cndmask_b32_e64 v70, 0, v70, s11
	s_delay_alu instid0(VALU_DEP_3)
	s_or_b32 s11, vcc_lo, s12
	s_and_not1_b32 s12, s23, exec_lo
	v_cndmask_b32_e64 v66, 0, 1, s11
	v_add_co_u32 v23, vcc_lo, v69, v23
	v_cndmask_b32_e64 v68, 0, 1, s11
	v_add_co_ci_u32_e32 v24, vcc_lo, v70, v24, vcc_lo
	s_and_b32 s11, s11, exec_lo
	s_delay_alu instid0(SALU_CYCLE_1)
	s_or_b32 s23, s12, s11
.LBB66_103:                             ;   in Loop: Header=BB66_92 Depth=1
	;; [unrolled: 33-line block ×3, first 2 shown]
	s_or_b32 exec_lo, exec_lo, s24
	s_waitcnt lgkmcnt(2)
	ds_bpermute_b32 v69, v64, v23
	s_waitcnt lgkmcnt(2)
	ds_bpermute_b32 v70, v64, v24
	ds_bpermute_b32 v68, v64, v68
	s_mov_b32 s24, exec_lo
	v_cmpx_le_u32_e64 v65, v67
	s_cbranch_execz .LBB66_91
; %bb.106:                              ;   in Loop: Header=BB66_92 Depth=1
	v_and_b32_e32 v67, 0xff, v66
	s_waitcnt lgkmcnt(0)
	v_and_b32_e32 v68, 1, v68
	s_delay_alu instid0(VALU_DEP_2) | instskip(SKIP_1) | instid1(VALU_DEP_3)
	v_cmp_eq_u16_e32 vcc_lo, 0, v67
	v_and_b32_e32 v66, 1, v66
	v_cmp_eq_u32_e64 s12, 1, v68
	v_cndmask_b32_e32 v67, 0, v69, vcc_lo
	s_delay_alu instid0(VALU_DEP_3) | instskip(SKIP_1) | instid1(VALU_DEP_3)
	v_cmp_eq_u32_e64 s11, 1, v66
	v_cndmask_b32_e32 v66, 0, v70, vcc_lo
	v_add_co_u32 v23, vcc_lo, v67, v23
	s_delay_alu instid0(VALU_DEP_3) | instskip(NEXT) | instid1(VALU_DEP_2)
	s_or_b32 s11, s11, s12
	v_add_co_ci_u32_e32 v24, vcc_lo, v66, v24, vcc_lo
	s_and_not1_b32 s12, s23, exec_lo
	s_and_b32 s11, s11, exec_lo
	s_delay_alu instid0(SALU_CYCLE_1)
	s_or_b32 s23, s12, s11
	s_branch .LBB66_91
.LBB66_107:                             ;   in Loop: Header=BB66_92 Depth=1
                                        ; implicit-def: $vgpr66
                                        ; implicit-def: $vgpr23_vgpr24
                                        ; implicit-def: $vgpr30
	s_cbranch_execz .LBB66_92
; %bb.108:
	s_and_saveexec_b32 s11, s10
	s_cbranch_execz .LBB66_110
; %bb.109:
	v_dual_mov_b32 v16, 0 :: v_dual_and_b32 v15, 0xff, v29
	s_mov_b32 s17, 0
	s_add_i32 s16, s15, 32
	s_delay_alu instid0(SALU_CYCLE_1) | instskip(NEXT) | instid1(VALU_DEP_1)
	s_lshl_b64 s[24:25], s[16:17], 4
	v_cmp_eq_u16_e32 vcc_lo, 0, v15
	v_or_b32_e32 v15, v29, v63
	v_dual_mov_b32 v29, 2 :: v_dual_mov_b32 v30, s16
	s_add_u32 s16, s18, s24
	v_dual_cndmask_b32 v23, 0, v20 :: v_dual_cndmask_b32 v24, 0, v19
	s_delay_alu instid0(VALU_DEP_3) | instskip(SKIP_1) | instid1(VALU_DEP_2)
	v_and_b32_e32 v15, 1, v15
	s_addc_u32 s17, s19, s25
	v_add_co_u32 v7, vcc_lo, v24, v7
	s_delay_alu instid0(VALU_DEP_3)
	v_add_co_ci_u32_e32 v8, vcc_lo, v23, v8, vcc_lo
	s_clause 0x1
	global_store_b64 v16, v[7:8], s[16:17]
	global_store_b8 v16, v15, s[16:17] offset:8
	s_waitcnt lgkmcnt(0)
	s_waitcnt_vscnt null, 0x0
	buffer_gl1_inv
	buffer_gl0_inv
	global_store_b8 v30, v29, s[20:21]
.LBB66_110:
	s_or_b32 exec_lo, exec_lo, s11
	v_cmp_eq_u32_e32 vcc_lo, 0, v0
	s_and_b32 exec_lo, exec_lo, vcc_lo
	s_cbranch_execz .LBB66_112
; %bb.111:
	v_mov_b32_e32 v7, 0
	ds_store_b64 v7, v[19:20] offset:112
	ds_store_b8 v7, v63 offset:120
.LBB66_112:
	s_or_b32 exec_lo, exec_lo, s13
	v_dual_mov_b32 v7, 0 :: v_dual_mov_b32 v16, v2
	s_waitcnt lgkmcnt(0)
	s_waitcnt_vscnt null, 0x0
	s_barrier
	buffer_gl0_inv
	ds_load_b64 v[7:8], v7 offset:112
	v_mov_b32_e32 v19, v41
	v_mov_b32_e32 v15, v1
	s_mov_b32 s11, 0
	s_mov_b32 s12, exec_lo
	v_cmpx_ne_u32_e32 0, v0
	s_cbranch_execz .LBB66_114
; %bb.113:
	v_cndmask_b32_e64 v16, v28, v25, s10
	v_cndmask_b32_e64 v4, v27, v4, s10
	v_and_b32_e32 v15, 0xff, v41
	v_cndmask_b32_e64 v3, v26, v3, s10
	s_delay_alu instid0(VALU_DEP_2) | instskip(SKIP_1) | instid1(VALU_DEP_3)
	v_cmp_eq_u16_e32 vcc_lo, 0, v15
	v_and_b32_e32 v15, 1, v16
	v_dual_cndmask_b32 v4, 0, v4 :: v_dual_cndmask_b32 v3, 0, v3
	s_delay_alu instid0(VALU_DEP_2) | instskip(NEXT) | instid1(VALU_DEP_2)
	v_cmp_eq_u32_e32 vcc_lo, 1, v15
	v_add_co_u32 v15, s10, v3, v1
	s_or_b32 s9, s9, vcc_lo
	s_delay_alu instid0(VALU_DEP_3)
	v_add_co_ci_u32_e64 v16, s10, v4, v2, s10
	v_cndmask_b32_e64 v19, 0, 1, s9
.LBB66_114:
	s_or_b32 exec_lo, exec_lo, s12
	s_delay_alu instid0(VALU_DEP_1) | instskip(NEXT) | instid1(VALU_DEP_1)
	v_and_b32_e32 v3, 0xff, v19
	v_cmp_eq_u16_e32 vcc_lo, 0, v3
	s_waitcnt lgkmcnt(0)
	v_dual_cndmask_b32 v3, 0, v8 :: v_dual_cndmask_b32 v4, 0, v7
	s_delay_alu instid0(VALU_DEP_1) | instskip(NEXT) | instid1(VALU_DEP_2)
	v_add_co_u32 v19, vcc_lo, v4, v15
	v_add_co_ci_u32_e32 v20, vcc_lo, v3, v16, vcc_lo
	s_delay_alu instid0(VALU_DEP_2) | instskip(NEXT) | instid1(VALU_DEP_2)
	v_cndmask_b32_e64 v3, 0, v19, s5
	v_cndmask_b32_e64 v4, 0, v20, s5
	s_delay_alu instid0(VALU_DEP_2) | instskip(NEXT) | instid1(VALU_DEP_2)
	v_add_co_u32 v25, vcc_lo, v3, v9
	v_add_co_ci_u32_e32 v26, vcc_lo, v4, v10, vcc_lo
	s_delay_alu instid0(VALU_DEP_2) | instskip(NEXT) | instid1(VALU_DEP_2)
	v_cndmask_b32_e64 v3, 0, v25, s3
	v_cndmask_b32_e64 v4, 0, v26, s3
	s_delay_alu instid0(VALU_DEP_2) | instskip(NEXT) | instid1(VALU_DEP_2)
	;; [unrolled: 6-line block ×7, first 2 shown]
	v_add_co_u32 v15, vcc_lo, v15, v11
	v_add_co_ci_u32_e32 v16, vcc_lo, v16, v12, vcc_lo
	s_and_b32 vcc_lo, exec_lo, s11
	s_cbranch_vccnz .LBB66_116
	s_branch .LBB66_145
.LBB66_115:
                                        ; implicit-def: $vgpr19_vgpr20
                                        ; implicit-def: $vgpr15_vgpr16
                                        ; implicit-def: $vgpr7_vgpr8
                                        ; implicit-def: $vgpr3_vgpr4
                                        ; implicit-def: $vgpr35_vgpr36_vgpr37_vgpr38
                                        ; implicit-def: $vgpr31_vgpr32_vgpr33_vgpr34
                                        ; implicit-def: $vgpr27_vgpr28_vgpr29_vgpr30
                                        ; implicit-def: $vgpr23_vgpr24_vgpr25_vgpr26
	s_cbranch_execz .LBB66_145
.LBB66_116:
	v_cmp_eq_u32_e32 vcc_lo, 0, v0
	s_cmp_lg_u64 s[30:31], 0
	v_cmp_ne_u32_e64 s2, 0, v0
	s_cselect_b32 s3, -1, 0
	s_delay_alu instid0(SALU_CYCLE_1) | instskip(NEXT) | instid1(SALU_CYCLE_1)
	s_and_b32 s3, vcc_lo, s3
	s_and_saveexec_b32 s4, s3
	s_cbranch_execz .LBB66_118
; %bb.117:
	v_dual_mov_b32 v3, 0 :: v_dual_and_b32 v4, 0xff, v41
	s_load_b64 s[6:7], s[30:31], 0x0
	global_load_u8 v3, v3, s[30:31] offset:8
	v_cmp_eq_u16_e64 s3, 0, v4
	s_waitcnt lgkmcnt(0)
	s_delay_alu instid0(VALU_DEP_1) | instskip(SKIP_1) | instid1(VALU_DEP_2)
	v_cndmask_b32_e64 v7, 0, s6, s3
	v_cndmask_b32_e64 v4, 0, s7, s3
	v_add_co_u32 v1, s3, v7, v1
	s_delay_alu instid0(VALU_DEP_1) | instskip(SKIP_2) | instid1(VALU_DEP_1)
	v_add_co_ci_u32_e64 v2, s3, v4, v2, s3
	s_waitcnt vmcnt(0)
	v_or_b32_e32 v3, v41, v3
	v_and_b32_e32 v41, 1, v3
.LBB66_118:
	s_or_b32 exec_lo, exec_lo, s4
	v_cmp_eq_u16_e64 s3, 0, v61
	v_and_b32_e32 v15, 0xff, v58
	v_lshrrev_b32_e32 v8, 23, v50
	v_and_b32_e32 v16, 1, v57
	v_and_b32_e32 v23, 0xff, v57
	v_cndmask_b32_e64 v4, 0, v1, s3
	v_cndmask_b32_e64 v3, 0, v2, s3
	v_and_b32_e32 v8, 2, v8
	v_and_b32_e32 v7, 1, v50
	v_cmp_eq_u32_e64 s9, 1, v54
	v_add_co_u32 v25, s4, v4, v9
	s_delay_alu instid0(VALU_DEP_1)
	v_add_co_ci_u32_e64 v26, s4, v3, v10, s4
	v_cmp_eq_u16_e64 s4, 0, v60
	v_or_b32_e32 v8, v16, v8
	v_cmp_eq_u32_e64 s12, 1, v53
	v_cmp_eq_u32_e64 s11, 1, v52
	v_and_b32_e32 v30, 15, v51
	v_cndmask_b32_e64 v4, 0, v25, s4
	v_cndmask_b32_e64 v3, 0, v26, s4
	v_lshlrev_b16 v8, 2, v8
	s_delay_alu instid0(VALU_DEP_3) | instskip(NEXT) | instid1(VALU_DEP_1)
	v_add_co_u32 v27, s5, v4, v5
	v_add_co_ci_u32_e64 v28, s5, v3, v6, s5
	v_cmp_eq_u16_e64 s5, 0, v59
	s_delay_alu instid0(VALU_DEP_1) | instskip(NEXT) | instid1(VALU_DEP_3)
	v_cndmask_b32_e64 v3, 0, v27, s5
	v_cndmask_b32_e64 v4, 0, v28, s5
	s_delay_alu instid0(VALU_DEP_2) | instskip(NEXT) | instid1(VALU_DEP_1)
	v_add_co_u32 v3, s6, v3, v17
	v_add_co_ci_u32_e64 v4, s6, v4, v18, s6
	v_cmp_eq_u16_e64 s6, 0, v15
	v_lshrrev_b16 v15, 7, v50
	s_delay_alu instid0(VALU_DEP_2) | instskip(NEXT) | instid1(VALU_DEP_4)
	v_cndmask_b32_e64 v20, 0, v3, s6
	v_cndmask_b32_e64 v19, 0, v4, s6
	s_delay_alu instid0(VALU_DEP_3) | instskip(NEXT) | instid1(VALU_DEP_3)
	v_and_b32_e32 v15, 2, v15
	v_add_co_u32 v31, s7, v20, v13
	s_delay_alu instid0(VALU_DEP_1) | instskip(SKIP_1) | instid1(VALU_DEP_4)
	v_add_co_ci_u32_e64 v32, s7, v19, v14, s7
	v_cmp_eq_u16_e64 s7, 0, v23
	v_or_b32_e32 v7, v7, v15
	s_delay_alu instid0(VALU_DEP_2) | instskip(NEXT) | instid1(VALU_DEP_4)
	v_cndmask_b32_e64 v16, 0, v31, s7
	v_cndmask_b32_e64 v15, 0, v32, s7
	s_delay_alu instid0(VALU_DEP_3) | instskip(NEXT) | instid1(VALU_DEP_3)
	v_or_b32_e32 v19, v7, v8
	v_add_co_u32 v7, s8, v16, v21
	s_delay_alu instid0(VALU_DEP_1) | instskip(SKIP_1) | instid1(VALU_DEP_4)
	v_add_co_ci_u32_e64 v8, s8, v15, v22, s8
	v_cmp_eq_u16_e64 s8, 0, v56
	v_cmp_ne_u16_e64 s10, 0, v19
	v_and_b32_e32 v15, 1, v41
	s_delay_alu instid0(VALU_DEP_3) | instskip(SKIP_1) | instid1(VALU_DEP_4)
	v_cndmask_b32_e64 v19, 0, v7, s8
	v_cndmask_b32_e64 v16, 0, v8, s8
	s_or_b32 s10, s10, s9
	s_delay_alu instid0(SALU_CYCLE_1) | instskip(NEXT) | instid1(VALU_DEP_2)
	s_or_b32 s12, s10, s12
	v_add_co_u32 v35, s9, v19, v39
	s_delay_alu instid0(VALU_DEP_1) | instskip(SKIP_4) | instid1(VALU_DEP_2)
	v_add_co_ci_u32_e64 v36, s9, v16, v40, s9
	v_cmp_eq_u16_e64 s9, 0, v55
	v_cmp_eq_u32_e64 s10, 1, v15
	s_or_b32 s11, s12, s11
	s_mov_b32 s12, exec_lo
	v_cndmask_b32_e64 v15, 0, v35, s9
	v_cndmask_b32_e64 v16, 0, v36, s9
	s_or_b32 s11, s11, s10
	s_delay_alu instid0(SALU_CYCLE_1) | instskip(NEXT) | instid1(VALU_DEP_3)
	v_cndmask_b32_e64 v33, 0, 1, s11
	v_add_co_u32 v15, s10, v15, v11
	s_delay_alu instid0(VALU_DEP_1) | instskip(SKIP_1) | instid1(VALU_DEP_3)
	v_add_co_ci_u32_e64 v16, s10, v16, v12, s10
	v_cndmask_b32_e64 v29, 0, 1, s11
	v_mov_b32_dpp v34, v15 row_shr:1 row_mask:0xf bank_mask:0xf
	v_mov_b32_dpp v38, v33 row_shr:1 row_mask:0xf bank_mask:0xf
	s_delay_alu instid0(VALU_DEP_4)
	v_mov_b32_e32 v20, v16
	v_mov_b32_e32 v24, v16
	v_mov_b32_dpp v37, v16 row_shr:1 row_mask:0xf bank_mask:0xf
	v_mov_b32_e32 v19, v15
	v_mov_b32_e32 v23, v15
	v_cmpx_ne_u32_e32 0, v30
; %bb.119:
	v_and_b32_e32 v19, 1, v38
	v_cndmask_b32_e64 v20, v34, 0, s11
	v_cndmask_b32_e64 v23, v37, 0, s11
	s_delay_alu instid0(VALU_DEP_3) | instskip(NEXT) | instid1(VALU_DEP_3)
	v_or_b32_e32 v29, v19, v29
	v_add_co_u32 v19, s10, v15, v20
	s_delay_alu instid0(VALU_DEP_1) | instskip(NEXT) | instid1(VALU_DEP_1)
	v_add_co_ci_u32_e64 v20, s10, v16, v23, s10
	v_dual_mov_b32 v24, v20 :: v_dual_and_b32 v33, 0xffff, v29
	s_delay_alu instid0(VALU_DEP_3)
	v_mov_b32_e32 v23, v19
; %bb.120:
	s_or_b32 exec_lo, exec_lo, s12
	v_mov_b32_dpp v34, v19 row_shr:2 row_mask:0xf bank_mask:0xf
	v_mov_b32_dpp v37, v20 row_shr:2 row_mask:0xf bank_mask:0xf
	;; [unrolled: 1-line block ×3, first 2 shown]
	s_mov_b32 s13, exec_lo
	v_cmpx_lt_u32_e32 1, v30
	s_cbranch_execz .LBB66_122
; %bb.121:
	v_and_b32_e32 v19, 1, v29
	v_cmp_eq_u16_e64 s10, 0, v29
	v_and_b32_e32 v20, 1, v38
	s_delay_alu instid0(VALU_DEP_3) | instskip(NEXT) | instid1(VALU_DEP_3)
	v_cmp_eq_u32_e64 s11, 1, v19
	v_cndmask_b32_e64 v19, 0, v34, s10
	s_delay_alu instid0(VALU_DEP_3) | instskip(SKIP_1) | instid1(VALU_DEP_3)
	v_cmp_eq_u32_e64 s12, 1, v20
	v_cndmask_b32_e64 v20, 0, v37, s10
	v_add_co_u32 v19, s10, v19, v23
	s_delay_alu instid0(VALU_DEP_1) | instskip(NEXT) | instid1(VALU_DEP_4)
	v_add_co_ci_u32_e64 v20, s10, v20, v24, s10
	s_or_b32 s11, s11, s12
	s_delay_alu instid0(SALU_CYCLE_1) | instskip(SKIP_1) | instid1(VALU_DEP_3)
	v_cndmask_b32_e64 v29, 0, 1, s11
	v_cndmask_b32_e64 v33, 0, 1, s11
	v_dual_mov_b32 v24, v20 :: v_dual_mov_b32 v23, v19
.LBB66_122:
	s_or_b32 exec_lo, exec_lo, s13
	v_mov_b32_dpp v34, v19 row_shr:4 row_mask:0xf bank_mask:0xf
	v_mov_b32_dpp v37, v20 row_shr:4 row_mask:0xf bank_mask:0xf
	;; [unrolled: 1-line block ×3, first 2 shown]
	s_mov_b32 s13, exec_lo
	v_cmpx_lt_u32_e32 3, v30
	s_cbranch_execz .LBB66_124
; %bb.123:
	v_and_b32_e32 v19, 1, v29
	v_cmp_eq_u16_e64 s10, 0, v29
	v_and_b32_e32 v20, 1, v38
	s_delay_alu instid0(VALU_DEP_3) | instskip(NEXT) | instid1(VALU_DEP_3)
	v_cmp_eq_u32_e64 s11, 1, v19
	v_cndmask_b32_e64 v19, 0, v34, s10
	s_delay_alu instid0(VALU_DEP_3) | instskip(SKIP_1) | instid1(VALU_DEP_3)
	v_cmp_eq_u32_e64 s12, 1, v20
	v_cndmask_b32_e64 v20, 0, v37, s10
	v_add_co_u32 v19, s10, v19, v23
	s_delay_alu instid0(VALU_DEP_1) | instskip(NEXT) | instid1(VALU_DEP_4)
	v_add_co_ci_u32_e64 v20, s10, v20, v24, s10
	s_or_b32 s11, s11, s12
	s_delay_alu instid0(SALU_CYCLE_1) | instskip(SKIP_1) | instid1(VALU_DEP_3)
	v_cndmask_b32_e64 v29, 0, 1, s11
	v_cndmask_b32_e64 v33, 0, 1, s11
	v_dual_mov_b32 v24, v20 :: v_dual_mov_b32 v23, v19
.LBB66_124:
	s_or_b32 exec_lo, exec_lo, s13
	v_mov_b32_dpp v34, v19 row_shr:8 row_mask:0xf bank_mask:0xf
	v_mov_b32_dpp v37, v20 row_shr:8 row_mask:0xf bank_mask:0xf
	;; [unrolled: 1-line block ×3, first 2 shown]
	s_mov_b32 s13, exec_lo
	v_cmpx_lt_u32_e32 7, v30
	s_cbranch_execz .LBB66_126
; %bb.125:
	s_delay_alu instid0(VALU_DEP_2) | instskip(SKIP_2) | instid1(VALU_DEP_3)
	v_and_b32_e32 v20, 1, v38
	v_cmp_eq_u16_e64 s10, 0, v29
	v_and_b32_e32 v19, 1, v29
	v_cmp_eq_u32_e64 s12, 1, v20
	s_delay_alu instid0(VALU_DEP_3) | instskip(NEXT) | instid1(VALU_DEP_3)
	v_cndmask_b32_e64 v20, 0, v34, s10
	v_cmp_eq_u32_e64 s11, 1, v19
	v_cndmask_b32_e64 v19, 0, v37, s10
	s_delay_alu instid0(VALU_DEP_3) | instskip(NEXT) | instid1(VALU_DEP_1)
	v_add_co_u32 v23, s10, v20, v23
	v_add_co_ci_u32_e64 v24, s10, v19, v24, s10
	s_delay_alu instid0(VALU_DEP_4) | instskip(NEXT) | instid1(VALU_DEP_2)
	s_or_b32 s11, s11, s12
	v_mov_b32_e32 v19, v23
	v_cndmask_b32_e64 v29, 0, 1, s11
	s_delay_alu instid0(VALU_DEP_3)
	v_mov_b32_e32 v20, v24
	v_cndmask_b32_e64 v33, 0, 1, s11
.LBB66_126:
	s_or_b32 exec_lo, exec_lo, s13
	ds_swizzle_b32 v30, v19 offset:swizzle(BROADCAST,32,15)
	ds_swizzle_b32 v34, v20 offset:swizzle(BROADCAST,32,15)
	;; [unrolled: 1-line block ×3, first 2 shown]
	v_and_b32_e32 v37, 16, v51
	s_mov_b32 s13, exec_lo
	s_delay_alu instid0(VALU_DEP_1)
	v_cmpx_ne_u32_e32 0, v37
	s_cbranch_execz .LBB66_128
; %bb.127:
	v_and_b32_e32 v19, 1, v29
	s_waitcnt lgkmcnt(0)
	v_and_b32_e32 v20, 1, v33
	v_cmp_eq_u16_e64 s10, 0, v29
	s_delay_alu instid0(VALU_DEP_3) | instskip(NEXT) | instid1(VALU_DEP_3)
	v_cmp_eq_u32_e64 s11, 1, v19
	v_cmp_eq_u32_e64 s12, 1, v20
	s_delay_alu instid0(VALU_DEP_3) | instskip(SKIP_1) | instid1(VALU_DEP_3)
	v_cndmask_b32_e64 v19, 0, v30, s10
	v_cndmask_b32_e64 v20, 0, v34, s10
	s_or_b32 s10, s11, s12
	s_delay_alu instid0(SALU_CYCLE_1) | instskip(NEXT) | instid1(VALU_DEP_3)
	v_cndmask_b32_e64 v29, 0, 1, s10
	v_add_co_u32 v19, s10, v19, v23
	s_delay_alu instid0(VALU_DEP_1) | instskip(NEXT) | instid1(VALU_DEP_1)
	v_add_co_ci_u32_e64 v20, s10, v20, v24, s10
	v_dual_mov_b32 v24, v20 :: v_dual_mov_b32 v23, v19
.LBB66_128:
	s_or_b32 exec_lo, exec_lo, s13
	s_waitcnt lgkmcnt(2)
	v_or_b32_e32 v30, 31, v0
	s_mov_b32 s11, exec_lo
	s_delay_alu instid0(VALU_DEP_1)
	v_cmpx_eq_u32_e64 v30, v0
	s_cbranch_execz .LBB66_130
; %bb.129:
	v_lshlrev_b32_e32 v30, 4, v47
	ds_store_b64 v30, v[23:24]
	ds_store_b8 v30, v29 offset:8
.LBB66_130:
	s_or_b32 exec_lo, exec_lo, s11
	s_delay_alu instid0(SALU_CYCLE_1)
	s_mov_b32 s13, exec_lo
	s_waitcnt lgkmcnt(0)
	s_barrier
	buffer_gl0_inv
	v_cmpx_gt_u32_e32 8, v0
	s_cbranch_execz .LBB66_138
; %bb.131:
	v_lshlrev_b32_e32 v30, 4, v0
	s_mov_b32 s11, exec_lo
	ds_load_b64 v[23:24], v30
	ds_load_b32 v38, v30 offset:8
	v_and_b32_e32 v33, 7, v51
	s_waitcnt lgkmcnt(1)
	v_mov_b32_dpp v52, v23 row_shr:1 row_mask:0xf bank_mask:0xf
	s_waitcnt lgkmcnt(0)
	v_mov_b32_e32 v34, v38
	v_mov_b32_dpp v53, v24 row_shr:1 row_mask:0xf bank_mask:0xf
	v_dual_mov_b32 v50, v38 :: v_dual_and_b32 v37, 0xffffff00, v38
	v_mov_b32_dpp v54, v38 row_shr:1 row_mask:0xf bank_mask:0xf
	v_cmpx_ne_u32_e32 0, v33
; %bb.132:
	v_and_b32_e32 v34, 0xff, v38
	s_delay_alu instid0(VALU_DEP_3) | instskip(NEXT) | instid1(VALU_DEP_2)
	v_or_b32_e32 v38, v54, v38
	v_cmp_eq_u16_e64 s10, 0, v34
	s_delay_alu instid0(VALU_DEP_2) | instskip(SKIP_1) | instid1(VALU_DEP_3)
	v_and_b32_e32 v50, 1, v38
	v_and_b32_e32 v34, 1, v38
	v_cndmask_b32_e64 v52, 0, v52, s10
	v_cndmask_b32_e64 v53, 0, v53, s10
	s_delay_alu instid0(VALU_DEP_4) | instskip(NEXT) | instid1(VALU_DEP_3)
	v_or_b32_e32 v38, v50, v37
	v_add_co_u32 v23, s10, v52, v23
	s_delay_alu instid0(VALU_DEP_1)
	v_add_co_ci_u32_e64 v24, s10, v53, v24, s10
; %bb.133:
	s_or_b32 exec_lo, exec_lo, s11
	s_delay_alu instid0(VALU_DEP_2) | instskip(NEXT) | instid1(VALU_DEP_2)
	v_mov_b32_dpp v52, v23 row_shr:2 row_mask:0xf bank_mask:0xf
	v_mov_b32_dpp v53, v24 row_shr:2 row_mask:0xf bank_mask:0xf
	;; [unrolled: 1-line block ×3, first 2 shown]
	s_mov_b32 s15, exec_lo
	v_cmpx_lt_u32_e32 1, v33
	s_cbranch_execz .LBB66_135
; %bb.134:
	v_and_b32_e32 v34, 1, v50
	v_and_b32_e32 v38, 0xff, v50
	;; [unrolled: 1-line block ×3, first 2 shown]
	s_delay_alu instid0(VALU_DEP_3) | instskip(NEXT) | instid1(VALU_DEP_3)
	v_cmp_eq_u32_e64 s10, 1, v34
	v_cmp_eq_u16_e64 s11, 0, v38
	s_delay_alu instid0(VALU_DEP_3) | instskip(NEXT) | instid1(VALU_DEP_2)
	v_cmp_eq_u32_e64 s12, 1, v50
	v_cndmask_b32_e64 v50, 0, v52, s11
	s_delay_alu instid0(VALU_DEP_2) | instskip(SKIP_4) | instid1(VALU_DEP_1)
	s_or_b32 s10, s10, s12
	v_cndmask_b32_e64 v38, 0, v53, s11
	v_cndmask_b32_e64 v34, 0, 1, s10
	;; [unrolled: 1-line block ×3, first 2 shown]
	v_add_co_u32 v23, s10, v50, v23
	v_add_co_ci_u32_e64 v24, s10, v38, v24, s10
	s_delay_alu instid0(VALU_DEP_3)
	v_or_b32_e32 v38, v37, v52
	v_mov_b32_e32 v50, v34
.LBB66_135:
	s_or_b32 exec_lo, exec_lo, s15
	v_mov_b32_dpp v37, v23 row_shr:4 row_mask:0xf bank_mask:0xf
	v_mov_b32_dpp v52, v24 row_shr:4 row_mask:0xf bank_mask:0xf
	;; [unrolled: 1-line block ×3, first 2 shown]
	s_mov_b32 s15, exec_lo
	v_cmpx_lt_u32_e32 3, v33
	s_cbranch_execz .LBB66_137
; %bb.136:
	v_and_b32_e32 v33, 0xff, v50
	v_and_b32_e32 v34, 1, v50
	;; [unrolled: 1-line block ×3, first 2 shown]
	s_delay_alu instid0(VALU_DEP_3) | instskip(NEXT) | instid1(VALU_DEP_3)
	v_cmp_eq_u16_e64 s10, 0, v33
	v_cmp_eq_u32_e64 s11, 1, v34
	s_delay_alu instid0(VALU_DEP_3) | instskip(NEXT) | instid1(VALU_DEP_3)
	v_cmp_eq_u32_e64 s12, 1, v38
	v_cndmask_b32_e64 v37, 0, v37, s10
	v_cndmask_b32_e64 v33, 0, v52, s10
	s_delay_alu instid0(VALU_DEP_3) | instskip(NEXT) | instid1(SALU_CYCLE_1)
	s_or_b32 s10, s11, s12
	v_cndmask_b32_e64 v34, 0, 1, s10
	s_delay_alu instid0(VALU_DEP_3) | instskip(NEXT) | instid1(VALU_DEP_1)
	v_add_co_u32 v23, s10, v37, v23
	v_add_co_ci_u32_e64 v24, s10, v33, v24, s10
.LBB66_137:
	s_or_b32 exec_lo, exec_lo, s15
	ds_store_b64 v30, v[23:24]
	ds_store_b8 v30, v34 offset:8
.LBB66_138:
	s_or_b32 exec_lo, exec_lo, s13
	v_mov_b32_e32 v23, 0
	v_mov_b32_e32 v24, 0
	s_mov_b32 s11, exec_lo
	s_waitcnt lgkmcnt(0)
	s_barrier
	buffer_gl0_inv
	v_cmpx_lt_u32_e32 31, v0
	s_cbranch_execz .LBB66_140
; %bb.139:
	v_lshl_add_u32 v23, v47, 4, -16
	v_cmp_eq_u16_e64 s10, 0, v29
	ds_load_b64 v[23:24], v23
	s_waitcnt lgkmcnt(0)
	v_cndmask_b32_e64 v30, 0, v23, s10
	v_cndmask_b32_e64 v29, 0, v24, s10
	s_delay_alu instid0(VALU_DEP_2) | instskip(NEXT) | instid1(VALU_DEP_1)
	v_add_co_u32 v19, s10, v19, v30
	v_add_co_ci_u32_e64 v20, s10, v20, v29, s10
.LBB66_140:
	s_or_b32 exec_lo, exec_lo, s11
	v_add_nc_u32_e32 v29, -1, v51
	s_delay_alu instid0(VALU_DEP_1) | instskip(NEXT) | instid1(VALU_DEP_1)
	v_cmp_gt_i32_e64 s10, 0, v29
	v_cndmask_b32_e64 v29, v29, v51, s10
	s_delay_alu instid0(VALU_DEP_1)
	v_lshlrev_b32_e32 v29, 2, v29
	ds_bpermute_b32 v19, v29, v19
	ds_bpermute_b32 v20, v29, v20
	s_and_saveexec_b32 s10, s2
	s_cbranch_execz .LBB66_142
; %bb.141:
	v_cmp_eq_u32_e64 s2, 0, v51
	v_and_b32_e32 v3, 0xff, v41
	s_waitcnt lgkmcnt(0)
	s_delay_alu instid0(VALU_DEP_2) | instskip(SKIP_1) | instid1(VALU_DEP_3)
	v_cndmask_b32_e64 v4, v20, v24, s2
	v_cndmask_b32_e64 v7, v19, v23, s2
	v_cmp_eq_u16_e64 s2, 0, v3
	s_delay_alu instid0(VALU_DEP_1) | instskip(NEXT) | instid1(VALU_DEP_3)
	v_cndmask_b32_e64 v3, 0, v4, s2
	v_cndmask_b32_e64 v4, 0, v7, s2
	s_delay_alu instid0(VALU_DEP_1) | instskip(NEXT) | instid1(VALU_DEP_1)
	v_add_co_u32 v1, s2, v4, v1
	v_add_co_ci_u32_e64 v2, s2, v3, v2, s2
	s_delay_alu instid0(VALU_DEP_2) | instskip(NEXT) | instid1(VALU_DEP_2)
	v_cndmask_b32_e64 v3, 0, v1, s3
	v_cndmask_b32_e64 v4, 0, v2, s3
	s_delay_alu instid0(VALU_DEP_2) | instskip(NEXT) | instid1(VALU_DEP_1)
	v_add_co_u32 v25, s2, v3, v9
	v_add_co_ci_u32_e64 v26, s2, v4, v10, s2
	s_delay_alu instid0(VALU_DEP_2) | instskip(NEXT) | instid1(VALU_DEP_2)
	v_cndmask_b32_e64 v3, 0, v25, s4
	v_cndmask_b32_e64 v4, 0, v26, s4
	s_delay_alu instid0(VALU_DEP_2) | instskip(NEXT) | instid1(VALU_DEP_1)
	;; [unrolled: 6-line block ×7, first 2 shown]
	v_add_co_u32 v15, s2, v5, v11
	v_add_co_ci_u32_e64 v16, s2, v6, v12, s2
.LBB66_142:
	s_or_b32 exec_lo, exec_lo, s10
	s_and_saveexec_b32 s2, vcc_lo
	s_cbranch_execz .LBB66_144
; %bb.143:
	v_mov_b32_e32 v9, 0
	v_mov_b32_e32 v11, 2
	ds_load_b64 v[5:6], v9 offset:112
	ds_load_u8 v10, v9 offset:120
	s_waitcnt lgkmcnt(1)
	global_store_b64 v9, v[5:6], s[18:19] offset:512
	s_waitcnt lgkmcnt(0)
	global_store_b8 v9, v10, s[18:19] offset:520
	s_waitcnt_vscnt null, 0x0
	buffer_gl1_inv
	buffer_gl0_inv
	global_store_b8 v9, v11, s[20:21] offset:32
.LBB66_144:
	s_or_b32 exec_lo, exec_lo, s2
	s_waitcnt lgkmcnt(0)
	v_dual_mov_b32 v20, v2 :: v_dual_mov_b32 v19, v1
.LBB66_145:
	s_load_b64 s[0:1], s[0:1], 0x18
	v_lshlrev_b32_e32 v33, 1, v0
	v_lshlrev_b32_e32 v2, 3, v0
	s_waitcnt lgkmcnt(0)
	s_add_u32 s0, s0, s28
	s_addc_u32 s1, s1, s29
	s_and_b32 vcc_lo, exec_lo, s14
	s_cbranch_vccz .LBB66_155
; %bb.146:
	v_and_b32_e32 v1, 0x1f8, v33
	v_lshrrev_b32_e32 v5, 5, v49
	v_lshrrev_b32_e32 v6, 5, v48
	s_waitcnt_vscnt null, 0x0
	s_barrier
	v_lshl_add_u32 v1, v0, 6, v1
	buffer_gl0_inv
	v_lshrrev_b32_e32 v9, 5, v45
	v_lshrrev_b32_e32 v10, 5, v44
	;; [unrolled: 1-line block ×3, first 2 shown]
	ds_store_2addr_b64 v1, v[19:20], v[25:26] offset1:1
	ds_store_2addr_b64 v1, v[27:28], v[3:4] offset0:2 offset1:3
	ds_store_2addr_b64 v1, v[31:32], v[7:8] offset0:4 offset1:5
	;; [unrolled: 1-line block ×3, first 2 shown]
	v_add_lshl_u32 v1, v5, v0, 3
	v_add_lshl_u32 v5, v6, v0, 3
	v_lshrrev_b32_e32 v6, 5, v46
	v_lshrrev_b32_e32 v12, 5, v42
	v_add_lshl_u32 v9, v9, v0, 3
	v_add_lshl_u32 v10, v10, v0, 3
	s_waitcnt lgkmcnt(0)
	v_add_lshl_u32 v6, v6, v0, 3
	s_barrier
	buffer_gl0_inv
	v_add_lshl_u32 v11, v11, v0, 3
	v_add_lshl_u32 v12, v12, v0, 3
	ds_load_b64 v[29:30], v1 offset:2048
	ds_load_b64 v[23:24], v5 offset:4096
	ds_load_b64 v[21:22], v6 offset:6144
	ds_load_b64 v[17:18], v9 offset:8192
	ds_load_b64 v[13:14], v10 offset:10240
	ds_load_b64 v[9:10], v11 offset:12288
	ds_load_b64 v[5:6], v12 offset:14336
	v_add_co_u32 v11, s3, s0, v2
	v_mov_b32_e32 v1, 0
	v_add_co_ci_u32_e64 v12, null, s1, 0, s3
	s_lshl_b32 s2, s26, 11
	s_mov_b32 s3, exec_lo
	s_sub_i32 s2, s22, s2
	s_delay_alu instid0(SALU_CYCLE_1)
	v_cmpx_gt_u32_e64 s2, v0
	s_cbranch_execnz .LBB66_167
; %bb.147:
	s_or_b32 exec_lo, exec_lo, s3
	s_delay_alu instid0(SALU_CYCLE_1)
	s_mov_b32 s3, exec_lo
	v_cmpx_gt_u32_e64 s2, v49
	s_cbranch_execnz .LBB66_168
.LBB66_148:
	s_or_b32 exec_lo, exec_lo, s3
	s_delay_alu instid0(SALU_CYCLE_1)
	s_mov_b32 s3, exec_lo
	v_cmpx_gt_u32_e64 s2, v48
	s_cbranch_execnz .LBB66_169
.LBB66_149:
	s_or_b32 exec_lo, exec_lo, s3
	s_delay_alu instid0(SALU_CYCLE_1)
	s_mov_b32 s3, exec_lo
	v_cmpx_gt_u32_e64 s2, v46
	s_cbranch_execnz .LBB66_170
.LBB66_150:
	s_or_b32 exec_lo, exec_lo, s3
	s_delay_alu instid0(SALU_CYCLE_1)
	s_mov_b32 s3, exec_lo
	v_cmpx_gt_u32_e64 s2, v45
	s_cbranch_execnz .LBB66_171
.LBB66_151:
	s_or_b32 exec_lo, exec_lo, s3
	s_delay_alu instid0(SALU_CYCLE_1)
	s_mov_b32 s3, exec_lo
	v_cmpx_gt_u32_e64 s2, v44
	s_cbranch_execnz .LBB66_172
.LBB66_152:
	s_or_b32 exec_lo, exec_lo, s3
	s_delay_alu instid0(SALU_CYCLE_1)
	s_mov_b32 s3, exec_lo
	v_cmpx_gt_u32_e64 s2, v43
	s_cbranch_execz .LBB66_154
.LBB66_153:
	v_add_co_u32 v11, vcc_lo, 0x3000, v11
	v_add_co_ci_u32_e32 v12, vcc_lo, 0, v12, vcc_lo
	s_waitcnt lgkmcnt(1)
	global_store_b64 v[11:12], v[9:10], off
.LBB66_154:
	s_or_b32 exec_lo, exec_lo, s3
	v_cmp_gt_u32_e64 s2, s2, v42
	s_branch .LBB66_157
.LBB66_155:
	s_mov_b32 s2, 0
                                        ; implicit-def: $vgpr5_vgpr6
	s_cbranch_execz .LBB66_157
; %bb.156:
	v_and_b32_e32 v1, 0x1f8, v33
	s_waitcnt lgkmcnt(0)
	v_lshrrev_b32_e32 v5, 5, v49
	s_waitcnt_vscnt null, 0x0
	s_barrier
	buffer_gl0_inv
	v_lshl_add_u32 v1, v0, 6, v1
	v_add_lshl_u32 v5, v5, v0, 3
	v_lshrrev_b32_e32 v6, 5, v46
	v_lshrrev_b32_e32 v9, 5, v45
	v_lshrrev_b32_e32 v10, 5, v43
	ds_store_2addr_b64 v1, v[19:20], v[25:26] offset1:1
	ds_store_2addr_b64 v1, v[27:28], v[3:4] offset0:2 offset1:3
	ds_store_2addr_b64 v1, v[31:32], v[7:8] offset0:4 offset1:5
	;; [unrolled: 1-line block ×3, first 2 shown]
	v_add_lshl_u32 v3, v47, v0, 3
	s_waitcnt lgkmcnt(0)
	s_barrier
	buffer_gl0_inv
	ds_load_b64 v[3:4], v3
	ds_load_b64 v[7:8], v5 offset:2048
	v_lshrrev_b32_e32 v1, 5, v48
	v_lshrrev_b32_e32 v5, 5, v44
	;; [unrolled: 1-line block ×3, first 2 shown]
	v_add_lshl_u32 v6, v6, v0, 3
	v_add_lshl_u32 v13, v9, v0, 3
	;; [unrolled: 1-line block ×6, first 2 shown]
	ds_load_b64 v[9:10], v1 offset:4096
	ds_load_b64 v[11:12], v6 offset:6144
	;; [unrolled: 1-line block ×6, first 2 shown]
	v_add_co_u32 v23, s3, s0, v2
	s_delay_alu instid0(VALU_DEP_1)
	v_add_co_ci_u32_e64 v24, null, s1, 0, s3
	v_mov_b32_e32 v1, 0
	s_or_b32 s2, s2, exec_lo
	s_waitcnt lgkmcnt(6)
	global_store_b64 v2, v[7:8], s[0:1] offset:2048
	v_add_co_u32 v7, vcc_lo, 0x1000, v23
	v_add_co_ci_u32_e32 v8, vcc_lo, 0, v24, vcc_lo
	v_add_co_u32 v19, vcc_lo, v23, 0x2000
	v_add_co_ci_u32_e32 v20, vcc_lo, 0, v24, vcc_lo
	;; [unrolled: 2-line block ×3, first 2 shown]
	global_store_b64 v2, v[3:4], s[0:1]
	s_waitcnt lgkmcnt(3)
	global_store_b64 v[19:20], v[13:14], off
	v_add_co_u32 v2, vcc_lo, 0x3000, v23
	v_add_co_ci_u32_e32 v3, vcc_lo, 0, v24, vcc_lo
	global_store_b64 v[7:8], v[11:12], off offset:2048
	s_waitcnt lgkmcnt(2)
	s_clause 0x1
	global_store_b64 v[21:22], v[15:16], off offset:2048
	global_store_b64 v[19:20], v[9:10], off offset:-4096
	s_waitcnt lgkmcnt(1)
	global_store_b64 v[2:3], v[17:18], off
.LBB66_157:
	s_delay_alu instid0(VALU_DEP_1)
	s_and_saveexec_b32 s3, s2
	s_cbranch_execnz .LBB66_159
; %bb.158:
	s_nop 0
	s_sendmsg sendmsg(MSG_DEALLOC_VGPRS)
	s_endpgm
.LBB66_159:
	v_lshlrev_b64 v[0:1], 3, v[0:1]
	s_delay_alu instid0(VALU_DEP_1) | instskip(NEXT) | instid1(VALU_DEP_2)
	v_add_co_u32 v0, vcc_lo, s0, v0
	v_add_co_ci_u32_e32 v1, vcc_lo, s1, v1, vcc_lo
	s_delay_alu instid0(VALU_DEP_2) | instskip(NEXT) | instid1(VALU_DEP_2)
	v_add_co_u32 v0, vcc_lo, 0x3000, v0
	v_add_co_ci_u32_e32 v1, vcc_lo, 0, v1, vcc_lo
	s_waitcnt lgkmcnt(0)
	global_store_b64 v[0:1], v[5:6], off offset:2048
	s_nop 0
	s_sendmsg sendmsg(MSG_DEALLOC_VGPRS)
	s_endpgm
.LBB66_160:
	global_load_b64 v[1:2], v[5:6], off
	s_or_b32 exec_lo, exec_lo, s9
                                        ; implicit-def: $vgpr9_vgpr10
	s_and_saveexec_b32 s9, s2
	s_cbranch_execz .LBB66_21
.LBB66_161:
	global_load_b64 v[9:10], v[5:6], off offset:2048
	s_or_b32 exec_lo, exec_lo, s9
                                        ; implicit-def: $vgpr11_vgpr12
	s_and_saveexec_b32 s2, s5
	s_cbranch_execz .LBB66_22
.LBB66_162:
	v_add_co_u32 v11, vcc_lo, 0x1000, v5
	v_add_co_ci_u32_e32 v12, vcc_lo, 0, v6, vcc_lo
	global_load_b64 v[11:12], v[11:12], off
	s_or_b32 exec_lo, exec_lo, s2
                                        ; implicit-def: $vgpr13_vgpr14
	s_and_saveexec_b32 s2, s4
	s_cbranch_execz .LBB66_23
.LBB66_163:
	v_add_co_u32 v13, vcc_lo, 0x1000, v5
	v_add_co_ci_u32_e32 v14, vcc_lo, 0, v6, vcc_lo
	global_load_b64 v[13:14], v[13:14], off offset:2048
	s_or_b32 exec_lo, exec_lo, s2
                                        ; implicit-def: $vgpr17_vgpr18
	s_and_saveexec_b32 s2, s3
	s_cbranch_execz .LBB66_24
.LBB66_164:
	v_add_co_u32 v17, vcc_lo, 0x2000, v5
	v_add_co_ci_u32_e32 v18, vcc_lo, 0, v6, vcc_lo
	global_load_b64 v[17:18], v[17:18], off
	s_or_b32 exec_lo, exec_lo, s2
                                        ; implicit-def: $vgpr21_vgpr22
	s_and_saveexec_b32 s2, s6
	s_cbranch_execz .LBB66_25
.LBB66_165:
	v_add_co_u32 v21, vcc_lo, 0x2000, v5
	v_add_co_ci_u32_e32 v22, vcc_lo, 0, v6, vcc_lo
	global_load_b64 v[21:22], v[21:22], off offset:2048
	s_or_b32 exec_lo, exec_lo, s2
                                        ; implicit-def: $vgpr23_vgpr24
	s_and_saveexec_b32 s2, s7
	s_cbranch_execz .LBB66_26
.LBB66_166:
	v_add_co_u32 v23, vcc_lo, 0x3000, v5
	v_add_co_ci_u32_e32 v24, vcc_lo, 0, v6, vcc_lo
	global_load_b64 v[23:24], v[23:24], off
	s_or_b32 exec_lo, exec_lo, s2
                                        ; implicit-def: $vgpr25_vgpr26
	s_and_saveexec_b32 s2, s8
	s_cbranch_execnz .LBB66_27
	s_branch .LBB66_28
.LBB66_167:
	v_add_lshl_u32 v34, v47, v0, 3
	ds_load_b64 v[37:38], v34
	s_waitcnt lgkmcnt(0)
	global_store_b64 v[11:12], v[37:38], off
	s_or_b32 exec_lo, exec_lo, s3
	s_delay_alu instid0(SALU_CYCLE_1)
	s_mov_b32 s3, exec_lo
	v_cmpx_gt_u32_e64 s2, v49
	s_cbranch_execz .LBB66_148
.LBB66_168:
	s_waitcnt lgkmcnt(6)
	global_store_b64 v[11:12], v[29:30], off offset:2048
	s_or_b32 exec_lo, exec_lo, s3
	s_delay_alu instid0(SALU_CYCLE_1)
	s_mov_b32 s3, exec_lo
	v_cmpx_gt_u32_e64 s2, v48
	s_cbranch_execz .LBB66_149
.LBB66_169:
	s_waitcnt lgkmcnt(6)
	v_add_co_u32 v29, vcc_lo, 0x1000, v11
	v_add_co_ci_u32_e32 v30, vcc_lo, 0, v12, vcc_lo
	s_waitcnt lgkmcnt(5)
	global_store_b64 v[29:30], v[23:24], off
	s_or_b32 exec_lo, exec_lo, s3
	s_delay_alu instid0(SALU_CYCLE_1)
	s_mov_b32 s3, exec_lo
	v_cmpx_gt_u32_e64 s2, v46
	s_cbranch_execz .LBB66_150
.LBB66_170:
	s_waitcnt lgkmcnt(5)
	v_add_co_u32 v23, vcc_lo, 0x1000, v11
	v_add_co_ci_u32_e32 v24, vcc_lo, 0, v12, vcc_lo
	s_waitcnt lgkmcnt(4)
	global_store_b64 v[23:24], v[21:22], off offset:2048
	s_or_b32 exec_lo, exec_lo, s3
	s_delay_alu instid0(SALU_CYCLE_1)
	s_mov_b32 s3, exec_lo
	v_cmpx_gt_u32_e64 s2, v45
	s_cbranch_execz .LBB66_151
.LBB66_171:
	s_waitcnt lgkmcnt(4)
	v_add_co_u32 v21, vcc_lo, 0x2000, v11
	v_add_co_ci_u32_e32 v22, vcc_lo, 0, v12, vcc_lo
	s_waitcnt lgkmcnt(3)
	global_store_b64 v[21:22], v[17:18], off
	s_or_b32 exec_lo, exec_lo, s3
	s_delay_alu instid0(SALU_CYCLE_1)
	s_mov_b32 s3, exec_lo
	v_cmpx_gt_u32_e64 s2, v44
	s_cbranch_execz .LBB66_152
.LBB66_172:
	s_waitcnt lgkmcnt(3)
	v_add_co_u32 v17, vcc_lo, 0x2000, v11
	v_add_co_ci_u32_e32 v18, vcc_lo, 0, v12, vcc_lo
	s_waitcnt lgkmcnt(2)
	global_store_b64 v[17:18], v[13:14], off offset:2048
	s_or_b32 exec_lo, exec_lo, s3
	s_delay_alu instid0(SALU_CYCLE_1)
	s_mov_b32 s3, exec_lo
	v_cmpx_gt_u32_e64 s2, v43
	s_cbranch_execnz .LBB66_153
	s_branch .LBB66_154
	.section	.rodata,"a",@progbits
	.p2align	6, 0x0
	.amdhsa_kernel _ZN7rocprim6detail25device_scan_by_key_kernelILNS0_25lookback_scan_determinismE0ELb0ENS0_26wrapped_scan_by_key_configINS_14default_configEimEEPiN6hipcub22TransformInputIteratorImNS7_6CastOpImEEPmlEESB_mNS7_8EqualityENS7_3SumENS0_19lookback_scan_stateINS_5tupleIJmbEEELb0ELb0EEEmEEvT2_T3_T4_T5_T6_T7_T8_mmmPKNSG_IJT9_bEEE
		.amdhsa_group_segment_fixed_size 16896
		.amdhsa_private_segment_fixed_size 0
		.amdhsa_kernarg_size 104
		.amdhsa_user_sgpr_count 15
		.amdhsa_user_sgpr_dispatch_ptr 0
		.amdhsa_user_sgpr_queue_ptr 0
		.amdhsa_user_sgpr_kernarg_segment_ptr 1
		.amdhsa_user_sgpr_dispatch_id 0
		.amdhsa_user_sgpr_private_segment_size 0
		.amdhsa_wavefront_size32 1
		.amdhsa_uses_dynamic_stack 0
		.amdhsa_enable_private_segment 0
		.amdhsa_system_sgpr_workgroup_id_x 1
		.amdhsa_system_sgpr_workgroup_id_y 0
		.amdhsa_system_sgpr_workgroup_id_z 0
		.amdhsa_system_sgpr_workgroup_info 0
		.amdhsa_system_vgpr_workitem_id 0
		.amdhsa_next_free_vgpr 72
		.amdhsa_next_free_sgpr 37
		.amdhsa_reserve_vcc 1
		.amdhsa_float_round_mode_32 0
		.amdhsa_float_round_mode_16_64 0
		.amdhsa_float_denorm_mode_32 3
		.amdhsa_float_denorm_mode_16_64 3
		.amdhsa_dx10_clamp 1
		.amdhsa_ieee_mode 1
		.amdhsa_fp16_overflow 0
		.amdhsa_workgroup_processor_mode 1
		.amdhsa_memory_ordered 1
		.amdhsa_forward_progress 0
		.amdhsa_shared_vgpr_count 0
		.amdhsa_exception_fp_ieee_invalid_op 0
		.amdhsa_exception_fp_denorm_src 0
		.amdhsa_exception_fp_ieee_div_zero 0
		.amdhsa_exception_fp_ieee_overflow 0
		.amdhsa_exception_fp_ieee_underflow 0
		.amdhsa_exception_fp_ieee_inexact 0
		.amdhsa_exception_int_div_zero 0
	.end_amdhsa_kernel
	.section	.text._ZN7rocprim6detail25device_scan_by_key_kernelILNS0_25lookback_scan_determinismE0ELb0ENS0_26wrapped_scan_by_key_configINS_14default_configEimEEPiN6hipcub22TransformInputIteratorImNS7_6CastOpImEEPmlEESB_mNS7_8EqualityENS7_3SumENS0_19lookback_scan_stateINS_5tupleIJmbEEELb0ELb0EEEmEEvT2_T3_T4_T5_T6_T7_T8_mmmPKNSG_IJT9_bEEE,"axG",@progbits,_ZN7rocprim6detail25device_scan_by_key_kernelILNS0_25lookback_scan_determinismE0ELb0ENS0_26wrapped_scan_by_key_configINS_14default_configEimEEPiN6hipcub22TransformInputIteratorImNS7_6CastOpImEEPmlEESB_mNS7_8EqualityENS7_3SumENS0_19lookback_scan_stateINS_5tupleIJmbEEELb0ELb0EEEmEEvT2_T3_T4_T5_T6_T7_T8_mmmPKNSG_IJT9_bEEE,comdat
.Lfunc_end66:
	.size	_ZN7rocprim6detail25device_scan_by_key_kernelILNS0_25lookback_scan_determinismE0ELb0ENS0_26wrapped_scan_by_key_configINS_14default_configEimEEPiN6hipcub22TransformInputIteratorImNS7_6CastOpImEEPmlEESB_mNS7_8EqualityENS7_3SumENS0_19lookback_scan_stateINS_5tupleIJmbEEELb0ELb0EEEmEEvT2_T3_T4_T5_T6_T7_T8_mmmPKNSG_IJT9_bEEE, .Lfunc_end66-_ZN7rocprim6detail25device_scan_by_key_kernelILNS0_25lookback_scan_determinismE0ELb0ENS0_26wrapped_scan_by_key_configINS_14default_configEimEEPiN6hipcub22TransformInputIteratorImNS7_6CastOpImEEPmlEESB_mNS7_8EqualityENS7_3SumENS0_19lookback_scan_stateINS_5tupleIJmbEEELb0ELb0EEEmEEvT2_T3_T4_T5_T6_T7_T8_mmmPKNSG_IJT9_bEEE
                                        ; -- End function
	.section	.AMDGPU.csdata,"",@progbits
; Kernel info:
; codeLenInByte = 12120
; NumSgprs: 39
; NumVgprs: 72
; ScratchSize: 0
; MemoryBound: 0
; FloatMode: 240
; IeeeMode: 1
; LDSByteSize: 16896 bytes/workgroup (compile time only)
; SGPRBlocks: 4
; VGPRBlocks: 8
; NumSGPRsForWavesPerEU: 39
; NumVGPRsForWavesPerEU: 72
; Occupancy: 14
; WaveLimiterHint : 1
; COMPUTE_PGM_RSRC2:SCRATCH_EN: 0
; COMPUTE_PGM_RSRC2:USER_SGPR: 15
; COMPUTE_PGM_RSRC2:TRAP_HANDLER: 0
; COMPUTE_PGM_RSRC2:TGID_X_EN: 1
; COMPUTE_PGM_RSRC2:TGID_Y_EN: 0
; COMPUTE_PGM_RSRC2:TGID_Z_EN: 0
; COMPUTE_PGM_RSRC2:TIDIG_COMP_CNT: 0
	.section	.text._ZN7rocprim6detail31init_lookback_scan_state_kernelINS0_19lookback_scan_stateINS_5tupleIJybEEELb1ELb0EEEEEvT_jjPNS6_10value_typeE,"axG",@progbits,_ZN7rocprim6detail31init_lookback_scan_state_kernelINS0_19lookback_scan_stateINS_5tupleIJybEEELb1ELb0EEEEEvT_jjPNS6_10value_typeE,comdat
	.protected	_ZN7rocprim6detail31init_lookback_scan_state_kernelINS0_19lookback_scan_stateINS_5tupleIJybEEELb1ELb0EEEEEvT_jjPNS6_10value_typeE ; -- Begin function _ZN7rocprim6detail31init_lookback_scan_state_kernelINS0_19lookback_scan_stateINS_5tupleIJybEEELb1ELb0EEEEEvT_jjPNS6_10value_typeE
	.globl	_ZN7rocprim6detail31init_lookback_scan_state_kernelINS0_19lookback_scan_stateINS_5tupleIJybEEELb1ELb0EEEEEvT_jjPNS6_10value_typeE
	.p2align	8
	.type	_ZN7rocprim6detail31init_lookback_scan_state_kernelINS0_19lookback_scan_stateINS_5tupleIJybEEELb1ELb0EEEEEvT_jjPNS6_10value_typeE,@function
_ZN7rocprim6detail31init_lookback_scan_state_kernelINS0_19lookback_scan_stateINS_5tupleIJybEEELb1ELb0EEEEEvT_jjPNS6_10value_typeE: ; @_ZN7rocprim6detail31init_lookback_scan_state_kernelINS0_19lookback_scan_stateINS_5tupleIJybEEELb1ELb0EEEEEvT_jjPNS6_10value_typeE
; %bb.0:
	s_clause 0x2
	s_load_b32 s2, s[0:1], 0x34
	s_load_b64 s[8:9], s[0:1], 0x20
	s_load_b128 s[4:7], s[0:1], 0x10
	s_waitcnt lgkmcnt(0)
	s_and_b32 s2, s2, 0xffff
	s_cmp_eq_u64 s[8:9], 0
	v_mad_u64_u32 v[1:2], null, s15, s2, v[0:1]
	s_cbranch_scc1 .LBB67_11
; %bb.1:
	s_cmp_lt_u32 s7, s6
	s_mov_b32 s11, 0
	s_cselect_b32 s2, s7, 0
	s_mov_b32 s14, exec_lo
	s_delay_alu instid0(VALU_DEP_1)
	v_cmpx_eq_u32_e64 s2, v1
	s_cbranch_execz .LBB67_10
; %bb.2:
	s_add_i32 s10, s7, 32
	s_load_b128 s[0:3], s[0:1], 0x0
	v_mov_b32_e32 v0, s10
	s_add_u32 s12, s4, s10
	s_addc_u32 s13, s5, 0
	global_load_u8 v0, v0, s[4:5] glc
	s_waitcnt vmcnt(0)
	v_cmp_ne_u16_e32 vcc_lo, 0, v0
	v_readfirstlane_b32 s7, v0
	s_cbranch_vccz .LBB67_4
; %bb.3:
	s_delay_alu instid0(VALU_DEP_1)
	s_and_b32 s7, 0xffff, s7
	s_branch .LBB67_9
.LBB67_4:
	v_mov_b32_e32 v0, 0
	s_mov_b32 s7, 1
.LBB67_5:                               ; =>This Loop Header: Depth=1
                                        ;     Child Loop BB67_6 Depth 2
	s_delay_alu instid0(SALU_CYCLE_1)
	s_max_u32 s15, s7, 1
.LBB67_6:                               ;   Parent Loop BB67_5 Depth=1
                                        ; =>  This Inner Loop Header: Depth=2
	s_delay_alu instid0(SALU_CYCLE_1)
	s_add_i32 s15, s15, -1
	s_sleep 1
	s_cmp_eq_u32 s15, 0
	s_cbranch_scc0 .LBB67_6
; %bb.7:                                ;   in Loop: Header=BB67_5 Depth=1
	global_load_u8 v2, v0, s[12:13] glc
	s_cmp_lt_u32 s7, 32
	s_cselect_b32 s15, -1, 0
	s_delay_alu instid0(SALU_CYCLE_1)
	s_cmp_lg_u32 s15, 0
	s_addc_u32 s7, s7, 0
	s_waitcnt vmcnt(0)
	v_cmp_ne_u16_e32 vcc_lo, 0, v2
	v_readfirstlane_b32 s15, v2
	s_cbranch_vccz .LBB67_5
; %bb.8:
	s_delay_alu instid0(VALU_DEP_1)
	s_and_b32 s7, 0xffff, s15
.LBB67_9:
	s_delay_alu instid0(SALU_CYCLE_1)
	s_cmp_eq_u32 s7, 1
	v_mov_b32_e32 v0, 0
	s_waitcnt lgkmcnt(0)
	s_cselect_b32 s3, s1, s3
	s_cselect_b32 s2, s0, s2
	s_lshl_b64 s[0:1], s[10:11], 4
	buffer_gl1_inv
	buffer_gl0_inv
	s_add_u32 s0, s2, s0
	s_addc_u32 s1, s3, s1
	s_clause 0x1
	global_load_b64 v[2:3], v0, s[0:1]
	global_load_u8 v4, v0, s[0:1] offset:8
	s_waitcnt vmcnt(1)
	global_store_b64 v0, v[2:3], s[8:9]
	s_waitcnt vmcnt(0)
	global_store_b8 v0, v4, s[8:9] offset:8
.LBB67_10:
	s_or_b32 exec_lo, exec_lo, s14
.LBB67_11:
	s_delay_alu instid0(SALU_CYCLE_1) | instskip(NEXT) | instid1(VALU_DEP_1)
	s_mov_b32 s0, exec_lo
	v_cmpx_gt_u32_e64 s6, v1
	s_cbranch_execz .LBB67_13
; %bb.12:
	v_add_nc_u32_e32 v0, 32, v1
	v_mov_b32_e32 v2, 0
	global_store_b8 v0, v2, s[4:5]
.LBB67_13:
	s_or_b32 exec_lo, exec_lo, s0
	s_delay_alu instid0(SALU_CYCLE_1)
	s_mov_b32 s0, exec_lo
	v_cmpx_gt_u32_e32 32, v1
	s_cbranch_execz .LBB67_15
; %bb.14:
	v_mov_b32_e32 v0, 0xff
	global_store_b8 v1, v0, s[4:5]
.LBB67_15:
	s_nop 0
	s_sendmsg sendmsg(MSG_DEALLOC_VGPRS)
	s_endpgm
	.section	.rodata,"a",@progbits
	.p2align	6, 0x0
	.amdhsa_kernel _ZN7rocprim6detail31init_lookback_scan_state_kernelINS0_19lookback_scan_stateINS_5tupleIJybEEELb1ELb0EEEEEvT_jjPNS6_10value_typeE
		.amdhsa_group_segment_fixed_size 0
		.amdhsa_private_segment_fixed_size 0
		.amdhsa_kernarg_size 296
		.amdhsa_user_sgpr_count 15
		.amdhsa_user_sgpr_dispatch_ptr 0
		.amdhsa_user_sgpr_queue_ptr 0
		.amdhsa_user_sgpr_kernarg_segment_ptr 1
		.amdhsa_user_sgpr_dispatch_id 0
		.amdhsa_user_sgpr_private_segment_size 0
		.amdhsa_wavefront_size32 1
		.amdhsa_uses_dynamic_stack 0
		.amdhsa_enable_private_segment 0
		.amdhsa_system_sgpr_workgroup_id_x 1
		.amdhsa_system_sgpr_workgroup_id_y 0
		.amdhsa_system_sgpr_workgroup_id_z 0
		.amdhsa_system_sgpr_workgroup_info 0
		.amdhsa_system_vgpr_workitem_id 0
		.amdhsa_next_free_vgpr 5
		.amdhsa_next_free_sgpr 16
		.amdhsa_reserve_vcc 1
		.amdhsa_float_round_mode_32 0
		.amdhsa_float_round_mode_16_64 0
		.amdhsa_float_denorm_mode_32 3
		.amdhsa_float_denorm_mode_16_64 3
		.amdhsa_dx10_clamp 1
		.amdhsa_ieee_mode 1
		.amdhsa_fp16_overflow 0
		.amdhsa_workgroup_processor_mode 1
		.amdhsa_memory_ordered 1
		.amdhsa_forward_progress 0
		.amdhsa_shared_vgpr_count 0
		.amdhsa_exception_fp_ieee_invalid_op 0
		.amdhsa_exception_fp_denorm_src 0
		.amdhsa_exception_fp_ieee_div_zero 0
		.amdhsa_exception_fp_ieee_overflow 0
		.amdhsa_exception_fp_ieee_underflow 0
		.amdhsa_exception_fp_ieee_inexact 0
		.amdhsa_exception_int_div_zero 0
	.end_amdhsa_kernel
	.section	.text._ZN7rocprim6detail31init_lookback_scan_state_kernelINS0_19lookback_scan_stateINS_5tupleIJybEEELb1ELb0EEEEEvT_jjPNS6_10value_typeE,"axG",@progbits,_ZN7rocprim6detail31init_lookback_scan_state_kernelINS0_19lookback_scan_stateINS_5tupleIJybEEELb1ELb0EEEEEvT_jjPNS6_10value_typeE,comdat
.Lfunc_end67:
	.size	_ZN7rocprim6detail31init_lookback_scan_state_kernelINS0_19lookback_scan_stateINS_5tupleIJybEEELb1ELb0EEEEEvT_jjPNS6_10value_typeE, .Lfunc_end67-_ZN7rocprim6detail31init_lookback_scan_state_kernelINS0_19lookback_scan_stateINS_5tupleIJybEEELb1ELb0EEEEEvT_jjPNS6_10value_typeE
                                        ; -- End function
	.section	.AMDGPU.csdata,"",@progbits
; Kernel info:
; codeLenInByte = 428
; NumSgprs: 18
; NumVgprs: 5
; ScratchSize: 0
; MemoryBound: 0
; FloatMode: 240
; IeeeMode: 1
; LDSByteSize: 0 bytes/workgroup (compile time only)
; SGPRBlocks: 2
; VGPRBlocks: 0
; NumSGPRsForWavesPerEU: 18
; NumVGPRsForWavesPerEU: 5
; Occupancy: 16
; WaveLimiterHint : 0
; COMPUTE_PGM_RSRC2:SCRATCH_EN: 0
; COMPUTE_PGM_RSRC2:USER_SGPR: 15
; COMPUTE_PGM_RSRC2:TRAP_HANDLER: 0
; COMPUTE_PGM_RSRC2:TGID_X_EN: 1
; COMPUTE_PGM_RSRC2:TGID_Y_EN: 0
; COMPUTE_PGM_RSRC2:TGID_Z_EN: 0
; COMPUTE_PGM_RSRC2:TIDIG_COMP_CNT: 0
	.section	.text._ZN7rocprim6detail31init_lookback_scan_state_kernelINS0_19lookback_scan_stateINS_5tupleIJybEEELb0ELb0EEEEEvT_jjPNS6_10value_typeE,"axG",@progbits,_ZN7rocprim6detail31init_lookback_scan_state_kernelINS0_19lookback_scan_stateINS_5tupleIJybEEELb0ELb0EEEEEvT_jjPNS6_10value_typeE,comdat
	.protected	_ZN7rocprim6detail31init_lookback_scan_state_kernelINS0_19lookback_scan_stateINS_5tupleIJybEEELb0ELb0EEEEEvT_jjPNS6_10value_typeE ; -- Begin function _ZN7rocprim6detail31init_lookback_scan_state_kernelINS0_19lookback_scan_stateINS_5tupleIJybEEELb0ELb0EEEEEvT_jjPNS6_10value_typeE
	.globl	_ZN7rocprim6detail31init_lookback_scan_state_kernelINS0_19lookback_scan_stateINS_5tupleIJybEEELb0ELb0EEEEEvT_jjPNS6_10value_typeE
	.p2align	8
	.type	_ZN7rocprim6detail31init_lookback_scan_state_kernelINS0_19lookback_scan_stateINS_5tupleIJybEEELb0ELb0EEEEEvT_jjPNS6_10value_typeE,@function
_ZN7rocprim6detail31init_lookback_scan_state_kernelINS0_19lookback_scan_stateINS_5tupleIJybEEELb0ELb0EEEEEvT_jjPNS6_10value_typeE: ; @_ZN7rocprim6detail31init_lookback_scan_state_kernelINS0_19lookback_scan_stateINS_5tupleIJybEEELb0ELb0EEEEEvT_jjPNS6_10value_typeE
; %bb.0:
	s_clause 0x2
	s_load_b32 s2, s[0:1], 0x34
	s_load_b64 s[8:9], s[0:1], 0x20
	s_load_b128 s[4:7], s[0:1], 0x10
	s_waitcnt lgkmcnt(0)
	s_and_b32 s2, s2, 0xffff
	s_cmp_eq_u64 s[8:9], 0
	v_mad_u64_u32 v[1:2], null, s15, s2, v[0:1]
	s_cbranch_scc1 .LBB68_7
; %bb.1:
	s_cmp_lt_u32 s7, s6
	s_mov_b32 s11, 0
	s_cselect_b32 s2, s7, 0
	s_mov_b32 s14, exec_lo
	s_delay_alu instid0(VALU_DEP_1)
	v_cmpx_eq_u32_e64 s2, v1
	s_cbranch_execz .LBB68_6
; %bb.2:
	s_add_i32 s10, s7, 32
	s_load_b128 s[0:3], s[0:1], 0x0
	v_mov_b32_e32 v0, s10
	s_add_u32 s12, s4, s10
	s_addc_u32 s13, s5, 0
	global_load_u8 v0, v0, s[4:5] glc
	s_waitcnt vmcnt(0)
	v_cmp_ne_u16_e32 vcc_lo, 0, v0
	v_readfirstlane_b32 s7, v0
	s_cbranch_vccnz .LBB68_5
; %bb.3:
	v_mov_b32_e32 v0, 0
.LBB68_4:                               ; =>This Inner Loop Header: Depth=1
	global_load_u8 v2, v0, s[12:13] glc
	s_waitcnt vmcnt(0)
	v_cmp_eq_u16_e32 vcc_lo, 0, v2
	v_readfirstlane_b32 s7, v2
	s_cbranch_vccnz .LBB68_4
.LBB68_5:
	s_delay_alu instid0(VALU_DEP_1)
	s_and_b32 s7, 0xffff, s7
	v_mov_b32_e32 v0, 0
	s_cmp_eq_u32 s7, 1
	s_waitcnt lgkmcnt(0)
	buffer_gl1_inv
	buffer_gl0_inv
	s_cselect_b32 s3, s1, s3
	s_cselect_b32 s2, s0, s2
	s_lshl_b64 s[0:1], s[10:11], 4
	s_delay_alu instid0(SALU_CYCLE_1)
	s_add_u32 s0, s2, s0
	s_addc_u32 s1, s3, s1
	s_clause 0x1
	global_load_b64 v[2:3], v0, s[0:1]
	global_load_u8 v4, v0, s[0:1] offset:8
	s_waitcnt vmcnt(1)
	global_store_b64 v0, v[2:3], s[8:9]
	s_waitcnt vmcnt(0)
	global_store_b8 v0, v4, s[8:9] offset:8
.LBB68_6:
	s_or_b32 exec_lo, exec_lo, s14
.LBB68_7:
	s_delay_alu instid0(SALU_CYCLE_1) | instskip(NEXT) | instid1(VALU_DEP_1)
	s_mov_b32 s0, exec_lo
	v_cmpx_gt_u32_e64 s6, v1
	s_cbranch_execz .LBB68_9
; %bb.8:
	v_add_nc_u32_e32 v0, 32, v1
	v_mov_b32_e32 v2, 0
	global_store_b8 v0, v2, s[4:5]
.LBB68_9:
	s_or_b32 exec_lo, exec_lo, s0
	s_delay_alu instid0(SALU_CYCLE_1)
	s_mov_b32 s0, exec_lo
	v_cmpx_gt_u32_e32 32, v1
	s_cbranch_execz .LBB68_11
; %bb.10:
	v_mov_b32_e32 v0, 0xff
	global_store_b8 v1, v0, s[4:5]
.LBB68_11:
	s_nop 0
	s_sendmsg sendmsg(MSG_DEALLOC_VGPRS)
	s_endpgm
	.section	.rodata,"a",@progbits
	.p2align	6, 0x0
	.amdhsa_kernel _ZN7rocprim6detail31init_lookback_scan_state_kernelINS0_19lookback_scan_stateINS_5tupleIJybEEELb0ELb0EEEEEvT_jjPNS6_10value_typeE
		.amdhsa_group_segment_fixed_size 0
		.amdhsa_private_segment_fixed_size 0
		.amdhsa_kernarg_size 296
		.amdhsa_user_sgpr_count 15
		.amdhsa_user_sgpr_dispatch_ptr 0
		.amdhsa_user_sgpr_queue_ptr 0
		.amdhsa_user_sgpr_kernarg_segment_ptr 1
		.amdhsa_user_sgpr_dispatch_id 0
		.amdhsa_user_sgpr_private_segment_size 0
		.amdhsa_wavefront_size32 1
		.amdhsa_uses_dynamic_stack 0
		.amdhsa_enable_private_segment 0
		.amdhsa_system_sgpr_workgroup_id_x 1
		.amdhsa_system_sgpr_workgroup_id_y 0
		.amdhsa_system_sgpr_workgroup_id_z 0
		.amdhsa_system_sgpr_workgroup_info 0
		.amdhsa_system_vgpr_workitem_id 0
		.amdhsa_next_free_vgpr 5
		.amdhsa_next_free_sgpr 16
		.amdhsa_reserve_vcc 1
		.amdhsa_float_round_mode_32 0
		.amdhsa_float_round_mode_16_64 0
		.amdhsa_float_denorm_mode_32 3
		.amdhsa_float_denorm_mode_16_64 3
		.amdhsa_dx10_clamp 1
		.amdhsa_ieee_mode 1
		.amdhsa_fp16_overflow 0
		.amdhsa_workgroup_processor_mode 1
		.amdhsa_memory_ordered 1
		.amdhsa_forward_progress 0
		.amdhsa_shared_vgpr_count 0
		.amdhsa_exception_fp_ieee_invalid_op 0
		.amdhsa_exception_fp_denorm_src 0
		.amdhsa_exception_fp_ieee_div_zero 0
		.amdhsa_exception_fp_ieee_overflow 0
		.amdhsa_exception_fp_ieee_underflow 0
		.amdhsa_exception_fp_ieee_inexact 0
		.amdhsa_exception_int_div_zero 0
	.end_amdhsa_kernel
	.section	.text._ZN7rocprim6detail31init_lookback_scan_state_kernelINS0_19lookback_scan_stateINS_5tupleIJybEEELb0ELb0EEEEEvT_jjPNS6_10value_typeE,"axG",@progbits,_ZN7rocprim6detail31init_lookback_scan_state_kernelINS0_19lookback_scan_stateINS_5tupleIJybEEELb0ELb0EEEEEvT_jjPNS6_10value_typeE,comdat
.Lfunc_end68:
	.size	_ZN7rocprim6detail31init_lookback_scan_state_kernelINS0_19lookback_scan_stateINS_5tupleIJybEEELb0ELb0EEEEEvT_jjPNS6_10value_typeE, .Lfunc_end68-_ZN7rocprim6detail31init_lookback_scan_state_kernelINS0_19lookback_scan_stateINS_5tupleIJybEEELb0ELb0EEEEEvT_jjPNS6_10value_typeE
                                        ; -- End function
	.section	.AMDGPU.csdata,"",@progbits
; Kernel info:
; codeLenInByte = 360
; NumSgprs: 18
; NumVgprs: 5
; ScratchSize: 0
; MemoryBound: 0
; FloatMode: 240
; IeeeMode: 1
; LDSByteSize: 0 bytes/workgroup (compile time only)
; SGPRBlocks: 2
; VGPRBlocks: 0
; NumSGPRsForWavesPerEU: 18
; NumVGPRsForWavesPerEU: 5
; Occupancy: 16
; WaveLimiterHint : 0
; COMPUTE_PGM_RSRC2:SCRATCH_EN: 0
; COMPUTE_PGM_RSRC2:USER_SGPR: 15
; COMPUTE_PGM_RSRC2:TRAP_HANDLER: 0
; COMPUTE_PGM_RSRC2:TGID_X_EN: 1
; COMPUTE_PGM_RSRC2:TGID_Y_EN: 0
; COMPUTE_PGM_RSRC2:TGID_Z_EN: 0
; COMPUTE_PGM_RSRC2:TIDIG_COMP_CNT: 0
	.section	.text._ZN7rocprim6detail25device_scan_by_key_kernelILNS0_25lookback_scan_determinismE0ELb0ENS0_26wrapped_scan_by_key_configINS_14default_configEiyEEPiN6hipcub22TransformInputIteratorIyNS7_6CastOpIyEEPylEESB_yNS7_8EqualityENS7_3SumENS0_19lookback_scan_stateINS_5tupleIJybEEELb1ELb0EEEyEEvT2_T3_T4_T5_T6_T7_T8_mmmPKNSG_IJT9_bEEE,"axG",@progbits,_ZN7rocprim6detail25device_scan_by_key_kernelILNS0_25lookback_scan_determinismE0ELb0ENS0_26wrapped_scan_by_key_configINS_14default_configEiyEEPiN6hipcub22TransformInputIteratorIyNS7_6CastOpIyEEPylEESB_yNS7_8EqualityENS7_3SumENS0_19lookback_scan_stateINS_5tupleIJybEEELb1ELb0EEEyEEvT2_T3_T4_T5_T6_T7_T8_mmmPKNSG_IJT9_bEEE,comdat
	.protected	_ZN7rocprim6detail25device_scan_by_key_kernelILNS0_25lookback_scan_determinismE0ELb0ENS0_26wrapped_scan_by_key_configINS_14default_configEiyEEPiN6hipcub22TransformInputIteratorIyNS7_6CastOpIyEEPylEESB_yNS7_8EqualityENS7_3SumENS0_19lookback_scan_stateINS_5tupleIJybEEELb1ELb0EEEyEEvT2_T3_T4_T5_T6_T7_T8_mmmPKNSG_IJT9_bEEE ; -- Begin function _ZN7rocprim6detail25device_scan_by_key_kernelILNS0_25lookback_scan_determinismE0ELb0ENS0_26wrapped_scan_by_key_configINS_14default_configEiyEEPiN6hipcub22TransformInputIteratorIyNS7_6CastOpIyEEPylEESB_yNS7_8EqualityENS7_3SumENS0_19lookback_scan_stateINS_5tupleIJybEEELb1ELb0EEEyEEvT2_T3_T4_T5_T6_T7_T8_mmmPKNSG_IJT9_bEEE
	.globl	_ZN7rocprim6detail25device_scan_by_key_kernelILNS0_25lookback_scan_determinismE0ELb0ENS0_26wrapped_scan_by_key_configINS_14default_configEiyEEPiN6hipcub22TransformInputIteratorIyNS7_6CastOpIyEEPylEESB_yNS7_8EqualityENS7_3SumENS0_19lookback_scan_stateINS_5tupleIJybEEELb1ELb0EEEyEEvT2_T3_T4_T5_T6_T7_T8_mmmPKNSG_IJT9_bEEE
	.p2align	8
	.type	_ZN7rocprim6detail25device_scan_by_key_kernelILNS0_25lookback_scan_determinismE0ELb0ENS0_26wrapped_scan_by_key_configINS_14default_configEiyEEPiN6hipcub22TransformInputIteratorIyNS7_6CastOpIyEEPylEESB_yNS7_8EqualityENS7_3SumENS0_19lookback_scan_stateINS_5tupleIJybEEELb1ELb0EEEyEEvT2_T3_T4_T5_T6_T7_T8_mmmPKNSG_IJT9_bEEE,@function
_ZN7rocprim6detail25device_scan_by_key_kernelILNS0_25lookback_scan_determinismE0ELb0ENS0_26wrapped_scan_by_key_configINS_14default_configEiyEEPiN6hipcub22TransformInputIteratorIyNS7_6CastOpIyEEPylEESB_yNS7_8EqualityENS7_3SumENS0_19lookback_scan_stateINS_5tupleIJybEEELb1ELb0EEEyEEvT2_T3_T4_T5_T6_T7_T8_mmmPKNSG_IJT9_bEEE: ; @_ZN7rocprim6detail25device_scan_by_key_kernelILNS0_25lookback_scan_determinismE0ELb0ENS0_26wrapped_scan_by_key_configINS_14default_configEiyEEPiN6hipcub22TransformInputIteratorIyNS7_6CastOpIyEEPylEESB_yNS7_8EqualityENS7_3SumENS0_19lookback_scan_stateINS_5tupleIJybEEELb1ELb0EEEyEEvT2_T3_T4_T5_T6_T7_T8_mmmPKNSG_IJT9_bEEE
; %bb.0:
	s_endpgm
	.section	.rodata,"a",@progbits
	.p2align	6, 0x0
	.amdhsa_kernel _ZN7rocprim6detail25device_scan_by_key_kernelILNS0_25lookback_scan_determinismE0ELb0ENS0_26wrapped_scan_by_key_configINS_14default_configEiyEEPiN6hipcub22TransformInputIteratorIyNS7_6CastOpIyEEPylEESB_yNS7_8EqualityENS7_3SumENS0_19lookback_scan_stateINS_5tupleIJybEEELb1ELb0EEEyEEvT2_T3_T4_T5_T6_T7_T8_mmmPKNSG_IJT9_bEEE
		.amdhsa_group_segment_fixed_size 0
		.amdhsa_private_segment_fixed_size 0
		.amdhsa_kernarg_size 104
		.amdhsa_user_sgpr_count 15
		.amdhsa_user_sgpr_dispatch_ptr 0
		.amdhsa_user_sgpr_queue_ptr 0
		.amdhsa_user_sgpr_kernarg_segment_ptr 1
		.amdhsa_user_sgpr_dispatch_id 0
		.amdhsa_user_sgpr_private_segment_size 0
		.amdhsa_wavefront_size32 1
		.amdhsa_uses_dynamic_stack 0
		.amdhsa_enable_private_segment 0
		.amdhsa_system_sgpr_workgroup_id_x 1
		.amdhsa_system_sgpr_workgroup_id_y 0
		.amdhsa_system_sgpr_workgroup_id_z 0
		.amdhsa_system_sgpr_workgroup_info 0
		.amdhsa_system_vgpr_workitem_id 0
		.amdhsa_next_free_vgpr 1
		.amdhsa_next_free_sgpr 1
		.amdhsa_reserve_vcc 0
		.amdhsa_float_round_mode_32 0
		.amdhsa_float_round_mode_16_64 0
		.amdhsa_float_denorm_mode_32 3
		.amdhsa_float_denorm_mode_16_64 3
		.amdhsa_dx10_clamp 1
		.amdhsa_ieee_mode 1
		.amdhsa_fp16_overflow 0
		.amdhsa_workgroup_processor_mode 1
		.amdhsa_memory_ordered 1
		.amdhsa_forward_progress 0
		.amdhsa_shared_vgpr_count 0
		.amdhsa_exception_fp_ieee_invalid_op 0
		.amdhsa_exception_fp_denorm_src 0
		.amdhsa_exception_fp_ieee_div_zero 0
		.amdhsa_exception_fp_ieee_overflow 0
		.amdhsa_exception_fp_ieee_underflow 0
		.amdhsa_exception_fp_ieee_inexact 0
		.amdhsa_exception_int_div_zero 0
	.end_amdhsa_kernel
	.section	.text._ZN7rocprim6detail25device_scan_by_key_kernelILNS0_25lookback_scan_determinismE0ELb0ENS0_26wrapped_scan_by_key_configINS_14default_configEiyEEPiN6hipcub22TransformInputIteratorIyNS7_6CastOpIyEEPylEESB_yNS7_8EqualityENS7_3SumENS0_19lookback_scan_stateINS_5tupleIJybEEELb1ELb0EEEyEEvT2_T3_T4_T5_T6_T7_T8_mmmPKNSG_IJT9_bEEE,"axG",@progbits,_ZN7rocprim6detail25device_scan_by_key_kernelILNS0_25lookback_scan_determinismE0ELb0ENS0_26wrapped_scan_by_key_configINS_14default_configEiyEEPiN6hipcub22TransformInputIteratorIyNS7_6CastOpIyEEPylEESB_yNS7_8EqualityENS7_3SumENS0_19lookback_scan_stateINS_5tupleIJybEEELb1ELb0EEEyEEvT2_T3_T4_T5_T6_T7_T8_mmmPKNSG_IJT9_bEEE,comdat
.Lfunc_end69:
	.size	_ZN7rocprim6detail25device_scan_by_key_kernelILNS0_25lookback_scan_determinismE0ELb0ENS0_26wrapped_scan_by_key_configINS_14default_configEiyEEPiN6hipcub22TransformInputIteratorIyNS7_6CastOpIyEEPylEESB_yNS7_8EqualityENS7_3SumENS0_19lookback_scan_stateINS_5tupleIJybEEELb1ELb0EEEyEEvT2_T3_T4_T5_T6_T7_T8_mmmPKNSG_IJT9_bEEE, .Lfunc_end69-_ZN7rocprim6detail25device_scan_by_key_kernelILNS0_25lookback_scan_determinismE0ELb0ENS0_26wrapped_scan_by_key_configINS_14default_configEiyEEPiN6hipcub22TransformInputIteratorIyNS7_6CastOpIyEEPylEESB_yNS7_8EqualityENS7_3SumENS0_19lookback_scan_stateINS_5tupleIJybEEELb1ELb0EEEyEEvT2_T3_T4_T5_T6_T7_T8_mmmPKNSG_IJT9_bEEE
                                        ; -- End function
	.section	.AMDGPU.csdata,"",@progbits
; Kernel info:
; codeLenInByte = 4
; NumSgprs: 0
; NumVgprs: 0
; ScratchSize: 0
; MemoryBound: 0
; FloatMode: 240
; IeeeMode: 1
; LDSByteSize: 0 bytes/workgroup (compile time only)
; SGPRBlocks: 0
; VGPRBlocks: 0
; NumSGPRsForWavesPerEU: 1
; NumVGPRsForWavesPerEU: 1
; Occupancy: 16
; WaveLimiterHint : 0
; COMPUTE_PGM_RSRC2:SCRATCH_EN: 0
; COMPUTE_PGM_RSRC2:USER_SGPR: 15
; COMPUTE_PGM_RSRC2:TRAP_HANDLER: 0
; COMPUTE_PGM_RSRC2:TGID_X_EN: 1
; COMPUTE_PGM_RSRC2:TGID_Y_EN: 0
; COMPUTE_PGM_RSRC2:TGID_Z_EN: 0
; COMPUTE_PGM_RSRC2:TIDIG_COMP_CNT: 0
	.section	.text._ZN7rocprim6detail25device_scan_by_key_kernelILNS0_25lookback_scan_determinismE0ELb0ENS0_26wrapped_scan_by_key_configINS_14default_configEiyEEPiN6hipcub22TransformInputIteratorIyNS7_6CastOpIyEEPylEESB_yNS7_8EqualityENS7_3SumENS0_19lookback_scan_stateINS_5tupleIJybEEELb0ELb0EEEyEEvT2_T3_T4_T5_T6_T7_T8_mmmPKNSG_IJT9_bEEE,"axG",@progbits,_ZN7rocprim6detail25device_scan_by_key_kernelILNS0_25lookback_scan_determinismE0ELb0ENS0_26wrapped_scan_by_key_configINS_14default_configEiyEEPiN6hipcub22TransformInputIteratorIyNS7_6CastOpIyEEPylEESB_yNS7_8EqualityENS7_3SumENS0_19lookback_scan_stateINS_5tupleIJybEEELb0ELb0EEEyEEvT2_T3_T4_T5_T6_T7_T8_mmmPKNSG_IJT9_bEEE,comdat
	.protected	_ZN7rocprim6detail25device_scan_by_key_kernelILNS0_25lookback_scan_determinismE0ELb0ENS0_26wrapped_scan_by_key_configINS_14default_configEiyEEPiN6hipcub22TransformInputIteratorIyNS7_6CastOpIyEEPylEESB_yNS7_8EqualityENS7_3SumENS0_19lookback_scan_stateINS_5tupleIJybEEELb0ELb0EEEyEEvT2_T3_T4_T5_T6_T7_T8_mmmPKNSG_IJT9_bEEE ; -- Begin function _ZN7rocprim6detail25device_scan_by_key_kernelILNS0_25lookback_scan_determinismE0ELb0ENS0_26wrapped_scan_by_key_configINS_14default_configEiyEEPiN6hipcub22TransformInputIteratorIyNS7_6CastOpIyEEPylEESB_yNS7_8EqualityENS7_3SumENS0_19lookback_scan_stateINS_5tupleIJybEEELb0ELb0EEEyEEvT2_T3_T4_T5_T6_T7_T8_mmmPKNSG_IJT9_bEEE
	.globl	_ZN7rocprim6detail25device_scan_by_key_kernelILNS0_25lookback_scan_determinismE0ELb0ENS0_26wrapped_scan_by_key_configINS_14default_configEiyEEPiN6hipcub22TransformInputIteratorIyNS7_6CastOpIyEEPylEESB_yNS7_8EqualityENS7_3SumENS0_19lookback_scan_stateINS_5tupleIJybEEELb0ELb0EEEyEEvT2_T3_T4_T5_T6_T7_T8_mmmPKNSG_IJT9_bEEE
	.p2align	8
	.type	_ZN7rocprim6detail25device_scan_by_key_kernelILNS0_25lookback_scan_determinismE0ELb0ENS0_26wrapped_scan_by_key_configINS_14default_configEiyEEPiN6hipcub22TransformInputIteratorIyNS7_6CastOpIyEEPylEESB_yNS7_8EqualityENS7_3SumENS0_19lookback_scan_stateINS_5tupleIJybEEELb0ELb0EEEyEEvT2_T3_T4_T5_T6_T7_T8_mmmPKNSG_IJT9_bEEE,@function
_ZN7rocprim6detail25device_scan_by_key_kernelILNS0_25lookback_scan_determinismE0ELb0ENS0_26wrapped_scan_by_key_configINS_14default_configEiyEEPiN6hipcub22TransformInputIteratorIyNS7_6CastOpIyEEPylEESB_yNS7_8EqualityENS7_3SumENS0_19lookback_scan_stateINS_5tupleIJybEEELb0ELb0EEEyEEvT2_T3_T4_T5_T6_T7_T8_mmmPKNSG_IJT9_bEEE: ; @_ZN7rocprim6detail25device_scan_by_key_kernelILNS0_25lookback_scan_determinismE0ELb0ENS0_26wrapped_scan_by_key_configINS_14default_configEiyEEPiN6hipcub22TransformInputIteratorIyNS7_6CastOpIyEEPylEESB_yNS7_8EqualityENS7_3SumENS0_19lookback_scan_stateINS_5tupleIJybEEELb0ELb0EEEyEEvT2_T3_T4_T5_T6_T7_T8_mmmPKNSG_IJT9_bEEE
; %bb.0:
	s_clause 0x1
	s_load_b128 s[4:7], s[0:1], 0x0
	s_load_b128 s[24:27], s[0:1], 0x50
	s_mov_b32 s3, 0
	s_lshl_b32 s2, s15, 11
	s_load_b64 s[30:31], s[0:1], 0x60
	s_lshl_b64 s[8:9], s[2:3], 2
	s_load_b256 s[16:23], s[0:1], 0x30
	v_lshlrev_b32_e32 v29, 2, v0
	s_waitcnt lgkmcnt(0)
	s_add_u32 s12, s4, s8
	s_addc_u32 s13, s5, s9
	s_lshl_b64 s[28:29], s[2:3], 3
	s_delay_alu instid0(SALU_CYCLE_1)
	s_add_u32 s10, s6, s28
	s_addc_u32 s11, s7, s29
	s_add_u32 s4, s15, s24
	s_addc_u32 s5, 0, s25
	s_add_u32 s26, s26, -1
	s_addc_u32 s27, s27, -1
	s_delay_alu instid0(SALU_CYCLE_1) | instskip(NEXT) | instid1(VALU_DEP_1)
	v_cmp_ge_u64_e64 s14, s[4:5], s[26:27]
	s_and_b32 vcc_lo, exec_lo, s14
	s_cbranch_vccz .LBB70_43
; %bb.1:
	s_load_b32 s9, s[12:13], 0x0
	s_lshl_b32 s2, s26, 11
	s_delay_alu instid0(SALU_CYCLE_1) | instskip(SKIP_1) | instid1(VALU_DEP_1)
	s_sub_i32 s23, s22, s2
	v_add_co_u32 v1, s2, s12, v29
	v_add_co_ci_u32_e64 v2, null, s13, 0, s2
	v_cmp_gt_u32_e32 vcc_lo, s23, v0
	s_waitcnt lgkmcnt(0)
	v_mov_b32_e32 v3, s9
	s_and_saveexec_b32 s2, vcc_lo
	s_cbranch_execz .LBB70_3
; %bb.2:
	global_load_b32 v3, v[1:2], off
.LBB70_3:
	s_or_b32 exec_lo, exec_lo, s2
	v_or_b32_e32 v7, 0x100, v0
	v_mov_b32_e32 v4, s9
	s_delay_alu instid0(VALU_DEP_2) | instskip(NEXT) | instid1(VALU_DEP_1)
	v_cmp_gt_u32_e64 s2, s23, v7
	s_and_saveexec_b32 s3, s2
	s_cbranch_execz .LBB70_5
; %bb.4:
	global_load_b32 v4, v[1:2], off offset:1024
.LBB70_5:
	s_or_b32 exec_lo, exec_lo, s3
	v_or_b32_e32 v8, 0x200, v0
	v_mov_b32_e32 v6, s9
	s_delay_alu instid0(VALU_DEP_2) | instskip(NEXT) | instid1(VALU_DEP_1)
	v_cmp_gt_u32_e64 s5, s23, v8
	s_and_saveexec_b32 s3, s5
	s_cbranch_execz .LBB70_7
; %bb.6:
	global_load_b32 v6, v[1:2], off offset:2048
.LBB70_7:
	;; [unrolled: 10-line block ×3, first 2 shown]
	s_or_b32 exec_lo, exec_lo, s3
	v_or_b32_e32 v12, 0x400, v0
	v_mov_b32_e32 v9, s9
	s_delay_alu instid0(VALU_DEP_2) | instskip(NEXT) | instid1(VALU_DEP_1)
	v_cmp_gt_u32_e64 s3, s23, v12
	s_and_saveexec_b32 s7, s3
	s_cbranch_execz .LBB70_11
; %bb.10:
	v_add_co_u32 v13, s6, 0x1000, v1
	s_delay_alu instid0(VALU_DEP_1)
	v_add_co_ci_u32_e64 v14, s6, 0, v2, s6
	global_load_b32 v9, v[13:14], off
.LBB70_11:
	s_or_b32 exec_lo, exec_lo, s7
	v_or_b32_e32 v13, 0x500, v0
	v_mov_b32_e32 v11, s9
	s_delay_alu instid0(VALU_DEP_2) | instskip(NEXT) | instid1(VALU_DEP_1)
	v_cmp_gt_u32_e64 s6, s23, v13
	s_and_saveexec_b32 s8, s6
	s_cbranch_execz .LBB70_13
; %bb.12:
	v_add_co_u32 v14, s7, 0x1000, v1
	s_delay_alu instid0(VALU_DEP_1)
	v_add_co_ci_u32_e64 v15, s7, 0, v2, s7
	global_load_b32 v11, v[14:15], off offset:1024
.LBB70_13:
	s_or_b32 exec_lo, exec_lo, s8
	v_or_b32_e32 v15, 0x600, v0
	v_mov_b32_e32 v14, s9
	s_delay_alu instid0(VALU_DEP_2) | instskip(NEXT) | instid1(VALU_DEP_1)
	v_cmp_gt_u32_e64 s7, s23, v15
	s_and_saveexec_b32 s27, s7
	s_cbranch_execz .LBB70_15
; %bb.14:
	v_add_co_u32 v16, s8, 0x1000, v1
	s_delay_alu instid0(VALU_DEP_1)
	v_add_co_ci_u32_e64 v17, s8, 0, v2, s8
	global_load_b32 v14, v[16:17], off offset:2048
.LBB70_15:
	;; [unrolled: 13-line block ×3, first 2 shown]
	s_or_b32 exec_lo, exec_lo, s27
	v_lshrrev_b32_e32 v1, 5, v0
	v_lshrrev_b32_e32 v2, 5, v7
	;; [unrolled: 1-line block ×3, first 2 shown]
	s_sub_u32 s34, 0, s15
	s_subb_u32 s35, 0, 0
	v_add_nc_u32_e32 v30, v1, v0
	v_add_nc_u32_e32 v28, v2, v0
	;; [unrolled: 1-line block ×3, first 2 shown]
	v_lshrrev_b32_e32 v1, 5, v10
	v_lshrrev_b32_e32 v2, 5, v12
	v_lshlrev_b32_e32 v7, 2, v30
	v_lshlrev_b32_e32 v8, 2, v28
	;; [unrolled: 1-line block ×3, first 2 shown]
	v_add_nc_u32_e32 v32, v1, v0
	v_lshrrev_b32_e32 v1, 5, v13
	v_add_nc_u32_e32 v31, v2, v0
	v_lshrrev_b32_e32 v2, 5, v15
	s_waitcnt vmcnt(0)
	ds_store_b32 v7, v3
	ds_store_b32 v8, v4 offset:1024
	ds_store_b32 v10, v6 offset:2048
	v_lshrrev_b32_e32 v3, 5, v17
	v_lshlrev_b32_e32 v4, 2, v32
	v_add_nc_u32_e32 v38, v1, v0
	v_lshlrev_b32_e32 v6, 2, v31
	v_add_nc_u32_e32 v37, v2, v0
	v_add_nc_u32_e32 v36, v3, v0
	ds_store_b32 v4, v5 offset:3072
	ds_store_b32 v6, v9 offset:4096
	v_lshlrev_b32_e32 v1, 2, v38
	v_lshlrev_b32_e32 v33, 3, v0
	v_lshrrev_b32_e32 v4, 2, v0
	s_cmp_eq_u64 s[34:35], s[24:25]
	v_lshlrev_b32_e32 v2, 2, v37
	v_lshlrev_b32_e32 v3, 2, v36
	s_cselect_b32 s9, 0, -4
	s_cselect_b32 s27, 0, -1
	s_add_u32 s34, s12, s9
	ds_store_b32 v1, v11 offset:5120
	ds_store_b32 v2, v14 offset:6144
	;; [unrolled: 1-line block ×3, first 2 shown]
	v_add_nc_u32_e32 v1, v4, v33
	s_addc_u32 s35, s13, s27
	s_waitcnt lgkmcnt(0)
	s_barrier
	buffer_gl0_inv
	s_load_b32 s27, s[34:35], 0x0
	v_lshlrev_b32_e32 v34, 2, v1
	ds_load_2addr_b32 v[3:4], v34 offset0:6 offset1:7
	ds_load_2addr_b32 v[19:20], v34 offset1:1
	ds_load_2addr_b32 v[7:8], v34 offset0:4 offset1:5
	ds_load_2addr_b32 v[15:16], v34 offset0:2 offset1:3
	s_waitcnt lgkmcnt(0)
	v_mov_b32_e32 v35, s27
	s_mov_b32 s27, exec_lo
	ds_store_b32 v29, v4 offset:8448
	s_waitcnt lgkmcnt(0)
	s_barrier
	buffer_gl0_inv
	v_cmpx_ne_u32_e32 0, v0
	s_cbranch_execz .LBB70_19
; %bb.18:
	ds_load_b32 v35, v29 offset:8444
.LBB70_19:
	s_or_b32 exec_lo, exec_lo, s27
	v_add_co_u32 v5, s9, s10, v33
	s_delay_alu instid0(VALU_DEP_1)
	v_add_co_ci_u32_e64 v6, null, s11, 0, s9
	s_waitcnt lgkmcnt(0)
	s_barrier
	buffer_gl0_inv
                                        ; implicit-def: $vgpr1_vgpr2
	s_and_saveexec_b32 s9, vcc_lo
	s_cbranch_execnz .LBB70_160
; %bb.20:
	s_or_b32 exec_lo, exec_lo, s9
                                        ; implicit-def: $vgpr9_vgpr10
	s_and_saveexec_b32 s9, s2
	s_cbranch_execnz .LBB70_161
.LBB70_21:
	s_or_b32 exec_lo, exec_lo, s9
                                        ; implicit-def: $vgpr11_vgpr12
	s_and_saveexec_b32 s2, s5
	s_cbranch_execnz .LBB70_162
.LBB70_22:
	s_or_b32 exec_lo, exec_lo, s2
                                        ; implicit-def: $vgpr13_vgpr14
	s_and_saveexec_b32 s2, s4
	s_cbranch_execnz .LBB70_163
.LBB70_23:
	s_or_b32 exec_lo, exec_lo, s2
                                        ; implicit-def: $vgpr17_vgpr18
	s_and_saveexec_b32 s2, s3
	s_cbranch_execnz .LBB70_164
.LBB70_24:
	s_or_b32 exec_lo, exec_lo, s2
                                        ; implicit-def: $vgpr21_vgpr22
	s_and_saveexec_b32 s2, s6
	s_cbranch_execnz .LBB70_165
.LBB70_25:
	s_or_b32 exec_lo, exec_lo, s2
                                        ; implicit-def: $vgpr23_vgpr24
	s_and_saveexec_b32 s2, s7
	s_cbranch_execnz .LBB70_166
.LBB70_26:
	s_or_b32 exec_lo, exec_lo, s2
                                        ; implicit-def: $vgpr25_vgpr26
	s_and_saveexec_b32 s2, s8
	s_cbranch_execz .LBB70_28
.LBB70_27:
	v_add_co_u32 v5, vcc_lo, 0x3000, v5
	v_add_co_ci_u32_e32 v6, vcc_lo, 0, v6, vcc_lo
	global_load_b64 v[25:26], v[5:6], off offset:2048
.LBB70_28:
	s_or_b32 exec_lo, exec_lo, s2
	v_lshlrev_b32_e32 v5, 3, v30
	v_lshlrev_b32_e32 v6, 3, v28
	v_dual_mov_b32 v50, 0 :: v_dual_lshlrev_b32 v27, 3, v27
	v_mov_b32_e32 v41, 0
	s_waitcnt vmcnt(0)
	ds_store_b64 v5, v[1:2]
	ds_store_b64 v6, v[9:10] offset:2048
	ds_store_b64 v27, v[11:12] offset:4096
	v_dual_mov_b32 v30, 0 :: v_dual_lshlrev_b32 v1, 3, v32
	v_dual_mov_b32 v31, 0 :: v_dual_lshlrev_b32 v2, 3, v31
	v_lshlrev_b32_e32 v5, 3, v38
	v_lshlrev_b32_e32 v6, 3, v37
	;; [unrolled: 1-line block ×3, first 2 shown]
	ds_store_b64 v1, v[13:14] offset:6144
	ds_store_b64 v2, v[17:18] offset:8192
	;; [unrolled: 1-line block ×5, first 2 shown]
	v_mov_b32_e32 v1, 0
	v_mov_b32_e32 v2, 0
	s_mov_b32 s3, 0
	s_mov_b32 s5, 0
	s_mov_b64 s[6:7], 0
	s_mov_b32 s8, exec_lo
	v_dual_mov_b32 v22, v2 :: v_dual_mov_b32 v21, v1
	v_dual_mov_b32 v14, v2 :: v_dual_mov_b32 v13, v1
	;; [unrolled: 1-line block ×3, first 2 shown]
	v_mov_b32_e32 v6, v2
	v_dual_mov_b32 v40, v2 :: v_dual_mov_b32 v5, v1
	v_dual_mov_b32 v10, v2 :: v_dual_mov_b32 v39, v1
	v_mov_b32_e32 v9, v1
	s_waitcnt lgkmcnt(0)
	s_barrier
	buffer_gl0_inv
                                        ; implicit-def: $sgpr4
                                        ; implicit-def: $vgpr32
                                        ; implicit-def: $vgpr27_vgpr28
	v_cmpx_gt_u32_e64 s23, v33
	s_cbranch_execz .LBB70_42
; %bb.29:
	v_add_nc_u32_e32 v25, v34, v34
	v_dual_mov_b32 v39, 0 :: v_dual_mov_b32 v50, 0
	v_mov_b32_e32 v40, 0
	v_or_b32_e32 v5, 1, v33
	ds_load_b64 v[1:2], v25
	v_cmp_ne_u32_e32 vcc_lo, v35, v19
	v_dual_mov_b32 v30, 0 :: v_dual_mov_b32 v21, v39
	v_dual_mov_b32 v22, v40 :: v_dual_mov_b32 v13, v39
	;; [unrolled: 1-line block ×3, first 2 shown]
	v_cndmask_b32_e64 v41, 0, 1, vcc_lo
	v_cmp_gt_u32_e32 vcc_lo, s23, v5
	v_dual_mov_b32 v18, v40 :: v_dual_mov_b32 v5, v39
	v_dual_mov_b32 v6, v40 :: v_dual_mov_b32 v31, 0
	;; [unrolled: 1-line block ×3, first 2 shown]
	s_mov_b32 s2, 0
                                        ; implicit-def: $sgpr4
                                        ; implicit-def: $vgpr32
                                        ; implicit-def: $vgpr27_vgpr28
	s_and_saveexec_b32 s9, vcc_lo
	s_cbranch_execz .LBB70_41
; %bb.30:
	ds_load_2addr_b64 v[9:12], v25 offset0:1 offset1:2
	v_dual_mov_b32 v39, 0 :: v_dual_mov_b32 v50, 0
	v_mov_b32_e32 v40, 0
	v_or_b32_e32 v5, 2, v33
	v_cmp_ne_u32_e32 vcc_lo, v19, v20
	s_delay_alu instid0(VALU_DEP_4) | instskip(NEXT) | instid1(VALU_DEP_4)
	v_dual_mov_b32 v30, 0 :: v_dual_mov_b32 v21, v39
	v_dual_mov_b32 v22, v40 :: v_dual_mov_b32 v13, v39
	;; [unrolled: 1-line block ×3, first 2 shown]
	v_cndmask_b32_e64 v31, 0, 1, vcc_lo
	v_cmp_gt_u32_e32 vcc_lo, s23, v5
	v_dual_mov_b32 v18, v40 :: v_dual_mov_b32 v5, v39
	v_mov_b32_e32 v6, v40
                                        ; implicit-def: $sgpr3
                                        ; implicit-def: $vgpr32
                                        ; implicit-def: $vgpr27_vgpr28
	s_and_saveexec_b32 s27, vcc_lo
	s_cbranch_execz .LBB70_40
; %bb.31:
	s_waitcnt lgkmcnt(0)
	v_dual_mov_b32 v39, 0 :: v_dual_mov_b32 v6, v12
	v_dual_mov_b32 v5, v11 :: v_dual_mov_b32 v40, 0
	v_cmp_ne_u32_e32 vcc_lo, v20, v15
	s_delay_alu instid0(VALU_DEP_3) | instskip(NEXT) | instid1(VALU_DEP_3)
	v_dual_mov_b32 v50, 0 :: v_dual_mov_b32 v21, v39
	v_dual_mov_b32 v13, v39 :: v_dual_mov_b32 v22, v40
	;; [unrolled: 1-line block ×3, first 2 shown]
	v_or_b32_e32 v11, 3, v33
	v_cndmask_b32_e64 v30, 0, 1, vcc_lo
	v_mov_b32_e32 v18, v40
	s_mov_b32 s33, exec_lo
                                        ; implicit-def: $sgpr3
                                        ; implicit-def: $vgpr32
                                        ; implicit-def: $vgpr27_vgpr28
	s_delay_alu instid0(VALU_DEP_3)
	v_cmpx_gt_u32_e64 s23, v11
	s_cbranch_execz .LBB70_39
; %bb.32:
	ds_load_2addr_b64 v[17:20], v25 offset0:3 offset1:4
	v_mov_b32_e32 v39, 0
	v_mov_b32_e32 v40, 0
	v_cmp_ne_u32_e64 s4, v15, v16
	v_cmp_ne_u32_e32 vcc_lo, v7, v8
	v_or_b32_e32 v11, 4, v33
	v_cmp_ne_u32_e64 s2, v8, v3
	v_cmp_ne_u32_e64 s3, v16, v7
	v_cndmask_b32_e64 v50, 0, 1, s4
	v_dual_mov_b32 v21, v39 :: v_dual_mov_b32 v22, v40
	v_dual_mov_b32 v13, v39 :: v_dual_mov_b32 v14, v40
	s_mov_b32 s35, 0
	s_mov_b32 s34, exec_lo
                                        ; implicit-def: $sgpr36
                                        ; implicit-def: $vgpr32
                                        ; implicit-def: $vgpr27_vgpr28
	v_cmpx_gt_u32_e64 s23, v11
	s_cbranch_execz .LBB70_38
; %bb.33:
	v_cndmask_b32_e64 v7, 0, 1, s3
	v_cndmask_b32_e64 v8, 0, 1, s2
	v_cndmask_b32_e64 v11, 0, 1, vcc_lo
	s_waitcnt lgkmcnt(0)
	v_dual_mov_b32 v13, v19 :: v_dual_mov_b32 v14, v20
	v_lshlrev_b16 v7, 8, v7
	v_lshlrev_b16 v8, 8, v8
	s_mov_b32 s2, 0
	s_mov_b32 s3, exec_lo
                                        ; implicit-def: $sgpr4
                                        ; implicit-def: $vgpr27_vgpr28
	v_mov_b32_e32 v39, 0
	v_or_b32_e32 v7, v50, v7
	v_or_b32_e32 v8, v11, v8
	;; [unrolled: 1-line block ×3, first 2 shown]
	v_mov_b32_e32 v40, 0
	v_mov_b32_e32 v21, v39
	v_and_b32_e32 v7, 0xffff, v7
	v_lshlrev_b32_e32 v8, 16, v8
	s_delay_alu instid0(VALU_DEP_4) | instskip(NEXT) | instid1(VALU_DEP_2)
	v_mov_b32_e32 v22, v40
	v_or_b32_e32 v32, v7, v8
	s_delay_alu instid0(VALU_DEP_1)
	v_and_b32_e32 v50, 0xffff, v32
	v_cmpx_gt_u32_e64 s23, v11
	s_cbranch_execz .LBB70_37
; %bb.34:
	ds_load_2addr_b64 v[21:24], v25 offset0:5 offset1:6
	v_dual_mov_b32 v39, 0 :: v_dual_and_b32 v50, 0xffffff, v32
	v_or_b32_e32 v7, 6, v33
	v_mov_b32_e32 v40, 0
	s_mov_b32 s35, exec_lo
                                        ; implicit-def: $sgpr4
                                        ; implicit-def: $vgpr27_vgpr28
	s_delay_alu instid0(VALU_DEP_2)
	v_cmpx_gt_u32_e64 s23, v7
	s_xor_b32 s35, exec_lo, s35
	s_cbranch_execz .LBB70_36
; %bb.35:
	ds_load_b64 v[27:28], v25 offset:56
	v_or_b32_e32 v7, 7, v33
	v_cmp_ne_u32_e32 vcc_lo, v3, v4
	s_waitcnt lgkmcnt(1)
	v_mov_b32_e32 v40, v24
	v_dual_mov_b32 v26, v24 :: v_dual_mov_b32 v25, v23
	v_cmp_gt_u32_e64 s2, s23, v7
	v_dual_mov_b32 v50, v32 :: v_dual_mov_b32 v39, v23
	s_and_b32 s4, vcc_lo, exec_lo
	s_delay_alu instid0(VALU_DEP_2)
	s_and_b32 s2, s2, exec_lo
.LBB70_36:
	s_or_b32 exec_lo, exec_lo, s35
	s_delay_alu instid0(SALU_CYCLE_1)
	s_and_b32 s4, s4, exec_lo
	s_and_b32 s2, s2, exec_lo
.LBB70_37:
	s_or_b32 exec_lo, exec_lo, s3
	s_waitcnt lgkmcnt(0)
	v_dual_mov_b32 v15, v21 :: v_dual_mov_b32 v16, v22
	v_dual_mov_b32 v7, v17 :: v_dual_mov_b32 v8, v18
	v_dual_mov_b32 v3, v9 :: v_dual_mov_b32 v4, v10
	s_and_b32 s36, s4, exec_lo
	s_and_b32 s35, s2, exec_lo
.LBB70_38:
	s_or_b32 exec_lo, exec_lo, s34
	s_delay_alu instid0(SALU_CYCLE_1)
	s_and_b32 s3, s36, exec_lo
	s_and_b32 s2, s35, exec_lo
.LBB70_39:
	s_or_b32 exec_lo, exec_lo, s33
	s_delay_alu instid0(SALU_CYCLE_1)
	s_and_b32 s3, s3, exec_lo
	s_and_b32 s2, s2, exec_lo
.LBB70_40:
	s_or_b32 exec_lo, exec_lo, s27
	s_delay_alu instid0(SALU_CYCLE_1)
	s_and_b32 s4, s3, exec_lo
	s_and_b32 s3, s2, exec_lo
.LBB70_41:
	s_or_b32 exec_lo, exec_lo, s9
	s_delay_alu instid0(SALU_CYCLE_1)
	s_and_b32 s4, s4, exec_lo
	s_and_b32 s3, s3, exec_lo
.LBB70_42:
	s_or_b32 exec_lo, exec_lo, s8
	s_mov_b32 s8, 0
	s_branch .LBB70_44
.LBB70_43:
	s_mov_b32 s5, -1
                                        ; implicit-def: $sgpr4
                                        ; implicit-def: $vgpr32
                                        ; implicit-def: $vgpr27_vgpr28
                                        ; implicit-def: $vgpr1_vgpr2
                                        ; implicit-def: $vgpr15_vgpr16
                                        ; implicit-def: $vgpr7_vgpr8
                                        ; implicit-def: $vgpr30
                                        ; implicit-def: $vgpr31
                                        ; implicit-def: $vgpr41
                                        ; implicit-def: $vgpr50
                                        ; implicit-def: $sgpr8
                                        ; implicit-def: $sgpr6_sgpr7
                                        ; implicit-def: $vgpr39_vgpr40
                                        ; implicit-def: $vgpr21_vgpr22
                                        ; implicit-def: $vgpr17_vgpr18
                                        ; implicit-def: $vgpr9_vgpr10
.LBB70_44:
	v_lshrrev_b32_e32 v47, 5, v0
	v_or_b32_e32 v49, 0x100, v0
	v_or_b32_e32 v48, 0x200, v0
	;; [unrolled: 1-line block ×7, first 2 shown]
	v_cmp_ne_u32_e64 s2, 0, v0
	s_and_b32 vcc_lo, exec_lo, s5
	s_cbranch_vccz .LBB70_48
; %bb.45:
	s_waitcnt lgkmcnt(0)
	v_add_co_u32 v1, s3, s12, v29
	s_delay_alu instid0(VALU_DEP_1) | instskip(SKIP_1) | instid1(VALU_DEP_3)
	v_add_co_ci_u32_e64 v2, null, s13, 0, s3
	v_lshrrev_b32_e32 v4, 5, v48
	v_add_co_u32 v1, vcc_lo, 0x1000, v1
	s_delay_alu instid0(VALU_DEP_3)
	v_add_co_ci_u32_e32 v2, vcc_lo, 0, v2, vcc_lo
	s_clause 0x7
	global_load_b32 v9, v29, s[12:13]
	global_load_b32 v10, v29, s[12:13] offset:1024
	global_load_b32 v11, v29, s[12:13] offset:2048
	;; [unrolled: 1-line block ×3, first 2 shown]
	global_load_b32 v17, v[1:2], off
	global_load_b32 v18, v[1:2], off offset:1024
	global_load_b32 v19, v[1:2], off offset:2048
	;; [unrolled: 1-line block ×3, first 2 shown]
	v_lshrrev_b32_e32 v2, 5, v49
	v_lshrrev_b32_e32 v5, 5, v46
	;; [unrolled: 1-line block ×3, first 2 shown]
	v_add_nc_u32_e32 v3, v47, v0
	v_lshrrev_b32_e32 v7, 5, v44
	v_lshrrev_b32_e32 v16, 5, v43
	;; [unrolled: 1-line block ×3, first 2 shown]
	s_sub_u32 s4, 0, s15
	s_subb_u32 s5, 0, 0
	v_add_nc_u32_e32 v15, v2, v0
	v_add_nc_u32_e32 v14, v4, v0
	v_lshrrev_b32_e32 v21, 2, v0
	s_cmp_eq_u64 s[4:5], s[24:25]
	v_add_nc_u32_e32 v13, v5, v0
	v_add_nc_u32_e32 v8, v6, v0
	v_lshlrev_b32_e32 v22, 2, v3
	v_add_nc_u32_e32 v7, v7, v0
	v_add_nc_u32_e32 v6, v16, v0
	;; [unrolled: 1-line block ×3, first 2 shown]
	s_cselect_b32 s3, 0, -4
	s_cselect_b32 s5, 0, -1
	v_lshlrev_b32_e32 v2, 2, v15
	s_add_u32 s4, s12, s3
	v_lshlrev_b32_e32 v20, 2, v14
	v_lshl_add_u32 v4, v0, 3, v21
	s_addc_u32 s5, s13, s5
	v_lshlrev_b32_e32 v21, 2, v13
	v_lshlrev_b32_e32 v23, 2, v8
	;; [unrolled: 1-line block ×6, first 2 shown]
	s_mov_b32 s3, -1
	s_waitcnt vmcnt(7)
	ds_store_b32 v22, v9
	s_waitcnt vmcnt(6)
	ds_store_b32 v2, v10 offset:1024
	s_waitcnt vmcnt(5)
	ds_store_b32 v20, v11 offset:2048
	;; [unrolled: 2-line block ×7, first 2 shown]
	s_waitcnt lgkmcnt(0)
	s_barrier
	buffer_gl0_inv
	s_load_b32 s4, s[4:5], 0x0
	ds_load_2addr_b32 v[11:12], v16 offset0:6 offset1:7
	ds_load_2addr_b32 v[9:10], v16 offset1:1
	ds_load_2addr_b32 v[1:2], v16 offset0:4 offset1:5
	ds_load_2addr_b32 v[17:18], v16 offset0:2 offset1:3
	s_waitcnt lgkmcnt(0)
	ds_store_b32 v29, v12 offset:8448
	s_waitcnt lgkmcnt(0)
	v_mov_b32_e32 v19, s4
	s_barrier
	buffer_gl0_inv
	s_and_saveexec_b32 s4, s2
	s_cbranch_execz .LBB70_47
; %bb.46:
	ds_load_b32 v19, v29 offset:8444
.LBB70_47:
	s_or_b32 exec_lo, exec_lo, s4
	v_lshlrev_b32_e32 v30, 3, v0
	s_waitcnt lgkmcnt(0)
	s_barrier
	buffer_gl0_inv
	v_lshlrev_b32_e32 v14, 3, v14
	v_add_co_u32 v26, s2, s10, v30
	s_delay_alu instid0(VALU_DEP_1) | instskip(SKIP_1) | instid1(VALU_DEP_3)
	v_add_co_ci_u32_e64 v27, null, s11, 0, s2
	v_lshlrev_b32_e32 v13, 3, v13
	v_add_co_u32 v20, vcc_lo, 0x1000, v26
	s_delay_alu instid0(VALU_DEP_3)
	v_add_co_ci_u32_e32 v21, vcc_lo, 0, v27, vcc_lo
	v_add_co_u32 v22, vcc_lo, v26, 0x2000
	v_add_co_ci_u32_e32 v23, vcc_lo, 0, v27, vcc_lo
	v_add_co_u32 v24, vcc_lo, 0x2000, v26
	;; [unrolled: 2-line block ×3, first 2 shown]
	v_add_co_ci_u32_e32 v27, vcc_lo, 0, v27, vcc_lo
	s_clause 0x7
	global_load_b64 v[28:29], v30, s[10:11]
	global_load_b64 v[30:31], v30, s[10:11] offset:2048
	global_load_b64 v[32:33], v[22:23], off offset:-4096
	global_load_b64 v[20:21], v[20:21], off offset:2048
	global_load_b64 v[22:23], v[22:23], off
	global_load_b64 v[24:25], v[24:25], off offset:2048
	global_load_b64 v[34:35], v[26:27], off
	global_load_b64 v[26:27], v[26:27], off offset:2048
	v_cmp_ne_u32_e32 vcc_lo, v18, v1
	v_lshlrev_b32_e32 v8, 3, v8
	v_lshlrev_b32_e32 v7, 3, v7
	;; [unrolled: 1-line block ×4, first 2 shown]
	v_cndmask_b32_e64 v36, 0, 1, vcc_lo
	v_cmp_ne_u32_e32 vcc_lo, v17, v18
	v_cmp_ne_u32_e64 s4, v11, v12
                                        ; implicit-def: $vgpr50
                                        ; implicit-def: $sgpr8
                                        ; implicit-def: $sgpr6_sgpr7
                                        ; implicit-def: $vgpr39_vgpr40
	v_cndmask_b32_e64 v18, 0, 1, vcc_lo
	v_cmp_ne_u32_e32 vcc_lo, v2, v11
	v_cndmask_b32_e64 v37, 0, 1, vcc_lo
	v_cmp_ne_u32_e32 vcc_lo, v1, v2
	v_lshlrev_b32_e32 v2, 3, v3
	v_lshlrev_b32_e32 v3, 3, v15
	v_lshlrev_b16 v15, 8, v36
	v_lshlrev_b16 v36, 8, v37
	v_cndmask_b32_e64 v1, 0, 1, vcc_lo
	v_lshl_add_u32 v37, v4, 2, v16
	v_cmp_ne_u32_e32 vcc_lo, v10, v17
	v_or_b32_e32 v18, v18, v15
	s_waitcnt vmcnt(7)
	ds_store_b64 v2, v[28:29]
	s_waitcnt vmcnt(6)
	ds_store_b64 v3, v[30:31] offset:2048
	s_waitcnt vmcnt(5)
	ds_store_b64 v14, v[32:33] offset:4096
	;; [unrolled: 2-line block ×7, first 2 shown]
	v_or_b32_e32 v36, v1, v36
	s_waitcnt lgkmcnt(0)
	s_barrier
	buffer_gl0_inv
	ds_load_2addr_b64 v[1:4], v37 offset1:1
	ds_load_2addr_b64 v[5:8], v37 offset0:2 offset1:3
	ds_load_2addr_b64 v[13:16], v37 offset0:4 offset1:5
	;; [unrolled: 1-line block ×3, first 2 shown]
	v_cndmask_b32_e64 v30, 0, 1, vcc_lo
	v_cmp_ne_u32_e32 vcc_lo, v9, v10
	v_and_b32_e32 v18, 0xffff, v18
	v_lshlrev_b32_e32 v20, 16, v36
                                        ; implicit-def: $vgpr21_vgpr22
	v_cndmask_b32_e64 v31, 0, 1, vcc_lo
	v_cmp_ne_u32_e32 vcc_lo, v19, v9
	s_delay_alu instid0(VALU_DEP_3)
	v_or_b32_e32 v32, v18, v20
                                        ; implicit-def: $vgpr17_vgpr18
                                        ; implicit-def: $vgpr9_vgpr10
	v_cndmask_b32_e64 v41, 0, 1, vcc_lo
.LBB70_48:
	s_waitcnt lgkmcnt(0)
	v_dual_mov_b32 v12, s7 :: v_dual_mov_b32 v11, s6
	v_mov_b32_e32 v19, s8
	s_and_saveexec_b32 s2, s3
; %bb.49:
	v_cndmask_b32_e64 v19, 0, 1, s4
	v_dual_mov_b32 v10, v4 :: v_dual_mov_b32 v9, v3
	v_dual_mov_b32 v18, v8 :: v_dual_mov_b32 v17, v7
	;; [unrolled: 1-line block ×5, first 2 shown]
	v_mov_b32_e32 v50, v32
; %bb.50:
	s_or_b32 exec_lo, exec_lo, s2
	v_and_b32_e32 v52, 1, v31
	v_and_b32_e32 v53, 1, v30
	;; [unrolled: 1-line block ×3, first 2 shown]
	v_lshrrev_b32_e32 v57, 16, v50
	v_and_b32_e32 v61, 0xff, v31
	v_cmp_eq_u32_e32 vcc_lo, 1, v52
	v_and_b32_e32 v60, 0xff, v30
	v_cmp_eq_u32_e64 s10, 1, v53
	v_and_b32_e32 v59, 0xff, v50
	v_lshrrev_b32_e32 v58, 8, v50
	v_lshrrev_b32_e32 v56, 24, v50
	v_and_b32_e32 v55, 0xff, v19
	v_cmp_eq_u32_e64 s8, 1, v54
	v_mbcnt_lo_u32_b32 v51, -1, 0
	s_cmp_lg_u32 s15, 0
	s_barrier
	buffer_gl0_inv
	s_cbranch_scc0 .LBB70_115
; %bb.51:
	v_cmp_eq_u16_e64 s5, 0, v61
	v_cmp_eq_u16_e64 s3, 0, v60
	v_and_b32_e32 v7, 0xff, v58
	v_and_b32_e32 v15, 0xff, v57
	;; [unrolled: 1-line block ×3, first 2 shown]
	v_cndmask_b32_e64 v4, 0, v1, s5
	v_cndmask_b32_e64 v3, 0, v2, s5
	v_and_b32_e32 v16, 0x10000, v50
	v_and_b32_e32 v8, 1, v50
	v_cmp_ne_u32_e64 s12, 0, v19
	v_add_co_u32 v4, s2, v4, v9
	s_delay_alu instid0(VALU_DEP_1) | instskip(SKIP_1) | instid1(VALU_DEP_3)
	v_add_co_ci_u32_e64 v3, s2, v3, v10, s2
	v_cmp_ne_u32_e64 s11, 0, v16
	v_cndmask_b32_e64 v4, 0, v4, s3
	s_or_b32 s12, s8, s12
	s_delay_alu instid0(VALU_DEP_3) | instskip(SKIP_3) | instid1(VALU_DEP_1)
	v_cndmask_b32_e64 v3, 0, v3, s3
	v_cmp_eq_u32_e64 s8, 1, v8
	s_or_b32 s11, s12, s11
	v_add_co_u32 v4, s2, v4, v5
	v_add_co_ci_u32_e64 v3, s2, v3, v6, s2
	v_cmp_eq_u16_e64 s2, 0, v59
	s_delay_alu instid0(VALU_DEP_1) | instskip(NEXT) | instid1(VALU_DEP_3)
	v_cndmask_b32_e64 v4, 0, v4, s2
	v_cndmask_b32_e64 v3, 0, v3, s2
	s_delay_alu instid0(VALU_DEP_2) | instskip(NEXT) | instid1(VALU_DEP_1)
	v_add_co_u32 v4, s4, v4, v17
	v_add_co_ci_u32_e64 v3, s4, v3, v18, s4
	v_cmp_eq_u16_e64 s4, 0, v7
	v_and_b32_e32 v7, 1, v41
	s_delay_alu instid0(VALU_DEP_2) | instskip(NEXT) | instid1(VALU_DEP_4)
	v_cndmask_b32_e64 v4, 0, v4, s4
	v_cndmask_b32_e64 v3, 0, v3, s4
	s_delay_alu instid0(VALU_DEP_2) | instskip(NEXT) | instid1(VALU_DEP_1)
	v_add_co_u32 v4, s6, v4, v13
	v_add_co_ci_u32_e64 v3, s6, v3, v14, s6
	v_cmp_eq_u16_e64 s6, 0, v15
	v_and_b32_e32 v15, 0x100, v50
	s_delay_alu instid0(VALU_DEP_2) | instskip(NEXT) | instid1(VALU_DEP_4)
	v_cndmask_b32_e64 v4, 0, v4, s6
	v_cndmask_b32_e64 v3, 0, v3, s6
	s_delay_alu instid0(VALU_DEP_3) | instskip(NEXT) | instid1(VALU_DEP_3)
	v_cmp_ne_u32_e64 s9, 0, v15
	v_add_co_u32 v4, s7, v4, v21
	s_delay_alu instid0(VALU_DEP_1) | instskip(SKIP_1) | instid1(VALU_DEP_4)
	v_add_co_ci_u32_e64 v3, s7, v3, v22, s7
	v_cmp_eq_u16_e64 s7, 0, v56
	s_or_b32 s11, s11, s9
	v_cmp_eq_u32_e64 s9, 1, v7
	s_or_b32 s11, s11, s8
	s_delay_alu instid0(VALU_DEP_2)
	v_cndmask_b32_e64 v4, 0, v4, s7
	v_cndmask_b32_e64 v3, 0, v3, s7
	s_or_b32 s10, s11, s10
	s_mov_b32 s11, exec_lo
	s_or_b32 s10, s10, vcc_lo
	v_add_co_u32 v4, s8, v4, v39
	s_delay_alu instid0(VALU_DEP_1) | instskip(SKIP_2) | instid1(SALU_CYCLE_1)
	v_add_co_ci_u32_e64 v3, s8, v3, v40, s8
	v_cmp_eq_u16_e64 s8, 0, v55
	s_or_b32 s10, s10, s9
	v_cndmask_b32_e64 v15, 0, 1, s10
	s_delay_alu instid0(VALU_DEP_2) | instskip(SKIP_2) | instid1(VALU_DEP_3)
	v_cndmask_b32_e64 v7, 0, v4, s8
	v_cndmask_b32_e64 v3, 0, v3, s8
	;; [unrolled: 1-line block ×3, first 2 shown]
	v_add_co_u32 v7, vcc_lo, v7, v11
	s_delay_alu instid0(VALU_DEP_3) | instskip(SKIP_1) | instid1(VALU_DEP_4)
	v_add_co_ci_u32_e32 v8, vcc_lo, v3, v12, vcc_lo
	v_and_b32_e32 v3, 15, v51
	v_mov_b32_dpp v20, v4 row_shr:1 row_mask:0xf bank_mask:0xf
	s_delay_alu instid0(VALU_DEP_4) | instskip(NEXT) | instid1(VALU_DEP_4)
	v_mov_b32_dpp v16, v7 row_shr:1 row_mask:0xf bank_mask:0xf
	v_mov_b32_dpp v19, v8 row_shr:1 row_mask:0xf bank_mask:0xf
	s_delay_alu instid0(VALU_DEP_4)
	v_cmpx_ne_u32_e32 0, v3
; %bb.52:
	s_delay_alu instid0(VALU_DEP_4) | instskip(NEXT) | instid1(VALU_DEP_4)
	v_and_b32_e32 v4, 1, v20
	v_cndmask_b32_e64 v16, v16, 0, s10
	s_delay_alu instid0(VALU_DEP_4) | instskip(NEXT) | instid1(VALU_DEP_3)
	v_cndmask_b32_e64 v19, v19, 0, s10
	v_or_b32_e32 v15, v4, v15
	s_delay_alu instid0(VALU_DEP_3) | instskip(NEXT) | instid1(VALU_DEP_3)
	v_add_co_u32 v7, vcc_lo, v16, v7
	v_add_co_ci_u32_e32 v8, vcc_lo, v19, v8, vcc_lo
	s_delay_alu instid0(VALU_DEP_3)
	v_and_b32_e32 v4, 0xffff, v15
; %bb.53:
	s_or_b32 exec_lo, exec_lo, s11
	s_delay_alu instid0(VALU_DEP_3) | instskip(NEXT) | instid1(VALU_DEP_3)
	v_mov_b32_dpp v16, v7 row_shr:2 row_mask:0xf bank_mask:0xf
	v_mov_b32_dpp v19, v8 row_shr:2 row_mask:0xf bank_mask:0xf
	s_delay_alu instid0(VALU_DEP_3)
	v_mov_b32_dpp v20, v4 row_shr:2 row_mask:0xf bank_mask:0xf
	s_mov_b32 s12, exec_lo
	v_cmpx_lt_u32_e32 1, v3
	s_cbranch_execz .LBB70_55
; %bb.54:
	s_delay_alu instid0(VALU_DEP_2) | instskip(SKIP_2) | instid1(VALU_DEP_3)
	v_and_b32_e32 v20, 1, v20
	v_cmp_eq_u16_e32 vcc_lo, 0, v15
	v_and_b32_e32 v4, 1, v15
	v_cmp_eq_u32_e64 s11, 1, v20
	v_cndmask_b32_e32 v15, 0, v16, vcc_lo
	s_delay_alu instid0(VALU_DEP_3) | instskip(SKIP_1) | instid1(VALU_DEP_3)
	v_cmp_eq_u32_e64 s10, 1, v4
	v_cndmask_b32_e32 v4, 0, v19, vcc_lo
	v_add_co_u32 v7, vcc_lo, v15, v7
	s_delay_alu instid0(VALU_DEP_3) | instskip(NEXT) | instid1(VALU_DEP_2)
	s_or_b32 s10, s10, s11
	v_add_co_ci_u32_e32 v8, vcc_lo, v4, v8, vcc_lo
	v_cndmask_b32_e64 v16, 0, 1, s10
	v_cndmask_b32_e64 v4, 0, 1, s10
	s_delay_alu instid0(VALU_DEP_2)
	v_mov_b32_e32 v15, v16
.LBB70_55:
	s_or_b32 exec_lo, exec_lo, s12
	v_mov_b32_dpp v16, v7 row_shr:4 row_mask:0xf bank_mask:0xf
	v_mov_b32_dpp v19, v8 row_shr:4 row_mask:0xf bank_mask:0xf
	;; [unrolled: 1-line block ×3, first 2 shown]
	s_mov_b32 s12, exec_lo
	v_cmpx_lt_u32_e32 3, v3
	s_cbranch_execz .LBB70_57
; %bb.56:
	s_delay_alu instid0(VALU_DEP_2) | instskip(SKIP_2) | instid1(VALU_DEP_3)
	v_and_b32_e32 v20, 1, v20
	v_cmp_eq_u16_e32 vcc_lo, 0, v15
	v_and_b32_e32 v4, 1, v15
	v_cmp_eq_u32_e64 s11, 1, v20
	v_cndmask_b32_e32 v15, 0, v16, vcc_lo
	s_delay_alu instid0(VALU_DEP_3) | instskip(SKIP_1) | instid1(VALU_DEP_3)
	v_cmp_eq_u32_e64 s10, 1, v4
	v_cndmask_b32_e32 v4, 0, v19, vcc_lo
	v_add_co_u32 v7, vcc_lo, v15, v7
	s_delay_alu instid0(VALU_DEP_3) | instskip(NEXT) | instid1(VALU_DEP_2)
	s_or_b32 s10, s10, s11
	v_add_co_ci_u32_e32 v8, vcc_lo, v4, v8, vcc_lo
	v_cndmask_b32_e64 v16, 0, 1, s10
	v_cndmask_b32_e64 v4, 0, 1, s10
	s_delay_alu instid0(VALU_DEP_2)
	v_mov_b32_e32 v15, v16
.LBB70_57:
	s_or_b32 exec_lo, exec_lo, s12
	v_mov_b32_dpp v16, v7 row_shr:8 row_mask:0xf bank_mask:0xf
	v_mov_b32_dpp v19, v8 row_shr:8 row_mask:0xf bank_mask:0xf
	v_mov_b32_dpp v20, v4 row_shr:8 row_mask:0xf bank_mask:0xf
	s_mov_b32 s12, exec_lo
	v_cmpx_lt_u32_e32 7, v3
	s_cbranch_execz .LBB70_59
; %bb.58:
	v_cmp_eq_u16_e32 vcc_lo, 0, v15
	v_and_b32_e32 v3, 1, v15
	v_and_b32_e32 v4, 1, v20
	s_delay_alu instid0(VALU_DEP_1) | instskip(SKIP_1) | instid1(VALU_DEP_4)
	v_cmp_eq_u32_e64 s11, 1, v4
	v_cndmask_b32_e32 v4, 0, v16, vcc_lo
	v_cmp_eq_u32_e64 s10, 1, v3
	v_cndmask_b32_e32 v3, 0, v19, vcc_lo
	s_delay_alu instid0(VALU_DEP_3) | instskip(NEXT) | instid1(VALU_DEP_3)
	v_add_co_u32 v7, vcc_lo, v4, v7
	s_or_b32 s10, s10, s11
	s_delay_alu instid0(VALU_DEP_2)
	v_add_co_ci_u32_e32 v8, vcc_lo, v3, v8, vcc_lo
	v_cndmask_b32_e64 v15, 0, 1, s10
	v_cndmask_b32_e64 v4, 0, 1, s10
.LBB70_59:
	s_or_b32 exec_lo, exec_lo, s12
	ds_swizzle_b32 v3, v7 offset:swizzle(BROADCAST,32,15)
	ds_swizzle_b32 v16, v8 offset:swizzle(BROADCAST,32,15)
	;; [unrolled: 1-line block ×3, first 2 shown]
	v_and_b32_e32 v19, 16, v51
	s_mov_b32 s12, exec_lo
	s_delay_alu instid0(VALU_DEP_1)
	v_cmpx_ne_u32_e32 0, v19
	s_cbranch_execz .LBB70_61
; %bb.60:
	v_cmp_eq_u16_e32 vcc_lo, 0, v15
	v_and_b32_e32 v19, 1, v15
	s_waitcnt lgkmcnt(0)
	v_dual_cndmask_b32 v3, 0, v3 :: v_dual_and_b32 v4, 1, v4
	s_delay_alu instid0(VALU_DEP_1) | instskip(SKIP_2) | instid1(VALU_DEP_4)
	v_cmp_eq_u32_e64 s11, 1, v4
	v_cndmask_b32_e32 v4, 0, v16, vcc_lo
	v_cmp_eq_u32_e64 s10, 1, v19
	v_add_co_u32 v7, vcc_lo, v3, v7
	s_delay_alu instid0(VALU_DEP_3) | instskip(NEXT) | instid1(VALU_DEP_3)
	v_add_co_ci_u32_e32 v8, vcc_lo, v4, v8, vcc_lo
	s_or_b32 s10, s10, s11
	s_delay_alu instid0(SALU_CYCLE_1)
	v_cndmask_b32_e64 v15, 0, 1, s10
.LBB70_61:
	s_or_b32 exec_lo, exec_lo, s12
	s_waitcnt lgkmcnt(2)
	v_or_b32_e32 v3, 31, v0
	s_mov_b32 s10, exec_lo
	s_delay_alu instid0(VALU_DEP_1)
	v_cmpx_eq_u32_e64 v3, v0
	s_cbranch_execz .LBB70_63
; %bb.62:
	v_lshlrev_b32_e32 v3, 4, v47
	ds_store_b64 v3, v[7:8]
	ds_store_b8 v3, v15 offset:8
.LBB70_63:
	s_or_b32 exec_lo, exec_lo, s10
	s_delay_alu instid0(SALU_CYCLE_1)
	s_mov_b32 s12, exec_lo
	s_waitcnt lgkmcnt(0)
	s_barrier
	buffer_gl0_inv
	v_cmpx_gt_u32_e32 8, v0
	s_cbranch_execz .LBB70_71
; %bb.64:
	v_lshlrev_b32_e32 v16, 4, v0
	s_mov_b32 s10, exec_lo
	ds_load_b64 v[3:4], v16
	ds_load_b32 v24, v16 offset:8
	v_and_b32_e32 v19, 7, v51
	s_waitcnt lgkmcnt(1)
	v_mov_b32_dpp v26, v3 row_shr:1 row_mask:0xf bank_mask:0xf
	s_waitcnt lgkmcnt(0)
	v_mov_b32_e32 v20, v24
	v_mov_b32_dpp v27, v4 row_shr:1 row_mask:0xf bank_mask:0xf
	v_and_b32_e32 v23, 0xffffff00, v24
	v_mov_b32_dpp v28, v24 row_shr:1 row_mask:0xf bank_mask:0xf
	v_mov_b32_e32 v25, v24
	v_cmpx_ne_u32_e32 0, v19
; %bb.65:
	v_and_b32_e32 v20, 0xff, v24
	s_delay_alu instid0(VALU_DEP_4) | instskip(NEXT) | instid1(VALU_DEP_2)
	v_or_b32_e32 v24, v28, v24
	v_cmp_eq_u16_e32 vcc_lo, 0, v20
	s_delay_alu instid0(VALU_DEP_2) | instskip(SKIP_2) | instid1(VALU_DEP_2)
	v_and_b32_e32 v20, 1, v24
	v_and_b32_e32 v25, 1, v24
	v_dual_cndmask_b32 v27, 0, v27 :: v_dual_cndmask_b32 v26, 0, v26
	v_or_b32_e32 v24, v25, v23
	s_delay_alu instid0(VALU_DEP_2) | instskip(NEXT) | instid1(VALU_DEP_3)
	v_add_co_u32 v3, vcc_lo, v26, v3
	v_add_co_ci_u32_e32 v4, vcc_lo, v27, v4, vcc_lo
; %bb.66:
	s_or_b32 exec_lo, exec_lo, s10
	s_delay_alu instid0(VALU_DEP_2) | instskip(NEXT) | instid1(VALU_DEP_2)
	v_mov_b32_dpp v26, v3 row_shr:2 row_mask:0xf bank_mask:0xf
	v_mov_b32_dpp v27, v4 row_shr:2 row_mask:0xf bank_mask:0xf
	v_mov_b32_dpp v28, v24 row_shr:2 row_mask:0xf bank_mask:0xf
	s_mov_b32 s13, exec_lo
	v_cmpx_lt_u32_e32 1, v19
	s_cbranch_execz .LBB70_68
; %bb.67:
	v_and_b32_e32 v20, 1, v25
	v_and_b32_e32 v24, 0xff, v25
	v_and_b32_e32 v25, 1, v28
	s_delay_alu instid0(VALU_DEP_3) | instskip(NEXT) | instid1(VALU_DEP_3)
	v_cmp_eq_u32_e32 vcc_lo, 1, v20
	v_cmp_eq_u16_e64 s10, 0, v24
	s_delay_alu instid0(VALU_DEP_3) | instskip(NEXT) | instid1(VALU_DEP_2)
	v_cmp_eq_u32_e64 s11, 1, v25
	v_cndmask_b32_e64 v24, 0, v27, s10
	v_cndmask_b32_e64 v25, 0, v26, s10
	s_delay_alu instid0(VALU_DEP_3) | instskip(NEXT) | instid1(SALU_CYCLE_1)
	s_or_b32 s10, vcc_lo, s11
	v_cndmask_b32_e64 v20, 0, 1, s10
	v_cndmask_b32_e64 v26, 0, 1, s10
	s_delay_alu instid0(VALU_DEP_3) | instskip(SKIP_1) | instid1(VALU_DEP_4)
	v_add_co_u32 v3, vcc_lo, v25, v3
	v_add_co_ci_u32_e32 v4, vcc_lo, v24, v4, vcc_lo
	v_mov_b32_e32 v25, v20
	s_delay_alu instid0(VALU_DEP_4)
	v_or_b32_e32 v24, v23, v26
.LBB70_68:
	s_or_b32 exec_lo, exec_lo, s13
	v_mov_b32_dpp v23, v3 row_shr:4 row_mask:0xf bank_mask:0xf
	v_mov_b32_dpp v26, v4 row_shr:4 row_mask:0xf bank_mask:0xf
	s_delay_alu instid0(VALU_DEP_3)
	v_mov_b32_dpp v24, v24 row_shr:4 row_mask:0xf bank_mask:0xf
	s_mov_b32 s13, exec_lo
	v_cmpx_lt_u32_e32 3, v19
; %bb.69:
	v_and_b32_e32 v19, 0xff, v25
	s_delay_alu instid0(VALU_DEP_1) | instskip(SKIP_3) | instid1(VALU_DEP_3)
	v_cmp_eq_u16_e32 vcc_lo, 0, v19
	v_and_b32_e32 v20, 1, v25
	v_dual_cndmask_b32 v23, 0, v23 :: v_dual_and_b32 v24, 1, v24
	v_cndmask_b32_e32 v19, 0, v26, vcc_lo
	v_cmp_eq_u32_e64 s10, 1, v20
	s_delay_alu instid0(VALU_DEP_3) | instskip(NEXT) | instid1(VALU_DEP_4)
	v_cmp_eq_u32_e64 s11, 1, v24
	v_add_co_u32 v3, vcc_lo, v23, v3
	s_delay_alu instid0(VALU_DEP_4) | instskip(NEXT) | instid1(VALU_DEP_3)
	v_add_co_ci_u32_e32 v4, vcc_lo, v19, v4, vcc_lo
	s_or_b32 s10, s10, s11
	s_delay_alu instid0(SALU_CYCLE_1)
	v_cndmask_b32_e64 v20, 0, 1, s10
; %bb.70:
	s_or_b32 exec_lo, exec_lo, s13
	ds_store_b64 v16, v[3:4]
	ds_store_b8 v16, v20 offset:8
.LBB70_71:
	s_or_b32 exec_lo, exec_lo, s12
	v_mov_b32_e32 v3, 0
	v_cmp_gt_u32_e32 vcc_lo, 32, v0
	v_dual_mov_b32 v4, 0 :: v_dual_mov_b32 v25, 0
	s_mov_b32 s11, exec_lo
	s_waitcnt lgkmcnt(0)
	s_barrier
	buffer_gl0_inv
	v_cmpx_lt_u32_e32 31, v0
	s_cbranch_execz .LBB70_73
; %bb.72:
	v_lshl_add_u32 v16, v47, 4, -16
	v_cmp_eq_u16_e64 s10, 0, v15
	ds_load_b64 v[3:4], v16
	ds_load_u8 v25, v16 offset:8
	s_waitcnt lgkmcnt(1)
	v_cndmask_b32_e64 v19, 0, v3, s10
	v_cndmask_b32_e64 v16, 0, v4, s10
	s_waitcnt lgkmcnt(0)
	v_or_b32_e32 v15, v15, v25
	s_delay_alu instid0(VALU_DEP_3) | instskip(NEXT) | instid1(VALU_DEP_1)
	v_add_co_u32 v7, s10, v7, v19
	v_add_co_ci_u32_e64 v8, s10, v8, v16, s10
	s_delay_alu instid0(VALU_DEP_3)
	v_and_b32_e32 v15, 1, v15
.LBB70_73:
	s_or_b32 exec_lo, exec_lo, s11
	v_add_nc_u32_e32 v16, -1, v51
	s_delay_alu instid0(VALU_DEP_2) | instskip(NEXT) | instid1(VALU_DEP_2)
	v_and_b32_e32 v15, 0xffff, v15
	v_cmp_gt_i32_e64 s10, 0, v16
	s_delay_alu instid0(VALU_DEP_1) | instskip(SKIP_1) | instid1(VALU_DEP_2)
	v_cndmask_b32_e64 v16, v16, v51, s10
	v_cmp_eq_u32_e64 s10, 0, v51
	v_lshlrev_b32_e32 v16, 2, v16
	ds_bpermute_b32 v26, v16, v7
	ds_bpermute_b32 v27, v16, v8
	;; [unrolled: 1-line block ×3, first 2 shown]
	s_and_saveexec_b32 s13, vcc_lo
	s_cbranch_execz .LBB70_112
; %bb.74:
	v_mov_b32_e32 v20, 0
	ds_load_b64 v[7:8], v20 offset:112
	ds_load_u8 v29, v20 offset:120
	s_and_saveexec_b32 s11, s10
	s_cbranch_execz .LBB70_76
; %bb.75:
	s_add_i32 s24, s15, 32
	s_mov_b32 s25, 0
	v_dual_mov_b32 v15, s24 :: v_dual_mov_b32 v16, 1
	s_lshl_b64 s[34:35], s[24:25], 4
	s_delay_alu instid0(SALU_CYCLE_1)
	s_add_u32 s24, s16, s34
	s_addc_u32 s25, s17, s35
	s_waitcnt lgkmcnt(1)
	global_store_b64 v20, v[7:8], s[24:25]
	s_waitcnt lgkmcnt(0)
	global_store_b8 v20, v29, s[24:25] offset:8
	s_waitcnt_vscnt null, 0x0
	buffer_gl1_inv
	buffer_gl0_inv
	global_store_b8 v15, v16, s[20:21]
.LBB70_76:
	s_or_b32 exec_lo, exec_lo, s11
	v_xad_u32 v15, v51, -1, s15
	s_mov_b32 s12, 0
	s_mov_b32 s11, exec_lo
	s_delay_alu instid0(VALU_DEP_1)
	v_add_nc_u32_e32 v19, 32, v15
	global_load_u8 v30, v19, s[20:21] glc
	s_waitcnt vmcnt(0)
	v_cmpx_eq_u16_e32 0, v30
	s_cbranch_execz .LBB70_80
; %bb.77:
	v_add_co_u32 v23, s23, s20, v19
	s_delay_alu instid0(VALU_DEP_1)
	v_add_co_ci_u32_e64 v24, null, s21, 0, s23
.LBB70_78:                              ; =>This Inner Loop Header: Depth=1
	global_load_u8 v30, v[23:24], off glc
	s_waitcnt vmcnt(0)
	v_cmp_ne_u16_e32 vcc_lo, 0, v30
	s_or_b32 s12, vcc_lo, s12
	s_delay_alu instid0(SALU_CYCLE_1)
	s_and_not1_b32 exec_lo, exec_lo, s12
	s_cbranch_execnz .LBB70_78
; %bb.79:
	s_or_b32 exec_lo, exec_lo, s12
.LBB70_80:
	s_delay_alu instid0(SALU_CYCLE_1)
	s_or_b32 exec_lo, exec_lo, s11
	v_dual_mov_b32 v16, s17 :: v_dual_mov_b32 v23, s16
	v_cmp_eq_u16_e32 vcc_lo, 1, v30
	v_lshlrev_b64 v[19:20], 4, v[19:20]
	s_waitcnt lgkmcnt(0)
	s_waitcnt_vscnt null, 0x0
	buffer_gl1_inv
	buffer_gl0_inv
	v_lshlrev_b32_e64 v32, v51, -1
	v_add_nc_u32_e32 v33, 1, v51
	v_cndmask_b32_e32 v23, s18, v23, vcc_lo
	v_cndmask_b32_e32 v16, s19, v16, vcc_lo
	s_mov_b32 s11, exec_lo
	s_delay_alu instid0(VALU_DEP_2) | instskip(NEXT) | instid1(VALU_DEP_2)
	v_add_co_u32 v19, vcc_lo, v23, v19
	v_add_co_ci_u32_e32 v20, vcc_lo, v16, v20, vcc_lo
	v_cmp_ne_u32_e32 vcc_lo, 31, v51
	s_clause 0x1
	global_load_u8 v66, v[19:20], off offset:8
	global_load_b64 v[23:24], v[19:20], off
	v_add_co_ci_u32_e32 v16, vcc_lo, 0, v51, vcc_lo
	v_cmp_eq_u16_e32 vcc_lo, 2, v30
	s_delay_alu instid0(VALU_DEP_2) | instskip(SKIP_1) | instid1(VALU_DEP_1)
	v_lshlrev_b32_e32 v31, 2, v16
	v_and_or_b32 v16, vcc_lo, v32, 0x80000000
	v_ctz_i32_b32_e32 v16, v16
	s_waitcnt vmcnt(1)
	v_and_b32_e32 v19, 1, v66
	s_waitcnt vmcnt(0)
	ds_bpermute_b32 v20, v31, v23
	ds_bpermute_b32 v34, v31, v24
	;; [unrolled: 1-line block ×3, first 2 shown]
	v_cmpx_le_u32_e64 v33, v16
	s_cbranch_execz .LBB70_82
; %bb.81:
	v_and_b32_e32 v19, 0xff, v66
	s_delay_alu instid0(VALU_DEP_1) | instskip(SKIP_3) | instid1(VALU_DEP_2)
	v_cmp_eq_u16_e32 vcc_lo, 0, v19
	s_waitcnt lgkmcnt(0)
	v_dual_cndmask_b32 v34, 0, v34 :: v_dual_and_b32 v19, 1, v35
	v_cndmask_b32_e32 v20, 0, v20, vcc_lo
	v_or_b32_e32 v66, v19, v66
	s_delay_alu instid0(VALU_DEP_2) | instskip(NEXT) | instid1(VALU_DEP_4)
	v_add_co_u32 v23, vcc_lo, v20, v23
	v_add_co_ci_u32_e32 v24, vcc_lo, v34, v24, vcc_lo
	s_delay_alu instid0(VALU_DEP_3)
	v_and_b32_e32 v19, 0xff, v66
.LBB70_82:
	s_or_b32 exec_lo, exec_lo, s11
	v_cmp_gt_u32_e32 vcc_lo, 30, v51
	s_waitcnt lgkmcnt(0)
	v_add_nc_u32_e32 v35, 2, v51
	s_mov_b32 s23, exec_lo
	v_cndmask_b32_e64 v20, 0, 1, vcc_lo
	s_delay_alu instid0(VALU_DEP_1) | instskip(NEXT) | instid1(VALU_DEP_1)
	v_lshlrev_b32_e32 v20, 1, v20
	v_add_lshl_u32 v34, v20, v51, 2
	ds_bpermute_b32 v20, v34, v23
	ds_bpermute_b32 v36, v34, v24
	ds_bpermute_b32 v37, v34, v19
	v_cmpx_le_u32_e64 v35, v16
	s_cbranch_execz .LBB70_84
; %bb.83:
	v_and_b32_e32 v19, 0xff, v66
	s_waitcnt lgkmcnt(0)
	v_and_b32_e32 v37, 1, v37
	s_delay_alu instid0(VALU_DEP_2) | instskip(SKIP_1) | instid1(VALU_DEP_3)
	v_cmp_eq_u16_e32 vcc_lo, 0, v19
	v_and_b32_e32 v38, 1, v66
	v_cmp_eq_u32_e64 s12, 1, v37
	v_cndmask_b32_e32 v19, 0, v36, vcc_lo
	s_delay_alu instid0(VALU_DEP_3) | instskip(SKIP_1) | instid1(VALU_DEP_2)
	v_cmp_eq_u32_e64 s11, 1, v38
	v_cndmask_b32_e32 v20, 0, v20, vcc_lo
	s_or_b32 s11, s11, s12
	s_delay_alu instid0(VALU_DEP_1)
	v_add_co_u32 v23, vcc_lo, v20, v23
	v_cndmask_b32_e64 v66, 0, 1, s11
	v_add_co_ci_u32_e32 v24, vcc_lo, v19, v24, vcc_lo
	v_cndmask_b32_e64 v19, 0, 1, s11
.LBB70_84:
	s_or_b32 exec_lo, exec_lo, s23
	v_cmp_gt_u32_e32 vcc_lo, 28, v51
	s_waitcnt lgkmcnt(0)
	v_add_nc_u32_e32 v37, 4, v51
	s_mov_b32 s23, exec_lo
	v_cndmask_b32_e64 v20, 0, 1, vcc_lo
	s_delay_alu instid0(VALU_DEP_1) | instskip(NEXT) | instid1(VALU_DEP_1)
	v_lshlrev_b32_e32 v20, 2, v20
	v_add_lshl_u32 v36, v20, v51, 2
	ds_bpermute_b32 v20, v36, v23
	ds_bpermute_b32 v38, v36, v24
	;; [unrolled: 1-line block ×3, first 2 shown]
	v_cmpx_le_u32_e64 v37, v16
	s_cbranch_execz .LBB70_86
; %bb.85:
	v_and_b32_e32 v19, 0xff, v66
	v_and_b32_e32 v63, 1, v66
	s_waitcnt lgkmcnt(0)
	v_and_b32_e32 v62, 1, v62
	s_delay_alu instid0(VALU_DEP_3) | instskip(NEXT) | instid1(VALU_DEP_3)
	v_cmp_eq_u16_e32 vcc_lo, 0, v19
	v_cmp_eq_u32_e64 s11, 1, v63
	s_delay_alu instid0(VALU_DEP_3) | instskip(SKIP_1) | instid1(VALU_DEP_2)
	v_cmp_eq_u32_e64 s12, 1, v62
	v_dual_cndmask_b32 v20, 0, v20 :: v_dual_cndmask_b32 v19, 0, v38
	s_or_b32 s11, s11, s12
	s_delay_alu instid0(SALU_CYCLE_1) | instskip(NEXT) | instid1(VALU_DEP_2)
	v_cndmask_b32_e64 v66, 0, 1, s11
	v_add_co_u32 v23, vcc_lo, v20, v23
	s_delay_alu instid0(VALU_DEP_3)
	v_add_co_ci_u32_e32 v24, vcc_lo, v19, v24, vcc_lo
	v_cndmask_b32_e64 v19, 0, 1, s11
.LBB70_86:
	s_or_b32 exec_lo, exec_lo, s23
	v_cmp_gt_u32_e32 vcc_lo, 24, v51
	s_waitcnt lgkmcnt(0)
	v_add_nc_u32_e32 v62, 8, v51
	s_mov_b32 s23, exec_lo
	v_cndmask_b32_e64 v20, 0, 1, vcc_lo
	s_delay_alu instid0(VALU_DEP_1) | instskip(NEXT) | instid1(VALU_DEP_1)
	v_lshlrev_b32_e32 v20, 3, v20
	v_add_lshl_u32 v38, v20, v51, 2
	ds_bpermute_b32 v20, v38, v23
	ds_bpermute_b32 v63, v38, v24
	;; [unrolled: 1-line block ×3, first 2 shown]
	v_cmpx_le_u32_e64 v62, v16
	s_cbranch_execz .LBB70_88
; %bb.87:
	v_and_b32_e32 v19, 0xff, v66
	v_and_b32_e32 v65, 1, v66
	s_delay_alu instid0(VALU_DEP_2) | instskip(SKIP_2) | instid1(VALU_DEP_3)
	v_cmp_eq_u16_e32 vcc_lo, 0, v19
	s_waitcnt lgkmcnt(0)
	v_and_b32_e32 v64, 1, v64
	v_cmp_eq_u32_e64 s11, 1, v65
	v_cndmask_b32_e32 v19, 0, v63, vcc_lo
	s_delay_alu instid0(VALU_DEP_3) | instskip(SKIP_1) | instid1(VALU_DEP_2)
	v_cmp_eq_u32_e64 s12, 1, v64
	v_cndmask_b32_e32 v20, 0, v20, vcc_lo
	s_or_b32 s11, s11, s12
	s_delay_alu instid0(VALU_DEP_1)
	v_add_co_u32 v23, vcc_lo, v20, v23
	v_cndmask_b32_e64 v66, 0, 1, s11
	v_add_co_ci_u32_e32 v24, vcc_lo, v19, v24, vcc_lo
	v_cndmask_b32_e64 v19, 0, 1, s11
.LBB70_88:
	s_or_b32 exec_lo, exec_lo, s23
	v_cmp_gt_u32_e32 vcc_lo, 16, v51
	v_add_nc_u32_e32 v65, 16, v51
	s_mov_b32 s23, exec_lo
	s_waitcnt lgkmcnt(2)
	v_cndmask_b32_e64 v20, 0, 1, vcc_lo
	s_delay_alu instid0(VALU_DEP_1) | instskip(SKIP_1) | instid1(VALU_DEP_1)
	v_lshlrev_b32_e32 v20, 4, v20
	s_waitcnt lgkmcnt(0)
	v_add_lshl_u32 v64, v20, v51, 2
	ds_bpermute_b32 v20, v64, v23
	ds_bpermute_b32 v63, v64, v24
	;; [unrolled: 1-line block ×3, first 2 shown]
	v_cmpx_le_u32_e64 v65, v16
	s_cbranch_execz .LBB70_90
; %bb.89:
	v_and_b32_e32 v16, 0xff, v66
	s_delay_alu instid0(VALU_DEP_1) | instskip(SKIP_4) | instid1(VALU_DEP_3)
	v_cmp_eq_u16_e32 vcc_lo, 0, v16
	v_and_b32_e32 v16, 1, v66
	s_waitcnt lgkmcnt(0)
	v_dual_cndmask_b32 v20, 0, v20 :: v_dual_and_b32 v19, 1, v19
	v_cndmask_b32_e32 v63, 0, v63, vcc_lo
	v_cmp_eq_u32_e32 vcc_lo, 1, v16
	s_delay_alu instid0(VALU_DEP_3) | instskip(NEXT) | instid1(VALU_DEP_4)
	v_cmp_eq_u32_e64 s11, 1, v19
	v_add_co_u32 v23, s12, v20, v23
	s_delay_alu instid0(VALU_DEP_1) | instskip(NEXT) | instid1(VALU_DEP_3)
	v_add_co_ci_u32_e64 v24, s12, v63, v24, s12
	s_or_b32 s11, vcc_lo, s11
	s_delay_alu instid0(SALU_CYCLE_1)
	v_cndmask_b32_e64 v66, 0, 1, s11
.LBB70_90:
	s_or_b32 exec_lo, exec_lo, s23
	v_mov_b32_e32 v16, 0
	s_branch .LBB70_92
.LBB70_91:                              ;   in Loop: Header=BB70_92 Depth=1
	s_or_b32 exec_lo, exec_lo, s24
	v_and_b32_e32 v66, 0xff, v63
	v_subrev_nc_u32_e32 v15, 32, v15
	s_delay_alu instid0(VALU_DEP_2) | instskip(SKIP_2) | instid1(VALU_DEP_2)
	v_cmp_eq_u16_e32 vcc_lo, 0, v66
	v_and_b32_e32 v66, 1, v63
	v_dual_cndmask_b32 v24, 0, v24 :: v_dual_cndmask_b32 v23, 0, v23
	v_cmp_eq_u32_e32 vcc_lo, 1, v66
	s_delay_alu instid0(VALU_DEP_2) | instskip(NEXT) | instid1(VALU_DEP_1)
	v_add_co_u32 v23, s11, v23, v19
	v_add_co_ci_u32_e64 v24, s11, v24, v20, s11
	s_or_b32 s11, vcc_lo, s23
	s_delay_alu instid0(SALU_CYCLE_1)
	v_cndmask_b32_e64 v66, 0, 1, s11
.LBB70_92:                              ; =>This Loop Header: Depth=1
                                        ;     Child Loop BB70_95 Depth 2
	s_waitcnt lgkmcnt(0)
	v_and_b32_e32 v19, 0xff, v30
	s_delay_alu instid0(VALU_DEP_2) | instskip(NEXT) | instid1(VALU_DEP_2)
	v_mov_b32_e32 v63, v66
	v_cmp_ne_u16_e32 vcc_lo, 2, v19
	v_cndmask_b32_e64 v19, 0, 1, vcc_lo
	;;#ASMSTART
	;;#ASMEND
	s_delay_alu instid0(VALU_DEP_1)
	v_cmp_ne_u32_e32 vcc_lo, 0, v19
	v_dual_mov_b32 v19, v23 :: v_dual_mov_b32 v20, v24
	s_cmp_lg_u32 vcc_lo, exec_lo
	s_cbranch_scc1 .LBB70_107
; %bb.93:                               ;   in Loop: Header=BB70_92 Depth=1
	global_load_u8 v30, v15, s[20:21] glc
	s_mov_b32 s11, exec_lo
	s_waitcnt vmcnt(0)
	v_cmpx_eq_u16_e32 0, v30
	s_cbranch_execz .LBB70_97
; %bb.94:                               ;   in Loop: Header=BB70_92 Depth=1
	v_add_co_u32 v23, s12, s20, v15
	s_delay_alu instid0(VALU_DEP_1)
	v_add_co_ci_u32_e64 v24, null, s21, 0, s12
	s_mov_b32 s12, 0
.LBB70_95:                              ;   Parent Loop BB70_92 Depth=1
                                        ; =>  This Inner Loop Header: Depth=2
	global_load_u8 v30, v[23:24], off glc
	s_waitcnt vmcnt(0)
	v_cmp_ne_u16_e32 vcc_lo, 0, v30
	s_or_b32 s12, vcc_lo, s12
	s_delay_alu instid0(SALU_CYCLE_1)
	s_and_not1_b32 exec_lo, exec_lo, s12
	s_cbranch_execnz .LBB70_95
; %bb.96:                               ;   in Loop: Header=BB70_92 Depth=1
	s_or_b32 exec_lo, exec_lo, s12
.LBB70_97:                              ;   in Loop: Header=BB70_92 Depth=1
	s_delay_alu instid0(SALU_CYCLE_1)
	s_or_b32 exec_lo, exec_lo, s11
	v_dual_mov_b32 v66, s17 :: v_dual_mov_b32 v67, s16
	v_cmp_eq_u16_e32 vcc_lo, 1, v30
	v_lshlrev_b64 v[23:24], 4, v[15:16]
	buffer_gl1_inv
	buffer_gl0_inv
	s_mov_b32 s12, exec_lo
	v_cndmask_b32_e32 v67, s18, v67, vcc_lo
	v_cndmask_b32_e32 v66, s19, v66, vcc_lo
	s_delay_alu instid0(VALU_DEP_2) | instskip(NEXT) | instid1(VALU_DEP_2)
	v_add_co_u32 v23, vcc_lo, v67, v23
	v_add_co_ci_u32_e32 v24, vcc_lo, v66, v24, vcc_lo
	v_cmp_eq_u16_e32 vcc_lo, 2, v30
	s_clause 0x1
	global_load_u8 v66, v[23:24], off offset:8
	global_load_b64 v[23:24], v[23:24], off
	v_and_or_b32 v67, vcc_lo, v32, 0x80000000
	s_delay_alu instid0(VALU_DEP_1)
	v_ctz_i32_b32_e32 v67, v67
	s_waitcnt vmcnt(1)
	v_and_b32_e32 v68, 1, v66
	s_waitcnt vmcnt(0)
	ds_bpermute_b32 v69, v31, v23
	ds_bpermute_b32 v70, v31, v24
	;; [unrolled: 1-line block ×3, first 2 shown]
	v_cmp_eq_u32_e64 s23, 1, v68
	v_cmpx_le_u32_e64 v33, v67
	s_cbranch_execz .LBB70_99
; %bb.98:                               ;   in Loop: Header=BB70_92 Depth=1
	s_waitcnt lgkmcnt(0)
	v_and_b32_e32 v68, 1, v71
	v_and_b32_e32 v71, 0xff, v66
	s_delay_alu instid0(VALU_DEP_1) | instskip(SKIP_1) | instid1(VALU_DEP_4)
	v_cmp_eq_u16_e32 vcc_lo, 0, v71
	v_cndmask_b32_e32 v69, 0, v69, vcc_lo
	v_or_b32_e32 v66, v68, v66
	v_cndmask_b32_e32 v70, 0, v70, vcc_lo
	s_delay_alu instid0(VALU_DEP_3) | instskip(NEXT) | instid1(VALU_DEP_3)
	v_add_co_u32 v23, s11, v69, v23
	v_and_b32_e32 v68, 1, v66
	s_delay_alu instid0(VALU_DEP_3) | instskip(SKIP_1) | instid1(VALU_DEP_2)
	v_add_co_ci_u32_e64 v24, s11, v70, v24, s11
	s_and_not1_b32 s11, s23, exec_lo
	v_cmp_eq_u32_e32 vcc_lo, 1, v68
	v_and_b32_e32 v68, 0xff, v66
	s_and_b32 s23, vcc_lo, exec_lo
	s_delay_alu instid0(SALU_CYCLE_1)
	s_or_b32 s23, s11, s23
.LBB70_99:                              ;   in Loop: Header=BB70_92 Depth=1
	s_or_b32 exec_lo, exec_lo, s12
	s_waitcnt lgkmcnt(2)
	ds_bpermute_b32 v69, v34, v23
	s_waitcnt lgkmcnt(2)
	ds_bpermute_b32 v70, v34, v24
	s_waitcnt lgkmcnt(2)
	ds_bpermute_b32 v71, v34, v68
	s_mov_b32 s24, exec_lo
	v_cmpx_le_u32_e64 v35, v67
	s_cbranch_execz .LBB70_101
; %bb.100:                              ;   in Loop: Header=BB70_92 Depth=1
	v_and_b32_e32 v68, 1, v66
	v_and_b32_e32 v66, 0xff, v66
	s_waitcnt lgkmcnt(0)
	v_and_b32_e32 v71, 1, v71
	s_delay_alu instid0(VALU_DEP_3) | instskip(NEXT) | instid1(VALU_DEP_3)
	v_cmp_eq_u32_e32 vcc_lo, 1, v68
	v_cmp_eq_u16_e64 s11, 0, v66
	s_delay_alu instid0(VALU_DEP_3) | instskip(NEXT) | instid1(VALU_DEP_2)
	v_cmp_eq_u32_e64 s12, 1, v71
	v_cndmask_b32_e64 v69, 0, v69, s11
	v_cndmask_b32_e64 v70, 0, v70, s11
	s_delay_alu instid0(VALU_DEP_3)
	s_or_b32 s11, vcc_lo, s12
	s_and_not1_b32 s12, s23, exec_lo
	v_cndmask_b32_e64 v66, 0, 1, s11
	v_add_co_u32 v23, vcc_lo, v69, v23
	v_cndmask_b32_e64 v68, 0, 1, s11
	v_add_co_ci_u32_e32 v24, vcc_lo, v70, v24, vcc_lo
	s_and_b32 s11, s11, exec_lo
	s_delay_alu instid0(SALU_CYCLE_1)
	s_or_b32 s23, s12, s11
.LBB70_101:                             ;   in Loop: Header=BB70_92 Depth=1
	s_or_b32 exec_lo, exec_lo, s24
	s_waitcnt lgkmcnt(2)
	ds_bpermute_b32 v69, v36, v23
	s_waitcnt lgkmcnt(2)
	ds_bpermute_b32 v70, v36, v24
	s_waitcnt lgkmcnt(2)
	ds_bpermute_b32 v71, v36, v68
	s_mov_b32 s24, exec_lo
	v_cmpx_le_u32_e64 v37, v67
	s_cbranch_execz .LBB70_103
; %bb.102:                              ;   in Loop: Header=BB70_92 Depth=1
	v_and_b32_e32 v68, 1, v66
	v_and_b32_e32 v66, 0xff, v66
	s_waitcnt lgkmcnt(0)
	v_and_b32_e32 v71, 1, v71
	s_delay_alu instid0(VALU_DEP_3) | instskip(NEXT) | instid1(VALU_DEP_3)
	v_cmp_eq_u32_e32 vcc_lo, 1, v68
	v_cmp_eq_u16_e64 s11, 0, v66
	s_delay_alu instid0(VALU_DEP_3) | instskip(NEXT) | instid1(VALU_DEP_2)
	v_cmp_eq_u32_e64 s12, 1, v71
	v_cndmask_b32_e64 v69, 0, v69, s11
	v_cndmask_b32_e64 v70, 0, v70, s11
	s_delay_alu instid0(VALU_DEP_3)
	s_or_b32 s11, vcc_lo, s12
	s_and_not1_b32 s12, s23, exec_lo
	v_cndmask_b32_e64 v66, 0, 1, s11
	v_add_co_u32 v23, vcc_lo, v69, v23
	v_cndmask_b32_e64 v68, 0, 1, s11
	v_add_co_ci_u32_e32 v24, vcc_lo, v70, v24, vcc_lo
	s_and_b32 s11, s11, exec_lo
	s_delay_alu instid0(SALU_CYCLE_1)
	s_or_b32 s23, s12, s11
.LBB70_103:                             ;   in Loop: Header=BB70_92 Depth=1
	s_or_b32 exec_lo, exec_lo, s24
	s_waitcnt lgkmcnt(2)
	ds_bpermute_b32 v69, v38, v23
	s_waitcnt lgkmcnt(2)
	ds_bpermute_b32 v70, v38, v24
	s_waitcnt lgkmcnt(2)
	ds_bpermute_b32 v71, v38, v68
	s_mov_b32 s24, exec_lo
	v_cmpx_le_u32_e64 v62, v67
	s_cbranch_execz .LBB70_105
; %bb.104:                              ;   in Loop: Header=BB70_92 Depth=1
	v_and_b32_e32 v68, 1, v66
	v_and_b32_e32 v66, 0xff, v66
	s_waitcnt lgkmcnt(0)
	v_and_b32_e32 v71, 1, v71
	s_delay_alu instid0(VALU_DEP_3) | instskip(NEXT) | instid1(VALU_DEP_3)
	v_cmp_eq_u32_e32 vcc_lo, 1, v68
	v_cmp_eq_u16_e64 s11, 0, v66
	s_delay_alu instid0(VALU_DEP_3) | instskip(NEXT) | instid1(VALU_DEP_2)
	v_cmp_eq_u32_e64 s12, 1, v71
	v_cndmask_b32_e64 v69, 0, v69, s11
	v_cndmask_b32_e64 v70, 0, v70, s11
	s_delay_alu instid0(VALU_DEP_3)
	s_or_b32 s11, vcc_lo, s12
	s_and_not1_b32 s12, s23, exec_lo
	v_cndmask_b32_e64 v66, 0, 1, s11
	v_add_co_u32 v23, vcc_lo, v69, v23
	v_cndmask_b32_e64 v68, 0, 1, s11
	v_add_co_ci_u32_e32 v24, vcc_lo, v70, v24, vcc_lo
	s_and_b32 s11, s11, exec_lo
	s_delay_alu instid0(SALU_CYCLE_1)
	s_or_b32 s23, s12, s11
.LBB70_105:                             ;   in Loop: Header=BB70_92 Depth=1
	s_or_b32 exec_lo, exec_lo, s24
	s_waitcnt lgkmcnt(2)
	ds_bpermute_b32 v69, v64, v23
	s_waitcnt lgkmcnt(2)
	ds_bpermute_b32 v70, v64, v24
	ds_bpermute_b32 v68, v64, v68
	s_mov_b32 s24, exec_lo
	v_cmpx_le_u32_e64 v65, v67
	s_cbranch_execz .LBB70_91
; %bb.106:                              ;   in Loop: Header=BB70_92 Depth=1
	v_and_b32_e32 v67, 0xff, v66
	s_waitcnt lgkmcnt(0)
	v_and_b32_e32 v68, 1, v68
	s_delay_alu instid0(VALU_DEP_2) | instskip(SKIP_1) | instid1(VALU_DEP_3)
	v_cmp_eq_u16_e32 vcc_lo, 0, v67
	v_and_b32_e32 v66, 1, v66
	v_cmp_eq_u32_e64 s12, 1, v68
	v_cndmask_b32_e32 v67, 0, v69, vcc_lo
	s_delay_alu instid0(VALU_DEP_3) | instskip(SKIP_1) | instid1(VALU_DEP_3)
	v_cmp_eq_u32_e64 s11, 1, v66
	v_cndmask_b32_e32 v66, 0, v70, vcc_lo
	v_add_co_u32 v23, vcc_lo, v67, v23
	s_delay_alu instid0(VALU_DEP_3) | instskip(NEXT) | instid1(VALU_DEP_2)
	s_or_b32 s11, s11, s12
	v_add_co_ci_u32_e32 v24, vcc_lo, v66, v24, vcc_lo
	s_and_not1_b32 s12, s23, exec_lo
	s_and_b32 s11, s11, exec_lo
	s_delay_alu instid0(SALU_CYCLE_1)
	s_or_b32 s23, s12, s11
	s_branch .LBB70_91
.LBB70_107:                             ;   in Loop: Header=BB70_92 Depth=1
                                        ; implicit-def: $vgpr66
                                        ; implicit-def: $vgpr23_vgpr24
                                        ; implicit-def: $vgpr30
	s_cbranch_execz .LBB70_92
; %bb.108:
	s_and_saveexec_b32 s11, s10
	s_cbranch_execz .LBB70_110
; %bb.109:
	v_dual_mov_b32 v16, 0 :: v_dual_and_b32 v15, 0xff, v29
	s_mov_b32 s17, 0
	s_add_i32 s16, s15, 32
	s_delay_alu instid0(SALU_CYCLE_1) | instskip(NEXT) | instid1(VALU_DEP_1)
	s_lshl_b64 s[24:25], s[16:17], 4
	v_cmp_eq_u16_e32 vcc_lo, 0, v15
	v_or_b32_e32 v15, v29, v63
	v_dual_mov_b32 v29, 2 :: v_dual_mov_b32 v30, s16
	s_add_u32 s16, s18, s24
	v_dual_cndmask_b32 v23, 0, v20 :: v_dual_cndmask_b32 v24, 0, v19
	s_delay_alu instid0(VALU_DEP_3) | instskip(SKIP_1) | instid1(VALU_DEP_2)
	v_and_b32_e32 v15, 1, v15
	s_addc_u32 s17, s19, s25
	v_add_co_u32 v7, vcc_lo, v24, v7
	s_delay_alu instid0(VALU_DEP_3)
	v_add_co_ci_u32_e32 v8, vcc_lo, v23, v8, vcc_lo
	s_clause 0x1
	global_store_b64 v16, v[7:8], s[16:17]
	global_store_b8 v16, v15, s[16:17] offset:8
	s_waitcnt lgkmcnt(0)
	s_waitcnt_vscnt null, 0x0
	buffer_gl1_inv
	buffer_gl0_inv
	global_store_b8 v30, v29, s[20:21]
.LBB70_110:
	s_or_b32 exec_lo, exec_lo, s11
	v_cmp_eq_u32_e32 vcc_lo, 0, v0
	s_and_b32 exec_lo, exec_lo, vcc_lo
	s_cbranch_execz .LBB70_112
; %bb.111:
	v_mov_b32_e32 v7, 0
	ds_store_b64 v7, v[19:20] offset:112
	ds_store_b8 v7, v63 offset:120
.LBB70_112:
	s_or_b32 exec_lo, exec_lo, s13
	v_dual_mov_b32 v7, 0 :: v_dual_mov_b32 v16, v2
	s_waitcnt lgkmcnt(0)
	s_waitcnt_vscnt null, 0x0
	s_barrier
	buffer_gl0_inv
	ds_load_b64 v[7:8], v7 offset:112
	v_mov_b32_e32 v19, v41
	v_mov_b32_e32 v15, v1
	s_mov_b32 s11, 0
	s_mov_b32 s12, exec_lo
	v_cmpx_ne_u32_e32 0, v0
	s_cbranch_execz .LBB70_114
; %bb.113:
	v_cndmask_b32_e64 v16, v28, v25, s10
	v_cndmask_b32_e64 v4, v27, v4, s10
	v_and_b32_e32 v15, 0xff, v41
	v_cndmask_b32_e64 v3, v26, v3, s10
	s_delay_alu instid0(VALU_DEP_2) | instskip(SKIP_1) | instid1(VALU_DEP_3)
	v_cmp_eq_u16_e32 vcc_lo, 0, v15
	v_and_b32_e32 v15, 1, v16
	v_dual_cndmask_b32 v4, 0, v4 :: v_dual_cndmask_b32 v3, 0, v3
	s_delay_alu instid0(VALU_DEP_2) | instskip(NEXT) | instid1(VALU_DEP_2)
	v_cmp_eq_u32_e32 vcc_lo, 1, v15
	v_add_co_u32 v15, s10, v3, v1
	s_or_b32 s9, s9, vcc_lo
	s_delay_alu instid0(VALU_DEP_3)
	v_add_co_ci_u32_e64 v16, s10, v4, v2, s10
	v_cndmask_b32_e64 v19, 0, 1, s9
.LBB70_114:
	s_or_b32 exec_lo, exec_lo, s12
	s_delay_alu instid0(VALU_DEP_1) | instskip(NEXT) | instid1(VALU_DEP_1)
	v_and_b32_e32 v3, 0xff, v19
	v_cmp_eq_u16_e32 vcc_lo, 0, v3
	s_waitcnt lgkmcnt(0)
	v_dual_cndmask_b32 v3, 0, v8 :: v_dual_cndmask_b32 v4, 0, v7
	s_delay_alu instid0(VALU_DEP_1) | instskip(NEXT) | instid1(VALU_DEP_2)
	v_add_co_u32 v19, vcc_lo, v4, v15
	v_add_co_ci_u32_e32 v20, vcc_lo, v3, v16, vcc_lo
	s_delay_alu instid0(VALU_DEP_2) | instskip(NEXT) | instid1(VALU_DEP_2)
	v_cndmask_b32_e64 v3, 0, v19, s5
	v_cndmask_b32_e64 v4, 0, v20, s5
	s_delay_alu instid0(VALU_DEP_2) | instskip(NEXT) | instid1(VALU_DEP_2)
	v_add_co_u32 v25, vcc_lo, v3, v9
	v_add_co_ci_u32_e32 v26, vcc_lo, v4, v10, vcc_lo
	s_delay_alu instid0(VALU_DEP_2) | instskip(NEXT) | instid1(VALU_DEP_2)
	v_cndmask_b32_e64 v3, 0, v25, s3
	v_cndmask_b32_e64 v4, 0, v26, s3
	s_delay_alu instid0(VALU_DEP_2) | instskip(NEXT) | instid1(VALU_DEP_2)
	;; [unrolled: 6-line block ×7, first 2 shown]
	v_add_co_u32 v15, vcc_lo, v15, v11
	v_add_co_ci_u32_e32 v16, vcc_lo, v16, v12, vcc_lo
	s_and_b32 vcc_lo, exec_lo, s11
	s_cbranch_vccnz .LBB70_116
	s_branch .LBB70_145
.LBB70_115:
                                        ; implicit-def: $vgpr19_vgpr20
                                        ; implicit-def: $vgpr15_vgpr16
                                        ; implicit-def: $vgpr7_vgpr8
                                        ; implicit-def: $vgpr3_vgpr4
                                        ; implicit-def: $vgpr35_vgpr36_vgpr37_vgpr38
                                        ; implicit-def: $vgpr31_vgpr32_vgpr33_vgpr34
                                        ; implicit-def: $vgpr27_vgpr28_vgpr29_vgpr30
                                        ; implicit-def: $vgpr23_vgpr24_vgpr25_vgpr26
	s_cbranch_execz .LBB70_145
.LBB70_116:
	v_cmp_eq_u32_e32 vcc_lo, 0, v0
	s_cmp_lg_u64 s[30:31], 0
	v_cmp_ne_u32_e64 s2, 0, v0
	s_cselect_b32 s3, -1, 0
	s_delay_alu instid0(SALU_CYCLE_1) | instskip(NEXT) | instid1(SALU_CYCLE_1)
	s_and_b32 s3, vcc_lo, s3
	s_and_saveexec_b32 s4, s3
	s_cbranch_execz .LBB70_118
; %bb.117:
	v_dual_mov_b32 v3, 0 :: v_dual_and_b32 v4, 0xff, v41
	s_load_b64 s[6:7], s[30:31], 0x0
	global_load_u8 v3, v3, s[30:31] offset:8
	v_cmp_eq_u16_e64 s3, 0, v4
	s_waitcnt lgkmcnt(0)
	s_delay_alu instid0(VALU_DEP_1) | instskip(SKIP_1) | instid1(VALU_DEP_2)
	v_cndmask_b32_e64 v7, 0, s6, s3
	v_cndmask_b32_e64 v4, 0, s7, s3
	v_add_co_u32 v1, s3, v7, v1
	s_delay_alu instid0(VALU_DEP_1) | instskip(SKIP_2) | instid1(VALU_DEP_1)
	v_add_co_ci_u32_e64 v2, s3, v4, v2, s3
	s_waitcnt vmcnt(0)
	v_or_b32_e32 v3, v41, v3
	v_and_b32_e32 v41, 1, v3
.LBB70_118:
	s_or_b32 exec_lo, exec_lo, s4
	v_cmp_eq_u16_e64 s3, 0, v61
	v_and_b32_e32 v15, 0xff, v58
	v_lshrrev_b32_e32 v8, 23, v50
	v_and_b32_e32 v16, 1, v57
	v_and_b32_e32 v23, 0xff, v57
	v_cndmask_b32_e64 v4, 0, v1, s3
	v_cndmask_b32_e64 v3, 0, v2, s3
	v_and_b32_e32 v8, 2, v8
	v_and_b32_e32 v7, 1, v50
	v_cmp_eq_u32_e64 s9, 1, v54
	v_add_co_u32 v25, s4, v4, v9
	s_delay_alu instid0(VALU_DEP_1)
	v_add_co_ci_u32_e64 v26, s4, v3, v10, s4
	v_cmp_eq_u16_e64 s4, 0, v60
	v_or_b32_e32 v8, v16, v8
	v_cmp_eq_u32_e64 s12, 1, v53
	v_cmp_eq_u32_e64 s11, 1, v52
	v_and_b32_e32 v30, 15, v51
	v_cndmask_b32_e64 v4, 0, v25, s4
	v_cndmask_b32_e64 v3, 0, v26, s4
	v_lshlrev_b16 v8, 2, v8
	s_delay_alu instid0(VALU_DEP_3) | instskip(NEXT) | instid1(VALU_DEP_1)
	v_add_co_u32 v27, s5, v4, v5
	v_add_co_ci_u32_e64 v28, s5, v3, v6, s5
	v_cmp_eq_u16_e64 s5, 0, v59
	s_delay_alu instid0(VALU_DEP_1) | instskip(NEXT) | instid1(VALU_DEP_3)
	v_cndmask_b32_e64 v3, 0, v27, s5
	v_cndmask_b32_e64 v4, 0, v28, s5
	s_delay_alu instid0(VALU_DEP_2) | instskip(NEXT) | instid1(VALU_DEP_1)
	v_add_co_u32 v3, s6, v3, v17
	v_add_co_ci_u32_e64 v4, s6, v4, v18, s6
	v_cmp_eq_u16_e64 s6, 0, v15
	v_lshrrev_b16 v15, 7, v50
	s_delay_alu instid0(VALU_DEP_2) | instskip(NEXT) | instid1(VALU_DEP_4)
	v_cndmask_b32_e64 v20, 0, v3, s6
	v_cndmask_b32_e64 v19, 0, v4, s6
	s_delay_alu instid0(VALU_DEP_3) | instskip(NEXT) | instid1(VALU_DEP_3)
	v_and_b32_e32 v15, 2, v15
	v_add_co_u32 v31, s7, v20, v13
	s_delay_alu instid0(VALU_DEP_1) | instskip(SKIP_1) | instid1(VALU_DEP_4)
	v_add_co_ci_u32_e64 v32, s7, v19, v14, s7
	v_cmp_eq_u16_e64 s7, 0, v23
	v_or_b32_e32 v7, v7, v15
	s_delay_alu instid0(VALU_DEP_2) | instskip(NEXT) | instid1(VALU_DEP_4)
	v_cndmask_b32_e64 v16, 0, v31, s7
	v_cndmask_b32_e64 v15, 0, v32, s7
	s_delay_alu instid0(VALU_DEP_3) | instskip(NEXT) | instid1(VALU_DEP_3)
	v_or_b32_e32 v19, v7, v8
	v_add_co_u32 v7, s8, v16, v21
	s_delay_alu instid0(VALU_DEP_1) | instskip(SKIP_1) | instid1(VALU_DEP_4)
	v_add_co_ci_u32_e64 v8, s8, v15, v22, s8
	v_cmp_eq_u16_e64 s8, 0, v56
	v_cmp_ne_u16_e64 s10, 0, v19
	v_and_b32_e32 v15, 1, v41
	s_delay_alu instid0(VALU_DEP_3) | instskip(SKIP_1) | instid1(VALU_DEP_4)
	v_cndmask_b32_e64 v19, 0, v7, s8
	v_cndmask_b32_e64 v16, 0, v8, s8
	s_or_b32 s10, s10, s9
	s_delay_alu instid0(SALU_CYCLE_1) | instskip(NEXT) | instid1(VALU_DEP_2)
	s_or_b32 s12, s10, s12
	v_add_co_u32 v35, s9, v19, v39
	s_delay_alu instid0(VALU_DEP_1) | instskip(SKIP_4) | instid1(VALU_DEP_2)
	v_add_co_ci_u32_e64 v36, s9, v16, v40, s9
	v_cmp_eq_u16_e64 s9, 0, v55
	v_cmp_eq_u32_e64 s10, 1, v15
	s_or_b32 s11, s12, s11
	s_mov_b32 s12, exec_lo
	v_cndmask_b32_e64 v15, 0, v35, s9
	v_cndmask_b32_e64 v16, 0, v36, s9
	s_or_b32 s11, s11, s10
	s_delay_alu instid0(SALU_CYCLE_1) | instskip(NEXT) | instid1(VALU_DEP_3)
	v_cndmask_b32_e64 v33, 0, 1, s11
	v_add_co_u32 v15, s10, v15, v11
	s_delay_alu instid0(VALU_DEP_1) | instskip(SKIP_1) | instid1(VALU_DEP_3)
	v_add_co_ci_u32_e64 v16, s10, v16, v12, s10
	v_cndmask_b32_e64 v29, 0, 1, s11
	v_mov_b32_dpp v34, v15 row_shr:1 row_mask:0xf bank_mask:0xf
	v_mov_b32_dpp v38, v33 row_shr:1 row_mask:0xf bank_mask:0xf
	s_delay_alu instid0(VALU_DEP_4)
	v_mov_b32_e32 v20, v16
	v_mov_b32_e32 v24, v16
	v_mov_b32_dpp v37, v16 row_shr:1 row_mask:0xf bank_mask:0xf
	v_mov_b32_e32 v19, v15
	v_mov_b32_e32 v23, v15
	v_cmpx_ne_u32_e32 0, v30
; %bb.119:
	v_and_b32_e32 v19, 1, v38
	v_cndmask_b32_e64 v20, v34, 0, s11
	v_cndmask_b32_e64 v23, v37, 0, s11
	s_delay_alu instid0(VALU_DEP_3) | instskip(NEXT) | instid1(VALU_DEP_3)
	v_or_b32_e32 v29, v19, v29
	v_add_co_u32 v19, s10, v15, v20
	s_delay_alu instid0(VALU_DEP_1) | instskip(NEXT) | instid1(VALU_DEP_1)
	v_add_co_ci_u32_e64 v20, s10, v16, v23, s10
	v_dual_mov_b32 v24, v20 :: v_dual_and_b32 v33, 0xffff, v29
	s_delay_alu instid0(VALU_DEP_3)
	v_mov_b32_e32 v23, v19
; %bb.120:
	s_or_b32 exec_lo, exec_lo, s12
	v_mov_b32_dpp v34, v19 row_shr:2 row_mask:0xf bank_mask:0xf
	v_mov_b32_dpp v37, v20 row_shr:2 row_mask:0xf bank_mask:0xf
	;; [unrolled: 1-line block ×3, first 2 shown]
	s_mov_b32 s13, exec_lo
	v_cmpx_lt_u32_e32 1, v30
	s_cbranch_execz .LBB70_122
; %bb.121:
	v_and_b32_e32 v19, 1, v29
	v_cmp_eq_u16_e64 s10, 0, v29
	v_and_b32_e32 v20, 1, v38
	s_delay_alu instid0(VALU_DEP_3) | instskip(NEXT) | instid1(VALU_DEP_3)
	v_cmp_eq_u32_e64 s11, 1, v19
	v_cndmask_b32_e64 v19, 0, v34, s10
	s_delay_alu instid0(VALU_DEP_3) | instskip(SKIP_1) | instid1(VALU_DEP_3)
	v_cmp_eq_u32_e64 s12, 1, v20
	v_cndmask_b32_e64 v20, 0, v37, s10
	v_add_co_u32 v19, s10, v19, v23
	s_delay_alu instid0(VALU_DEP_1) | instskip(NEXT) | instid1(VALU_DEP_4)
	v_add_co_ci_u32_e64 v20, s10, v20, v24, s10
	s_or_b32 s11, s11, s12
	s_delay_alu instid0(SALU_CYCLE_1) | instskip(SKIP_1) | instid1(VALU_DEP_3)
	v_cndmask_b32_e64 v29, 0, 1, s11
	v_cndmask_b32_e64 v33, 0, 1, s11
	v_dual_mov_b32 v24, v20 :: v_dual_mov_b32 v23, v19
.LBB70_122:
	s_or_b32 exec_lo, exec_lo, s13
	v_mov_b32_dpp v34, v19 row_shr:4 row_mask:0xf bank_mask:0xf
	v_mov_b32_dpp v37, v20 row_shr:4 row_mask:0xf bank_mask:0xf
	;; [unrolled: 1-line block ×3, first 2 shown]
	s_mov_b32 s13, exec_lo
	v_cmpx_lt_u32_e32 3, v30
	s_cbranch_execz .LBB70_124
; %bb.123:
	v_and_b32_e32 v19, 1, v29
	v_cmp_eq_u16_e64 s10, 0, v29
	v_and_b32_e32 v20, 1, v38
	s_delay_alu instid0(VALU_DEP_3) | instskip(NEXT) | instid1(VALU_DEP_3)
	v_cmp_eq_u32_e64 s11, 1, v19
	v_cndmask_b32_e64 v19, 0, v34, s10
	s_delay_alu instid0(VALU_DEP_3) | instskip(SKIP_1) | instid1(VALU_DEP_3)
	v_cmp_eq_u32_e64 s12, 1, v20
	v_cndmask_b32_e64 v20, 0, v37, s10
	v_add_co_u32 v19, s10, v19, v23
	s_delay_alu instid0(VALU_DEP_1) | instskip(NEXT) | instid1(VALU_DEP_4)
	v_add_co_ci_u32_e64 v20, s10, v20, v24, s10
	s_or_b32 s11, s11, s12
	s_delay_alu instid0(SALU_CYCLE_1) | instskip(SKIP_1) | instid1(VALU_DEP_3)
	v_cndmask_b32_e64 v29, 0, 1, s11
	v_cndmask_b32_e64 v33, 0, 1, s11
	v_dual_mov_b32 v24, v20 :: v_dual_mov_b32 v23, v19
.LBB70_124:
	s_or_b32 exec_lo, exec_lo, s13
	v_mov_b32_dpp v34, v19 row_shr:8 row_mask:0xf bank_mask:0xf
	v_mov_b32_dpp v37, v20 row_shr:8 row_mask:0xf bank_mask:0xf
	;; [unrolled: 1-line block ×3, first 2 shown]
	s_mov_b32 s13, exec_lo
	v_cmpx_lt_u32_e32 7, v30
	s_cbranch_execz .LBB70_126
; %bb.125:
	s_delay_alu instid0(VALU_DEP_2) | instskip(SKIP_2) | instid1(VALU_DEP_3)
	v_and_b32_e32 v20, 1, v38
	v_cmp_eq_u16_e64 s10, 0, v29
	v_and_b32_e32 v19, 1, v29
	v_cmp_eq_u32_e64 s12, 1, v20
	s_delay_alu instid0(VALU_DEP_3) | instskip(NEXT) | instid1(VALU_DEP_3)
	v_cndmask_b32_e64 v20, 0, v34, s10
	v_cmp_eq_u32_e64 s11, 1, v19
	v_cndmask_b32_e64 v19, 0, v37, s10
	s_delay_alu instid0(VALU_DEP_3) | instskip(NEXT) | instid1(VALU_DEP_1)
	v_add_co_u32 v23, s10, v20, v23
	v_add_co_ci_u32_e64 v24, s10, v19, v24, s10
	s_delay_alu instid0(VALU_DEP_4) | instskip(NEXT) | instid1(VALU_DEP_2)
	s_or_b32 s11, s11, s12
	v_mov_b32_e32 v19, v23
	v_cndmask_b32_e64 v29, 0, 1, s11
	s_delay_alu instid0(VALU_DEP_3)
	v_mov_b32_e32 v20, v24
	v_cndmask_b32_e64 v33, 0, 1, s11
.LBB70_126:
	s_or_b32 exec_lo, exec_lo, s13
	ds_swizzle_b32 v30, v19 offset:swizzle(BROADCAST,32,15)
	ds_swizzle_b32 v34, v20 offset:swizzle(BROADCAST,32,15)
	;; [unrolled: 1-line block ×3, first 2 shown]
	v_and_b32_e32 v37, 16, v51
	s_mov_b32 s13, exec_lo
	s_delay_alu instid0(VALU_DEP_1)
	v_cmpx_ne_u32_e32 0, v37
	s_cbranch_execz .LBB70_128
; %bb.127:
	v_and_b32_e32 v19, 1, v29
	s_waitcnt lgkmcnt(0)
	v_and_b32_e32 v20, 1, v33
	v_cmp_eq_u16_e64 s10, 0, v29
	s_delay_alu instid0(VALU_DEP_3) | instskip(NEXT) | instid1(VALU_DEP_3)
	v_cmp_eq_u32_e64 s11, 1, v19
	v_cmp_eq_u32_e64 s12, 1, v20
	s_delay_alu instid0(VALU_DEP_3) | instskip(SKIP_1) | instid1(VALU_DEP_3)
	v_cndmask_b32_e64 v19, 0, v30, s10
	v_cndmask_b32_e64 v20, 0, v34, s10
	s_or_b32 s10, s11, s12
	s_delay_alu instid0(SALU_CYCLE_1) | instskip(NEXT) | instid1(VALU_DEP_3)
	v_cndmask_b32_e64 v29, 0, 1, s10
	v_add_co_u32 v19, s10, v19, v23
	s_delay_alu instid0(VALU_DEP_1) | instskip(NEXT) | instid1(VALU_DEP_1)
	v_add_co_ci_u32_e64 v20, s10, v20, v24, s10
	v_dual_mov_b32 v24, v20 :: v_dual_mov_b32 v23, v19
.LBB70_128:
	s_or_b32 exec_lo, exec_lo, s13
	s_waitcnt lgkmcnt(2)
	v_or_b32_e32 v30, 31, v0
	s_mov_b32 s11, exec_lo
	s_delay_alu instid0(VALU_DEP_1)
	v_cmpx_eq_u32_e64 v30, v0
	s_cbranch_execz .LBB70_130
; %bb.129:
	v_lshlrev_b32_e32 v30, 4, v47
	ds_store_b64 v30, v[23:24]
	ds_store_b8 v30, v29 offset:8
.LBB70_130:
	s_or_b32 exec_lo, exec_lo, s11
	s_delay_alu instid0(SALU_CYCLE_1)
	s_mov_b32 s13, exec_lo
	s_waitcnt lgkmcnt(0)
	s_barrier
	buffer_gl0_inv
	v_cmpx_gt_u32_e32 8, v0
	s_cbranch_execz .LBB70_138
; %bb.131:
	v_lshlrev_b32_e32 v30, 4, v0
	s_mov_b32 s11, exec_lo
	ds_load_b64 v[23:24], v30
	ds_load_b32 v38, v30 offset:8
	v_and_b32_e32 v33, 7, v51
	s_waitcnt lgkmcnt(1)
	v_mov_b32_dpp v52, v23 row_shr:1 row_mask:0xf bank_mask:0xf
	s_waitcnt lgkmcnt(0)
	v_mov_b32_e32 v34, v38
	v_mov_b32_dpp v53, v24 row_shr:1 row_mask:0xf bank_mask:0xf
	v_dual_mov_b32 v50, v38 :: v_dual_and_b32 v37, 0xffffff00, v38
	v_mov_b32_dpp v54, v38 row_shr:1 row_mask:0xf bank_mask:0xf
	v_cmpx_ne_u32_e32 0, v33
; %bb.132:
	v_and_b32_e32 v34, 0xff, v38
	s_delay_alu instid0(VALU_DEP_3) | instskip(NEXT) | instid1(VALU_DEP_2)
	v_or_b32_e32 v38, v54, v38
	v_cmp_eq_u16_e64 s10, 0, v34
	s_delay_alu instid0(VALU_DEP_2) | instskip(SKIP_1) | instid1(VALU_DEP_3)
	v_and_b32_e32 v50, 1, v38
	v_and_b32_e32 v34, 1, v38
	v_cndmask_b32_e64 v52, 0, v52, s10
	v_cndmask_b32_e64 v53, 0, v53, s10
	s_delay_alu instid0(VALU_DEP_4) | instskip(NEXT) | instid1(VALU_DEP_3)
	v_or_b32_e32 v38, v50, v37
	v_add_co_u32 v23, s10, v52, v23
	s_delay_alu instid0(VALU_DEP_1)
	v_add_co_ci_u32_e64 v24, s10, v53, v24, s10
; %bb.133:
	s_or_b32 exec_lo, exec_lo, s11
	s_delay_alu instid0(VALU_DEP_2) | instskip(NEXT) | instid1(VALU_DEP_2)
	v_mov_b32_dpp v52, v23 row_shr:2 row_mask:0xf bank_mask:0xf
	v_mov_b32_dpp v53, v24 row_shr:2 row_mask:0xf bank_mask:0xf
	;; [unrolled: 1-line block ×3, first 2 shown]
	s_mov_b32 s15, exec_lo
	v_cmpx_lt_u32_e32 1, v33
	s_cbranch_execz .LBB70_135
; %bb.134:
	v_and_b32_e32 v34, 1, v50
	v_and_b32_e32 v38, 0xff, v50
	;; [unrolled: 1-line block ×3, first 2 shown]
	s_delay_alu instid0(VALU_DEP_3) | instskip(NEXT) | instid1(VALU_DEP_3)
	v_cmp_eq_u32_e64 s10, 1, v34
	v_cmp_eq_u16_e64 s11, 0, v38
	s_delay_alu instid0(VALU_DEP_3) | instskip(NEXT) | instid1(VALU_DEP_2)
	v_cmp_eq_u32_e64 s12, 1, v50
	v_cndmask_b32_e64 v50, 0, v52, s11
	s_delay_alu instid0(VALU_DEP_2) | instskip(SKIP_4) | instid1(VALU_DEP_1)
	s_or_b32 s10, s10, s12
	v_cndmask_b32_e64 v38, 0, v53, s11
	v_cndmask_b32_e64 v34, 0, 1, s10
	;; [unrolled: 1-line block ×3, first 2 shown]
	v_add_co_u32 v23, s10, v50, v23
	v_add_co_ci_u32_e64 v24, s10, v38, v24, s10
	s_delay_alu instid0(VALU_DEP_3)
	v_or_b32_e32 v38, v37, v52
	v_mov_b32_e32 v50, v34
.LBB70_135:
	s_or_b32 exec_lo, exec_lo, s15
	v_mov_b32_dpp v37, v23 row_shr:4 row_mask:0xf bank_mask:0xf
	v_mov_b32_dpp v52, v24 row_shr:4 row_mask:0xf bank_mask:0xf
	;; [unrolled: 1-line block ×3, first 2 shown]
	s_mov_b32 s15, exec_lo
	v_cmpx_lt_u32_e32 3, v33
	s_cbranch_execz .LBB70_137
; %bb.136:
	v_and_b32_e32 v33, 0xff, v50
	v_and_b32_e32 v34, 1, v50
	;; [unrolled: 1-line block ×3, first 2 shown]
	s_delay_alu instid0(VALU_DEP_3) | instskip(NEXT) | instid1(VALU_DEP_3)
	v_cmp_eq_u16_e64 s10, 0, v33
	v_cmp_eq_u32_e64 s11, 1, v34
	s_delay_alu instid0(VALU_DEP_3) | instskip(NEXT) | instid1(VALU_DEP_3)
	v_cmp_eq_u32_e64 s12, 1, v38
	v_cndmask_b32_e64 v37, 0, v37, s10
	v_cndmask_b32_e64 v33, 0, v52, s10
	s_delay_alu instid0(VALU_DEP_3) | instskip(NEXT) | instid1(SALU_CYCLE_1)
	s_or_b32 s10, s11, s12
	v_cndmask_b32_e64 v34, 0, 1, s10
	s_delay_alu instid0(VALU_DEP_3) | instskip(NEXT) | instid1(VALU_DEP_1)
	v_add_co_u32 v23, s10, v37, v23
	v_add_co_ci_u32_e64 v24, s10, v33, v24, s10
.LBB70_137:
	s_or_b32 exec_lo, exec_lo, s15
	ds_store_b64 v30, v[23:24]
	ds_store_b8 v30, v34 offset:8
.LBB70_138:
	s_or_b32 exec_lo, exec_lo, s13
	v_mov_b32_e32 v23, 0
	v_mov_b32_e32 v24, 0
	s_mov_b32 s11, exec_lo
	s_waitcnt lgkmcnt(0)
	s_barrier
	buffer_gl0_inv
	v_cmpx_lt_u32_e32 31, v0
	s_cbranch_execz .LBB70_140
; %bb.139:
	v_lshl_add_u32 v23, v47, 4, -16
	v_cmp_eq_u16_e64 s10, 0, v29
	ds_load_b64 v[23:24], v23
	s_waitcnt lgkmcnt(0)
	v_cndmask_b32_e64 v30, 0, v23, s10
	v_cndmask_b32_e64 v29, 0, v24, s10
	s_delay_alu instid0(VALU_DEP_2) | instskip(NEXT) | instid1(VALU_DEP_1)
	v_add_co_u32 v19, s10, v19, v30
	v_add_co_ci_u32_e64 v20, s10, v20, v29, s10
.LBB70_140:
	s_or_b32 exec_lo, exec_lo, s11
	v_add_nc_u32_e32 v29, -1, v51
	s_delay_alu instid0(VALU_DEP_1) | instskip(NEXT) | instid1(VALU_DEP_1)
	v_cmp_gt_i32_e64 s10, 0, v29
	v_cndmask_b32_e64 v29, v29, v51, s10
	s_delay_alu instid0(VALU_DEP_1)
	v_lshlrev_b32_e32 v29, 2, v29
	ds_bpermute_b32 v19, v29, v19
	ds_bpermute_b32 v20, v29, v20
	s_and_saveexec_b32 s10, s2
	s_cbranch_execz .LBB70_142
; %bb.141:
	v_cmp_eq_u32_e64 s2, 0, v51
	v_and_b32_e32 v3, 0xff, v41
	s_waitcnt lgkmcnt(0)
	s_delay_alu instid0(VALU_DEP_2) | instskip(SKIP_1) | instid1(VALU_DEP_3)
	v_cndmask_b32_e64 v4, v20, v24, s2
	v_cndmask_b32_e64 v7, v19, v23, s2
	v_cmp_eq_u16_e64 s2, 0, v3
	s_delay_alu instid0(VALU_DEP_1) | instskip(NEXT) | instid1(VALU_DEP_3)
	v_cndmask_b32_e64 v3, 0, v4, s2
	v_cndmask_b32_e64 v4, 0, v7, s2
	s_delay_alu instid0(VALU_DEP_1) | instskip(NEXT) | instid1(VALU_DEP_1)
	v_add_co_u32 v1, s2, v4, v1
	v_add_co_ci_u32_e64 v2, s2, v3, v2, s2
	s_delay_alu instid0(VALU_DEP_2) | instskip(NEXT) | instid1(VALU_DEP_2)
	v_cndmask_b32_e64 v3, 0, v1, s3
	v_cndmask_b32_e64 v4, 0, v2, s3
	s_delay_alu instid0(VALU_DEP_2) | instskip(NEXT) | instid1(VALU_DEP_1)
	v_add_co_u32 v25, s2, v3, v9
	v_add_co_ci_u32_e64 v26, s2, v4, v10, s2
	s_delay_alu instid0(VALU_DEP_2) | instskip(NEXT) | instid1(VALU_DEP_2)
	v_cndmask_b32_e64 v3, 0, v25, s4
	v_cndmask_b32_e64 v4, 0, v26, s4
	s_delay_alu instid0(VALU_DEP_2) | instskip(NEXT) | instid1(VALU_DEP_1)
	;; [unrolled: 6-line block ×7, first 2 shown]
	v_add_co_u32 v15, s2, v5, v11
	v_add_co_ci_u32_e64 v16, s2, v6, v12, s2
.LBB70_142:
	s_or_b32 exec_lo, exec_lo, s10
	s_and_saveexec_b32 s2, vcc_lo
	s_cbranch_execz .LBB70_144
; %bb.143:
	v_mov_b32_e32 v9, 0
	v_mov_b32_e32 v11, 2
	ds_load_b64 v[5:6], v9 offset:112
	ds_load_u8 v10, v9 offset:120
	s_waitcnt lgkmcnt(1)
	global_store_b64 v9, v[5:6], s[18:19] offset:512
	s_waitcnt lgkmcnt(0)
	global_store_b8 v9, v10, s[18:19] offset:520
	s_waitcnt_vscnt null, 0x0
	buffer_gl1_inv
	buffer_gl0_inv
	global_store_b8 v9, v11, s[20:21] offset:32
.LBB70_144:
	s_or_b32 exec_lo, exec_lo, s2
	s_waitcnt lgkmcnt(0)
	v_dual_mov_b32 v20, v2 :: v_dual_mov_b32 v19, v1
.LBB70_145:
	s_load_b64 s[0:1], s[0:1], 0x18
	v_lshlrev_b32_e32 v33, 1, v0
	v_lshlrev_b32_e32 v2, 3, v0
	s_waitcnt lgkmcnt(0)
	s_add_u32 s0, s0, s28
	s_addc_u32 s1, s1, s29
	s_and_b32 vcc_lo, exec_lo, s14
	s_cbranch_vccz .LBB70_155
; %bb.146:
	v_and_b32_e32 v1, 0x1f8, v33
	v_lshrrev_b32_e32 v5, 5, v49
	v_lshrrev_b32_e32 v6, 5, v48
	s_waitcnt_vscnt null, 0x0
	s_barrier
	v_lshl_add_u32 v1, v0, 6, v1
	buffer_gl0_inv
	v_lshrrev_b32_e32 v9, 5, v45
	v_lshrrev_b32_e32 v10, 5, v44
	;; [unrolled: 1-line block ×3, first 2 shown]
	ds_store_2addr_b64 v1, v[19:20], v[25:26] offset1:1
	ds_store_2addr_b64 v1, v[27:28], v[3:4] offset0:2 offset1:3
	ds_store_2addr_b64 v1, v[31:32], v[7:8] offset0:4 offset1:5
	ds_store_2addr_b64 v1, v[35:36], v[15:16] offset0:6 offset1:7
	v_add_lshl_u32 v1, v5, v0, 3
	v_add_lshl_u32 v5, v6, v0, 3
	v_lshrrev_b32_e32 v6, 5, v46
	v_lshrrev_b32_e32 v12, 5, v42
	v_add_lshl_u32 v9, v9, v0, 3
	v_add_lshl_u32 v10, v10, v0, 3
	s_waitcnt lgkmcnt(0)
	v_add_lshl_u32 v6, v6, v0, 3
	s_barrier
	buffer_gl0_inv
	v_add_lshl_u32 v11, v11, v0, 3
	v_add_lshl_u32 v12, v12, v0, 3
	ds_load_b64 v[29:30], v1 offset:2048
	ds_load_b64 v[23:24], v5 offset:4096
	;; [unrolled: 1-line block ×7, first 2 shown]
	v_add_co_u32 v11, s3, s0, v2
	v_mov_b32_e32 v1, 0
	v_add_co_ci_u32_e64 v12, null, s1, 0, s3
	s_lshl_b32 s2, s26, 11
	s_mov_b32 s3, exec_lo
	s_sub_i32 s2, s22, s2
	s_delay_alu instid0(SALU_CYCLE_1)
	v_cmpx_gt_u32_e64 s2, v0
	s_cbranch_execnz .LBB70_167
; %bb.147:
	s_or_b32 exec_lo, exec_lo, s3
	s_delay_alu instid0(SALU_CYCLE_1)
	s_mov_b32 s3, exec_lo
	v_cmpx_gt_u32_e64 s2, v49
	s_cbranch_execnz .LBB70_168
.LBB70_148:
	s_or_b32 exec_lo, exec_lo, s3
	s_delay_alu instid0(SALU_CYCLE_1)
	s_mov_b32 s3, exec_lo
	v_cmpx_gt_u32_e64 s2, v48
	s_cbranch_execnz .LBB70_169
.LBB70_149:
	s_or_b32 exec_lo, exec_lo, s3
	s_delay_alu instid0(SALU_CYCLE_1)
	s_mov_b32 s3, exec_lo
	v_cmpx_gt_u32_e64 s2, v46
	s_cbranch_execnz .LBB70_170
.LBB70_150:
	s_or_b32 exec_lo, exec_lo, s3
	s_delay_alu instid0(SALU_CYCLE_1)
	s_mov_b32 s3, exec_lo
	v_cmpx_gt_u32_e64 s2, v45
	s_cbranch_execnz .LBB70_171
.LBB70_151:
	s_or_b32 exec_lo, exec_lo, s3
	s_delay_alu instid0(SALU_CYCLE_1)
	s_mov_b32 s3, exec_lo
	v_cmpx_gt_u32_e64 s2, v44
	s_cbranch_execnz .LBB70_172
.LBB70_152:
	s_or_b32 exec_lo, exec_lo, s3
	s_delay_alu instid0(SALU_CYCLE_1)
	s_mov_b32 s3, exec_lo
	v_cmpx_gt_u32_e64 s2, v43
	s_cbranch_execz .LBB70_154
.LBB70_153:
	v_add_co_u32 v11, vcc_lo, 0x3000, v11
	v_add_co_ci_u32_e32 v12, vcc_lo, 0, v12, vcc_lo
	s_waitcnt lgkmcnt(1)
	global_store_b64 v[11:12], v[9:10], off
.LBB70_154:
	s_or_b32 exec_lo, exec_lo, s3
	v_cmp_gt_u32_e64 s2, s2, v42
	s_branch .LBB70_157
.LBB70_155:
	s_mov_b32 s2, 0
                                        ; implicit-def: $vgpr5_vgpr6
	s_cbranch_execz .LBB70_157
; %bb.156:
	v_and_b32_e32 v1, 0x1f8, v33
	s_waitcnt lgkmcnt(0)
	v_lshrrev_b32_e32 v5, 5, v49
	s_waitcnt_vscnt null, 0x0
	s_barrier
	buffer_gl0_inv
	v_lshl_add_u32 v1, v0, 6, v1
	v_add_lshl_u32 v5, v5, v0, 3
	v_lshrrev_b32_e32 v6, 5, v46
	v_lshrrev_b32_e32 v9, 5, v45
	;; [unrolled: 1-line block ×3, first 2 shown]
	ds_store_2addr_b64 v1, v[19:20], v[25:26] offset1:1
	ds_store_2addr_b64 v1, v[27:28], v[3:4] offset0:2 offset1:3
	ds_store_2addr_b64 v1, v[31:32], v[7:8] offset0:4 offset1:5
	;; [unrolled: 1-line block ×3, first 2 shown]
	v_add_lshl_u32 v3, v47, v0, 3
	s_waitcnt lgkmcnt(0)
	s_barrier
	buffer_gl0_inv
	ds_load_b64 v[3:4], v3
	ds_load_b64 v[7:8], v5 offset:2048
	v_lshrrev_b32_e32 v1, 5, v48
	v_lshrrev_b32_e32 v5, 5, v44
	;; [unrolled: 1-line block ×3, first 2 shown]
	v_add_lshl_u32 v6, v6, v0, 3
	v_add_lshl_u32 v13, v9, v0, 3
	;; [unrolled: 1-line block ×6, first 2 shown]
	ds_load_b64 v[9:10], v1 offset:4096
	ds_load_b64 v[11:12], v6 offset:6144
	;; [unrolled: 1-line block ×6, first 2 shown]
	v_add_co_u32 v23, s3, s0, v2
	s_delay_alu instid0(VALU_DEP_1)
	v_add_co_ci_u32_e64 v24, null, s1, 0, s3
	v_mov_b32_e32 v1, 0
	s_or_b32 s2, s2, exec_lo
	s_waitcnt lgkmcnt(6)
	global_store_b64 v2, v[7:8], s[0:1] offset:2048
	v_add_co_u32 v7, vcc_lo, 0x1000, v23
	v_add_co_ci_u32_e32 v8, vcc_lo, 0, v24, vcc_lo
	v_add_co_u32 v19, vcc_lo, v23, 0x2000
	v_add_co_ci_u32_e32 v20, vcc_lo, 0, v24, vcc_lo
	;; [unrolled: 2-line block ×3, first 2 shown]
	global_store_b64 v2, v[3:4], s[0:1]
	s_waitcnt lgkmcnt(3)
	global_store_b64 v[19:20], v[13:14], off
	v_add_co_u32 v2, vcc_lo, 0x3000, v23
	v_add_co_ci_u32_e32 v3, vcc_lo, 0, v24, vcc_lo
	global_store_b64 v[7:8], v[11:12], off offset:2048
	s_waitcnt lgkmcnt(2)
	s_clause 0x1
	global_store_b64 v[21:22], v[15:16], off offset:2048
	global_store_b64 v[19:20], v[9:10], off offset:-4096
	s_waitcnt lgkmcnt(1)
	global_store_b64 v[2:3], v[17:18], off
.LBB70_157:
	s_delay_alu instid0(VALU_DEP_1)
	s_and_saveexec_b32 s3, s2
	s_cbranch_execnz .LBB70_159
; %bb.158:
	s_nop 0
	s_sendmsg sendmsg(MSG_DEALLOC_VGPRS)
	s_endpgm
.LBB70_159:
	v_lshlrev_b64 v[0:1], 3, v[0:1]
	s_delay_alu instid0(VALU_DEP_1) | instskip(NEXT) | instid1(VALU_DEP_2)
	v_add_co_u32 v0, vcc_lo, s0, v0
	v_add_co_ci_u32_e32 v1, vcc_lo, s1, v1, vcc_lo
	s_delay_alu instid0(VALU_DEP_2) | instskip(NEXT) | instid1(VALU_DEP_2)
	v_add_co_u32 v0, vcc_lo, 0x3000, v0
	v_add_co_ci_u32_e32 v1, vcc_lo, 0, v1, vcc_lo
	s_waitcnt lgkmcnt(0)
	global_store_b64 v[0:1], v[5:6], off offset:2048
	s_nop 0
	s_sendmsg sendmsg(MSG_DEALLOC_VGPRS)
	s_endpgm
.LBB70_160:
	global_load_b64 v[1:2], v[5:6], off
	s_or_b32 exec_lo, exec_lo, s9
                                        ; implicit-def: $vgpr9_vgpr10
	s_and_saveexec_b32 s9, s2
	s_cbranch_execz .LBB70_21
.LBB70_161:
	global_load_b64 v[9:10], v[5:6], off offset:2048
	s_or_b32 exec_lo, exec_lo, s9
                                        ; implicit-def: $vgpr11_vgpr12
	s_and_saveexec_b32 s2, s5
	s_cbranch_execz .LBB70_22
.LBB70_162:
	v_add_co_u32 v11, vcc_lo, 0x1000, v5
	v_add_co_ci_u32_e32 v12, vcc_lo, 0, v6, vcc_lo
	global_load_b64 v[11:12], v[11:12], off
	s_or_b32 exec_lo, exec_lo, s2
                                        ; implicit-def: $vgpr13_vgpr14
	s_and_saveexec_b32 s2, s4
	s_cbranch_execz .LBB70_23
.LBB70_163:
	v_add_co_u32 v13, vcc_lo, 0x1000, v5
	v_add_co_ci_u32_e32 v14, vcc_lo, 0, v6, vcc_lo
	global_load_b64 v[13:14], v[13:14], off offset:2048
	s_or_b32 exec_lo, exec_lo, s2
                                        ; implicit-def: $vgpr17_vgpr18
	s_and_saveexec_b32 s2, s3
	s_cbranch_execz .LBB70_24
.LBB70_164:
	v_add_co_u32 v17, vcc_lo, 0x2000, v5
	v_add_co_ci_u32_e32 v18, vcc_lo, 0, v6, vcc_lo
	global_load_b64 v[17:18], v[17:18], off
	s_or_b32 exec_lo, exec_lo, s2
                                        ; implicit-def: $vgpr21_vgpr22
	s_and_saveexec_b32 s2, s6
	s_cbranch_execz .LBB70_25
.LBB70_165:
	v_add_co_u32 v21, vcc_lo, 0x2000, v5
	v_add_co_ci_u32_e32 v22, vcc_lo, 0, v6, vcc_lo
	global_load_b64 v[21:22], v[21:22], off offset:2048
	s_or_b32 exec_lo, exec_lo, s2
                                        ; implicit-def: $vgpr23_vgpr24
	s_and_saveexec_b32 s2, s7
	s_cbranch_execz .LBB70_26
.LBB70_166:
	v_add_co_u32 v23, vcc_lo, 0x3000, v5
	v_add_co_ci_u32_e32 v24, vcc_lo, 0, v6, vcc_lo
	global_load_b64 v[23:24], v[23:24], off
	s_or_b32 exec_lo, exec_lo, s2
                                        ; implicit-def: $vgpr25_vgpr26
	s_and_saveexec_b32 s2, s8
	s_cbranch_execnz .LBB70_27
	s_branch .LBB70_28
.LBB70_167:
	v_add_lshl_u32 v34, v47, v0, 3
	ds_load_b64 v[37:38], v34
	s_waitcnt lgkmcnt(0)
	global_store_b64 v[11:12], v[37:38], off
	s_or_b32 exec_lo, exec_lo, s3
	s_delay_alu instid0(SALU_CYCLE_1)
	s_mov_b32 s3, exec_lo
	v_cmpx_gt_u32_e64 s2, v49
	s_cbranch_execz .LBB70_148
.LBB70_168:
	s_waitcnt lgkmcnt(6)
	global_store_b64 v[11:12], v[29:30], off offset:2048
	s_or_b32 exec_lo, exec_lo, s3
	s_delay_alu instid0(SALU_CYCLE_1)
	s_mov_b32 s3, exec_lo
	v_cmpx_gt_u32_e64 s2, v48
	s_cbranch_execz .LBB70_149
.LBB70_169:
	s_waitcnt lgkmcnt(6)
	v_add_co_u32 v29, vcc_lo, 0x1000, v11
	v_add_co_ci_u32_e32 v30, vcc_lo, 0, v12, vcc_lo
	s_waitcnt lgkmcnt(5)
	global_store_b64 v[29:30], v[23:24], off
	s_or_b32 exec_lo, exec_lo, s3
	s_delay_alu instid0(SALU_CYCLE_1)
	s_mov_b32 s3, exec_lo
	v_cmpx_gt_u32_e64 s2, v46
	s_cbranch_execz .LBB70_150
.LBB70_170:
	s_waitcnt lgkmcnt(5)
	v_add_co_u32 v23, vcc_lo, 0x1000, v11
	v_add_co_ci_u32_e32 v24, vcc_lo, 0, v12, vcc_lo
	s_waitcnt lgkmcnt(4)
	global_store_b64 v[23:24], v[21:22], off offset:2048
	s_or_b32 exec_lo, exec_lo, s3
	s_delay_alu instid0(SALU_CYCLE_1)
	s_mov_b32 s3, exec_lo
	v_cmpx_gt_u32_e64 s2, v45
	s_cbranch_execz .LBB70_151
.LBB70_171:
	s_waitcnt lgkmcnt(4)
	v_add_co_u32 v21, vcc_lo, 0x2000, v11
	v_add_co_ci_u32_e32 v22, vcc_lo, 0, v12, vcc_lo
	s_waitcnt lgkmcnt(3)
	global_store_b64 v[21:22], v[17:18], off
	s_or_b32 exec_lo, exec_lo, s3
	s_delay_alu instid0(SALU_CYCLE_1)
	s_mov_b32 s3, exec_lo
	v_cmpx_gt_u32_e64 s2, v44
	s_cbranch_execz .LBB70_152
.LBB70_172:
	s_waitcnt lgkmcnt(3)
	v_add_co_u32 v17, vcc_lo, 0x2000, v11
	v_add_co_ci_u32_e32 v18, vcc_lo, 0, v12, vcc_lo
	s_waitcnt lgkmcnt(2)
	global_store_b64 v[17:18], v[13:14], off offset:2048
	s_or_b32 exec_lo, exec_lo, s3
	s_delay_alu instid0(SALU_CYCLE_1)
	s_mov_b32 s3, exec_lo
	v_cmpx_gt_u32_e64 s2, v43
	s_cbranch_execnz .LBB70_153
	s_branch .LBB70_154
	.section	.rodata,"a",@progbits
	.p2align	6, 0x0
	.amdhsa_kernel _ZN7rocprim6detail25device_scan_by_key_kernelILNS0_25lookback_scan_determinismE0ELb0ENS0_26wrapped_scan_by_key_configINS_14default_configEiyEEPiN6hipcub22TransformInputIteratorIyNS7_6CastOpIyEEPylEESB_yNS7_8EqualityENS7_3SumENS0_19lookback_scan_stateINS_5tupleIJybEEELb0ELb0EEEyEEvT2_T3_T4_T5_T6_T7_T8_mmmPKNSG_IJT9_bEEE
		.amdhsa_group_segment_fixed_size 16896
		.amdhsa_private_segment_fixed_size 0
		.amdhsa_kernarg_size 104
		.amdhsa_user_sgpr_count 15
		.amdhsa_user_sgpr_dispatch_ptr 0
		.amdhsa_user_sgpr_queue_ptr 0
		.amdhsa_user_sgpr_kernarg_segment_ptr 1
		.amdhsa_user_sgpr_dispatch_id 0
		.amdhsa_user_sgpr_private_segment_size 0
		.amdhsa_wavefront_size32 1
		.amdhsa_uses_dynamic_stack 0
		.amdhsa_enable_private_segment 0
		.amdhsa_system_sgpr_workgroup_id_x 1
		.amdhsa_system_sgpr_workgroup_id_y 0
		.amdhsa_system_sgpr_workgroup_id_z 0
		.amdhsa_system_sgpr_workgroup_info 0
		.amdhsa_system_vgpr_workitem_id 0
		.amdhsa_next_free_vgpr 72
		.amdhsa_next_free_sgpr 37
		.amdhsa_reserve_vcc 1
		.amdhsa_float_round_mode_32 0
		.amdhsa_float_round_mode_16_64 0
		.amdhsa_float_denorm_mode_32 3
		.amdhsa_float_denorm_mode_16_64 3
		.amdhsa_dx10_clamp 1
		.amdhsa_ieee_mode 1
		.amdhsa_fp16_overflow 0
		.amdhsa_workgroup_processor_mode 1
		.amdhsa_memory_ordered 1
		.amdhsa_forward_progress 0
		.amdhsa_shared_vgpr_count 0
		.amdhsa_exception_fp_ieee_invalid_op 0
		.amdhsa_exception_fp_denorm_src 0
		.amdhsa_exception_fp_ieee_div_zero 0
		.amdhsa_exception_fp_ieee_overflow 0
		.amdhsa_exception_fp_ieee_underflow 0
		.amdhsa_exception_fp_ieee_inexact 0
		.amdhsa_exception_int_div_zero 0
	.end_amdhsa_kernel
	.section	.text._ZN7rocprim6detail25device_scan_by_key_kernelILNS0_25lookback_scan_determinismE0ELb0ENS0_26wrapped_scan_by_key_configINS_14default_configEiyEEPiN6hipcub22TransformInputIteratorIyNS7_6CastOpIyEEPylEESB_yNS7_8EqualityENS7_3SumENS0_19lookback_scan_stateINS_5tupleIJybEEELb0ELb0EEEyEEvT2_T3_T4_T5_T6_T7_T8_mmmPKNSG_IJT9_bEEE,"axG",@progbits,_ZN7rocprim6detail25device_scan_by_key_kernelILNS0_25lookback_scan_determinismE0ELb0ENS0_26wrapped_scan_by_key_configINS_14default_configEiyEEPiN6hipcub22TransformInputIteratorIyNS7_6CastOpIyEEPylEESB_yNS7_8EqualityENS7_3SumENS0_19lookback_scan_stateINS_5tupleIJybEEELb0ELb0EEEyEEvT2_T3_T4_T5_T6_T7_T8_mmmPKNSG_IJT9_bEEE,comdat
.Lfunc_end70:
	.size	_ZN7rocprim6detail25device_scan_by_key_kernelILNS0_25lookback_scan_determinismE0ELb0ENS0_26wrapped_scan_by_key_configINS_14default_configEiyEEPiN6hipcub22TransformInputIteratorIyNS7_6CastOpIyEEPylEESB_yNS7_8EqualityENS7_3SumENS0_19lookback_scan_stateINS_5tupleIJybEEELb0ELb0EEEyEEvT2_T3_T4_T5_T6_T7_T8_mmmPKNSG_IJT9_bEEE, .Lfunc_end70-_ZN7rocprim6detail25device_scan_by_key_kernelILNS0_25lookback_scan_determinismE0ELb0ENS0_26wrapped_scan_by_key_configINS_14default_configEiyEEPiN6hipcub22TransformInputIteratorIyNS7_6CastOpIyEEPylEESB_yNS7_8EqualityENS7_3SumENS0_19lookback_scan_stateINS_5tupleIJybEEELb0ELb0EEEyEEvT2_T3_T4_T5_T6_T7_T8_mmmPKNSG_IJT9_bEEE
                                        ; -- End function
	.section	.AMDGPU.csdata,"",@progbits
; Kernel info:
; codeLenInByte = 12120
; NumSgprs: 39
; NumVgprs: 72
; ScratchSize: 0
; MemoryBound: 0
; FloatMode: 240
; IeeeMode: 1
; LDSByteSize: 16896 bytes/workgroup (compile time only)
; SGPRBlocks: 4
; VGPRBlocks: 8
; NumSGPRsForWavesPerEU: 39
; NumVGPRsForWavesPerEU: 72
; Occupancy: 14
; WaveLimiterHint : 1
; COMPUTE_PGM_RSRC2:SCRATCH_EN: 0
; COMPUTE_PGM_RSRC2:USER_SGPR: 15
; COMPUTE_PGM_RSRC2:TRAP_HANDLER: 0
; COMPUTE_PGM_RSRC2:TGID_X_EN: 1
; COMPUTE_PGM_RSRC2:TGID_Y_EN: 0
; COMPUTE_PGM_RSRC2:TGID_Z_EN: 0
; COMPUTE_PGM_RSRC2:TIDIG_COMP_CNT: 0
	.section	.text._ZN7rocprim6detail25device_scan_by_key_kernelILNS0_25lookback_scan_determinismE0ELb0ENS0_26wrapped_scan_by_key_configINS_14default_configEiyEEPiN6hipcub22TransformInputIteratorIyNS7_6CastOpIyEEPylEESB_yNS7_8EqualityENS7_3MinENS0_19lookback_scan_stateINS_5tupleIJybEEELb1ELb0EEEyEEvT2_T3_T4_T5_T6_T7_T8_mmmPKNSG_IJT9_bEEE,"axG",@progbits,_ZN7rocprim6detail25device_scan_by_key_kernelILNS0_25lookback_scan_determinismE0ELb0ENS0_26wrapped_scan_by_key_configINS_14default_configEiyEEPiN6hipcub22TransformInputIteratorIyNS7_6CastOpIyEEPylEESB_yNS7_8EqualityENS7_3MinENS0_19lookback_scan_stateINS_5tupleIJybEEELb1ELb0EEEyEEvT2_T3_T4_T5_T6_T7_T8_mmmPKNSG_IJT9_bEEE,comdat
	.protected	_ZN7rocprim6detail25device_scan_by_key_kernelILNS0_25lookback_scan_determinismE0ELb0ENS0_26wrapped_scan_by_key_configINS_14default_configEiyEEPiN6hipcub22TransformInputIteratorIyNS7_6CastOpIyEEPylEESB_yNS7_8EqualityENS7_3MinENS0_19lookback_scan_stateINS_5tupleIJybEEELb1ELb0EEEyEEvT2_T3_T4_T5_T6_T7_T8_mmmPKNSG_IJT9_bEEE ; -- Begin function _ZN7rocprim6detail25device_scan_by_key_kernelILNS0_25lookback_scan_determinismE0ELb0ENS0_26wrapped_scan_by_key_configINS_14default_configEiyEEPiN6hipcub22TransformInputIteratorIyNS7_6CastOpIyEEPylEESB_yNS7_8EqualityENS7_3MinENS0_19lookback_scan_stateINS_5tupleIJybEEELb1ELb0EEEyEEvT2_T3_T4_T5_T6_T7_T8_mmmPKNSG_IJT9_bEEE
	.globl	_ZN7rocprim6detail25device_scan_by_key_kernelILNS0_25lookback_scan_determinismE0ELb0ENS0_26wrapped_scan_by_key_configINS_14default_configEiyEEPiN6hipcub22TransformInputIteratorIyNS7_6CastOpIyEEPylEESB_yNS7_8EqualityENS7_3MinENS0_19lookback_scan_stateINS_5tupleIJybEEELb1ELb0EEEyEEvT2_T3_T4_T5_T6_T7_T8_mmmPKNSG_IJT9_bEEE
	.p2align	8
	.type	_ZN7rocprim6detail25device_scan_by_key_kernelILNS0_25lookback_scan_determinismE0ELb0ENS0_26wrapped_scan_by_key_configINS_14default_configEiyEEPiN6hipcub22TransformInputIteratorIyNS7_6CastOpIyEEPylEESB_yNS7_8EqualityENS7_3MinENS0_19lookback_scan_stateINS_5tupleIJybEEELb1ELb0EEEyEEvT2_T3_T4_T5_T6_T7_T8_mmmPKNSG_IJT9_bEEE,@function
_ZN7rocprim6detail25device_scan_by_key_kernelILNS0_25lookback_scan_determinismE0ELb0ENS0_26wrapped_scan_by_key_configINS_14default_configEiyEEPiN6hipcub22TransformInputIteratorIyNS7_6CastOpIyEEPylEESB_yNS7_8EqualityENS7_3MinENS0_19lookback_scan_stateINS_5tupleIJybEEELb1ELb0EEEyEEvT2_T3_T4_T5_T6_T7_T8_mmmPKNSG_IJT9_bEEE: ; @_ZN7rocprim6detail25device_scan_by_key_kernelILNS0_25lookback_scan_determinismE0ELb0ENS0_26wrapped_scan_by_key_configINS_14default_configEiyEEPiN6hipcub22TransformInputIteratorIyNS7_6CastOpIyEEPylEESB_yNS7_8EqualityENS7_3MinENS0_19lookback_scan_stateINS_5tupleIJybEEELb1ELb0EEEyEEvT2_T3_T4_T5_T6_T7_T8_mmmPKNSG_IJT9_bEEE
; %bb.0:
	s_endpgm
	.section	.rodata,"a",@progbits
	.p2align	6, 0x0
	.amdhsa_kernel _ZN7rocprim6detail25device_scan_by_key_kernelILNS0_25lookback_scan_determinismE0ELb0ENS0_26wrapped_scan_by_key_configINS_14default_configEiyEEPiN6hipcub22TransformInputIteratorIyNS7_6CastOpIyEEPylEESB_yNS7_8EqualityENS7_3MinENS0_19lookback_scan_stateINS_5tupleIJybEEELb1ELb0EEEyEEvT2_T3_T4_T5_T6_T7_T8_mmmPKNSG_IJT9_bEEE
		.amdhsa_group_segment_fixed_size 0
		.amdhsa_private_segment_fixed_size 0
		.amdhsa_kernarg_size 104
		.amdhsa_user_sgpr_count 15
		.amdhsa_user_sgpr_dispatch_ptr 0
		.amdhsa_user_sgpr_queue_ptr 0
		.amdhsa_user_sgpr_kernarg_segment_ptr 1
		.amdhsa_user_sgpr_dispatch_id 0
		.amdhsa_user_sgpr_private_segment_size 0
		.amdhsa_wavefront_size32 1
		.amdhsa_uses_dynamic_stack 0
		.amdhsa_enable_private_segment 0
		.amdhsa_system_sgpr_workgroup_id_x 1
		.amdhsa_system_sgpr_workgroup_id_y 0
		.amdhsa_system_sgpr_workgroup_id_z 0
		.amdhsa_system_sgpr_workgroup_info 0
		.amdhsa_system_vgpr_workitem_id 0
		.amdhsa_next_free_vgpr 1
		.amdhsa_next_free_sgpr 1
		.amdhsa_reserve_vcc 0
		.amdhsa_float_round_mode_32 0
		.amdhsa_float_round_mode_16_64 0
		.amdhsa_float_denorm_mode_32 3
		.amdhsa_float_denorm_mode_16_64 3
		.amdhsa_dx10_clamp 1
		.amdhsa_ieee_mode 1
		.amdhsa_fp16_overflow 0
		.amdhsa_workgroup_processor_mode 1
		.amdhsa_memory_ordered 1
		.amdhsa_forward_progress 0
		.amdhsa_shared_vgpr_count 0
		.amdhsa_exception_fp_ieee_invalid_op 0
		.amdhsa_exception_fp_denorm_src 0
		.amdhsa_exception_fp_ieee_div_zero 0
		.amdhsa_exception_fp_ieee_overflow 0
		.amdhsa_exception_fp_ieee_underflow 0
		.amdhsa_exception_fp_ieee_inexact 0
		.amdhsa_exception_int_div_zero 0
	.end_amdhsa_kernel
	.section	.text._ZN7rocprim6detail25device_scan_by_key_kernelILNS0_25lookback_scan_determinismE0ELb0ENS0_26wrapped_scan_by_key_configINS_14default_configEiyEEPiN6hipcub22TransformInputIteratorIyNS7_6CastOpIyEEPylEESB_yNS7_8EqualityENS7_3MinENS0_19lookback_scan_stateINS_5tupleIJybEEELb1ELb0EEEyEEvT2_T3_T4_T5_T6_T7_T8_mmmPKNSG_IJT9_bEEE,"axG",@progbits,_ZN7rocprim6detail25device_scan_by_key_kernelILNS0_25lookback_scan_determinismE0ELb0ENS0_26wrapped_scan_by_key_configINS_14default_configEiyEEPiN6hipcub22TransformInputIteratorIyNS7_6CastOpIyEEPylEESB_yNS7_8EqualityENS7_3MinENS0_19lookback_scan_stateINS_5tupleIJybEEELb1ELb0EEEyEEvT2_T3_T4_T5_T6_T7_T8_mmmPKNSG_IJT9_bEEE,comdat
.Lfunc_end71:
	.size	_ZN7rocprim6detail25device_scan_by_key_kernelILNS0_25lookback_scan_determinismE0ELb0ENS0_26wrapped_scan_by_key_configINS_14default_configEiyEEPiN6hipcub22TransformInputIteratorIyNS7_6CastOpIyEEPylEESB_yNS7_8EqualityENS7_3MinENS0_19lookback_scan_stateINS_5tupleIJybEEELb1ELb0EEEyEEvT2_T3_T4_T5_T6_T7_T8_mmmPKNSG_IJT9_bEEE, .Lfunc_end71-_ZN7rocprim6detail25device_scan_by_key_kernelILNS0_25lookback_scan_determinismE0ELb0ENS0_26wrapped_scan_by_key_configINS_14default_configEiyEEPiN6hipcub22TransformInputIteratorIyNS7_6CastOpIyEEPylEESB_yNS7_8EqualityENS7_3MinENS0_19lookback_scan_stateINS_5tupleIJybEEELb1ELb0EEEyEEvT2_T3_T4_T5_T6_T7_T8_mmmPKNSG_IJT9_bEEE
                                        ; -- End function
	.section	.AMDGPU.csdata,"",@progbits
; Kernel info:
; codeLenInByte = 4
; NumSgprs: 0
; NumVgprs: 0
; ScratchSize: 0
; MemoryBound: 0
; FloatMode: 240
; IeeeMode: 1
; LDSByteSize: 0 bytes/workgroup (compile time only)
; SGPRBlocks: 0
; VGPRBlocks: 0
; NumSGPRsForWavesPerEU: 1
; NumVGPRsForWavesPerEU: 1
; Occupancy: 16
; WaveLimiterHint : 0
; COMPUTE_PGM_RSRC2:SCRATCH_EN: 0
; COMPUTE_PGM_RSRC2:USER_SGPR: 15
; COMPUTE_PGM_RSRC2:TRAP_HANDLER: 0
; COMPUTE_PGM_RSRC2:TGID_X_EN: 1
; COMPUTE_PGM_RSRC2:TGID_Y_EN: 0
; COMPUTE_PGM_RSRC2:TGID_Z_EN: 0
; COMPUTE_PGM_RSRC2:TIDIG_COMP_CNT: 0
	.section	.text._ZN7rocprim6detail25device_scan_by_key_kernelILNS0_25lookback_scan_determinismE0ELb0ENS0_26wrapped_scan_by_key_configINS_14default_configEiyEEPiN6hipcub22TransformInputIteratorIyNS7_6CastOpIyEEPylEESB_yNS7_8EqualityENS7_3MinENS0_19lookback_scan_stateINS_5tupleIJybEEELb0ELb0EEEyEEvT2_T3_T4_T5_T6_T7_T8_mmmPKNSG_IJT9_bEEE,"axG",@progbits,_ZN7rocprim6detail25device_scan_by_key_kernelILNS0_25lookback_scan_determinismE0ELb0ENS0_26wrapped_scan_by_key_configINS_14default_configEiyEEPiN6hipcub22TransformInputIteratorIyNS7_6CastOpIyEEPylEESB_yNS7_8EqualityENS7_3MinENS0_19lookback_scan_stateINS_5tupleIJybEEELb0ELb0EEEyEEvT2_T3_T4_T5_T6_T7_T8_mmmPKNSG_IJT9_bEEE,comdat
	.protected	_ZN7rocprim6detail25device_scan_by_key_kernelILNS0_25lookback_scan_determinismE0ELb0ENS0_26wrapped_scan_by_key_configINS_14default_configEiyEEPiN6hipcub22TransformInputIteratorIyNS7_6CastOpIyEEPylEESB_yNS7_8EqualityENS7_3MinENS0_19lookback_scan_stateINS_5tupleIJybEEELb0ELb0EEEyEEvT2_T3_T4_T5_T6_T7_T8_mmmPKNSG_IJT9_bEEE ; -- Begin function _ZN7rocprim6detail25device_scan_by_key_kernelILNS0_25lookback_scan_determinismE0ELb0ENS0_26wrapped_scan_by_key_configINS_14default_configEiyEEPiN6hipcub22TransformInputIteratorIyNS7_6CastOpIyEEPylEESB_yNS7_8EqualityENS7_3MinENS0_19lookback_scan_stateINS_5tupleIJybEEELb0ELb0EEEyEEvT2_T3_T4_T5_T6_T7_T8_mmmPKNSG_IJT9_bEEE
	.globl	_ZN7rocprim6detail25device_scan_by_key_kernelILNS0_25lookback_scan_determinismE0ELb0ENS0_26wrapped_scan_by_key_configINS_14default_configEiyEEPiN6hipcub22TransformInputIteratorIyNS7_6CastOpIyEEPylEESB_yNS7_8EqualityENS7_3MinENS0_19lookback_scan_stateINS_5tupleIJybEEELb0ELb0EEEyEEvT2_T3_T4_T5_T6_T7_T8_mmmPKNSG_IJT9_bEEE
	.p2align	8
	.type	_ZN7rocprim6detail25device_scan_by_key_kernelILNS0_25lookback_scan_determinismE0ELb0ENS0_26wrapped_scan_by_key_configINS_14default_configEiyEEPiN6hipcub22TransformInputIteratorIyNS7_6CastOpIyEEPylEESB_yNS7_8EqualityENS7_3MinENS0_19lookback_scan_stateINS_5tupleIJybEEELb0ELb0EEEyEEvT2_T3_T4_T5_T6_T7_T8_mmmPKNSG_IJT9_bEEE,@function
_ZN7rocprim6detail25device_scan_by_key_kernelILNS0_25lookback_scan_determinismE0ELb0ENS0_26wrapped_scan_by_key_configINS_14default_configEiyEEPiN6hipcub22TransformInputIteratorIyNS7_6CastOpIyEEPylEESB_yNS7_8EqualityENS7_3MinENS0_19lookback_scan_stateINS_5tupleIJybEEELb0ELb0EEEyEEvT2_T3_T4_T5_T6_T7_T8_mmmPKNSG_IJT9_bEEE: ; @_ZN7rocprim6detail25device_scan_by_key_kernelILNS0_25lookback_scan_determinismE0ELb0ENS0_26wrapped_scan_by_key_configINS_14default_configEiyEEPiN6hipcub22TransformInputIteratorIyNS7_6CastOpIyEEPylEESB_yNS7_8EqualityENS7_3MinENS0_19lookback_scan_stateINS_5tupleIJybEEELb0ELb0EEEyEEvT2_T3_T4_T5_T6_T7_T8_mmmPKNSG_IJT9_bEEE
; %bb.0:
	s_clause 0x1
	s_load_b128 s[4:7], s[0:1], 0x0
	s_load_b128 s[24:27], s[0:1], 0x50
	s_mov_b32 s3, 0
	s_lshl_b32 s2, s15, 11
	s_load_b64 s[30:31], s[0:1], 0x60
	s_lshl_b64 s[8:9], s[2:3], 2
	s_load_b256 s[16:23], s[0:1], 0x30
	v_lshlrev_b32_e32 v29, 2, v0
	s_waitcnt lgkmcnt(0)
	s_add_u32 s12, s4, s8
	s_addc_u32 s13, s5, s9
	s_lshl_b64 s[28:29], s[2:3], 3
	s_delay_alu instid0(SALU_CYCLE_1)
	s_add_u32 s10, s6, s28
	s_addc_u32 s11, s7, s29
	s_add_u32 s4, s15, s24
	s_addc_u32 s5, 0, s25
	s_add_u32 s26, s26, -1
	s_addc_u32 s27, s27, -1
	s_delay_alu instid0(SALU_CYCLE_1) | instskip(NEXT) | instid1(VALU_DEP_1)
	v_cmp_ge_u64_e64 s14, s[4:5], s[26:27]
	s_and_b32 vcc_lo, exec_lo, s14
	s_cbranch_vccz .LBB72_43
; %bb.1:
	s_load_b32 s9, s[12:13], 0x0
	s_lshl_b32 s2, s26, 11
	s_delay_alu instid0(SALU_CYCLE_1) | instskip(SKIP_1) | instid1(VALU_DEP_1)
	s_sub_i32 s23, s22, s2
	v_add_co_u32 v1, s2, s12, v29
	v_add_co_ci_u32_e64 v2, null, s13, 0, s2
	v_cmp_gt_u32_e32 vcc_lo, s23, v0
	s_waitcnt lgkmcnt(0)
	v_mov_b32_e32 v3, s9
	s_and_saveexec_b32 s2, vcc_lo
	s_cbranch_execz .LBB72_3
; %bb.2:
	global_load_b32 v3, v[1:2], off
.LBB72_3:
	s_or_b32 exec_lo, exec_lo, s2
	v_or_b32_e32 v7, 0x100, v0
	v_mov_b32_e32 v4, s9
	s_delay_alu instid0(VALU_DEP_2) | instskip(NEXT) | instid1(VALU_DEP_1)
	v_cmp_gt_u32_e64 s2, s23, v7
	s_and_saveexec_b32 s3, s2
	s_cbranch_execz .LBB72_5
; %bb.4:
	global_load_b32 v4, v[1:2], off offset:1024
.LBB72_5:
	s_or_b32 exec_lo, exec_lo, s3
	v_or_b32_e32 v8, 0x200, v0
	v_mov_b32_e32 v6, s9
	s_delay_alu instid0(VALU_DEP_2) | instskip(NEXT) | instid1(VALU_DEP_1)
	v_cmp_gt_u32_e64 s5, s23, v8
	s_and_saveexec_b32 s3, s5
	s_cbranch_execz .LBB72_7
; %bb.6:
	global_load_b32 v6, v[1:2], off offset:2048
.LBB72_7:
	;; [unrolled: 10-line block ×3, first 2 shown]
	s_or_b32 exec_lo, exec_lo, s3
	v_or_b32_e32 v12, 0x400, v0
	v_mov_b32_e32 v9, s9
	s_delay_alu instid0(VALU_DEP_2) | instskip(NEXT) | instid1(VALU_DEP_1)
	v_cmp_gt_u32_e64 s3, s23, v12
	s_and_saveexec_b32 s7, s3
	s_cbranch_execz .LBB72_11
; %bb.10:
	v_add_co_u32 v13, s6, 0x1000, v1
	s_delay_alu instid0(VALU_DEP_1)
	v_add_co_ci_u32_e64 v14, s6, 0, v2, s6
	global_load_b32 v9, v[13:14], off
.LBB72_11:
	s_or_b32 exec_lo, exec_lo, s7
	v_or_b32_e32 v13, 0x500, v0
	v_mov_b32_e32 v11, s9
	s_delay_alu instid0(VALU_DEP_2) | instskip(NEXT) | instid1(VALU_DEP_1)
	v_cmp_gt_u32_e64 s6, s23, v13
	s_and_saveexec_b32 s8, s6
	s_cbranch_execz .LBB72_13
; %bb.12:
	v_add_co_u32 v14, s7, 0x1000, v1
	s_delay_alu instid0(VALU_DEP_1)
	v_add_co_ci_u32_e64 v15, s7, 0, v2, s7
	global_load_b32 v11, v[14:15], off offset:1024
.LBB72_13:
	s_or_b32 exec_lo, exec_lo, s8
	v_or_b32_e32 v15, 0x600, v0
	v_mov_b32_e32 v14, s9
	s_delay_alu instid0(VALU_DEP_2) | instskip(NEXT) | instid1(VALU_DEP_1)
	v_cmp_gt_u32_e64 s7, s23, v15
	s_and_saveexec_b32 s27, s7
	s_cbranch_execz .LBB72_15
; %bb.14:
	v_add_co_u32 v16, s8, 0x1000, v1
	s_delay_alu instid0(VALU_DEP_1)
	v_add_co_ci_u32_e64 v17, s8, 0, v2, s8
	global_load_b32 v14, v[16:17], off offset:2048
.LBB72_15:
	;; [unrolled: 13-line block ×3, first 2 shown]
	s_or_b32 exec_lo, exec_lo, s27
	v_lshrrev_b32_e32 v1, 5, v0
	v_lshrrev_b32_e32 v2, 5, v7
	;; [unrolled: 1-line block ×3, first 2 shown]
	s_sub_u32 s34, 0, s15
	s_subb_u32 s35, 0, 0
	v_add_nc_u32_e32 v30, v1, v0
	v_add_nc_u32_e32 v28, v2, v0
	;; [unrolled: 1-line block ×3, first 2 shown]
	v_lshrrev_b32_e32 v1, 5, v10
	v_lshrrev_b32_e32 v2, 5, v12
	v_lshlrev_b32_e32 v7, 2, v30
	v_lshlrev_b32_e32 v8, 2, v28
	;; [unrolled: 1-line block ×3, first 2 shown]
	v_add_nc_u32_e32 v32, v1, v0
	v_lshrrev_b32_e32 v1, 5, v13
	v_add_nc_u32_e32 v31, v2, v0
	v_lshrrev_b32_e32 v2, 5, v15
	s_waitcnt vmcnt(0)
	ds_store_b32 v7, v3
	ds_store_b32 v8, v4 offset:1024
	ds_store_b32 v10, v6 offset:2048
	v_lshrrev_b32_e32 v3, 5, v17
	v_lshlrev_b32_e32 v4, 2, v32
	v_add_nc_u32_e32 v38, v1, v0
	v_lshlrev_b32_e32 v6, 2, v31
	v_add_nc_u32_e32 v37, v2, v0
	v_add_nc_u32_e32 v36, v3, v0
	ds_store_b32 v4, v5 offset:3072
	ds_store_b32 v6, v9 offset:4096
	v_lshlrev_b32_e32 v1, 2, v38
	v_lshlrev_b32_e32 v33, 3, v0
	v_lshrrev_b32_e32 v4, 2, v0
	s_cmp_eq_u64 s[34:35], s[24:25]
	v_lshlrev_b32_e32 v2, 2, v37
	v_lshlrev_b32_e32 v3, 2, v36
	s_cselect_b32 s9, 0, -4
	s_cselect_b32 s27, 0, -1
	s_add_u32 s34, s12, s9
	ds_store_b32 v1, v11 offset:5120
	ds_store_b32 v2, v14 offset:6144
	ds_store_b32 v3, v16 offset:7168
	v_add_nc_u32_e32 v1, v4, v33
	s_addc_u32 s35, s13, s27
	s_waitcnt lgkmcnt(0)
	s_barrier
	buffer_gl0_inv
	s_load_b32 s27, s[34:35], 0x0
	v_lshlrev_b32_e32 v34, 2, v1
	ds_load_2addr_b32 v[3:4], v34 offset0:6 offset1:7
	ds_load_2addr_b32 v[19:20], v34 offset1:1
	ds_load_2addr_b32 v[7:8], v34 offset0:4 offset1:5
	ds_load_2addr_b32 v[15:16], v34 offset0:2 offset1:3
	s_waitcnt lgkmcnt(0)
	v_mov_b32_e32 v35, s27
	s_mov_b32 s27, exec_lo
	ds_store_b32 v29, v4 offset:8448
	s_waitcnt lgkmcnt(0)
	s_barrier
	buffer_gl0_inv
	v_cmpx_ne_u32_e32 0, v0
	s_cbranch_execz .LBB72_19
; %bb.18:
	ds_load_b32 v35, v29 offset:8444
.LBB72_19:
	s_or_b32 exec_lo, exec_lo, s27
	v_add_co_u32 v5, s9, s10, v33
	s_delay_alu instid0(VALU_DEP_1)
	v_add_co_ci_u32_e64 v6, null, s11, 0, s9
	s_waitcnt lgkmcnt(0)
	s_barrier
	buffer_gl0_inv
                                        ; implicit-def: $vgpr1_vgpr2
	s_and_saveexec_b32 s9, vcc_lo
	s_cbranch_execnz .LBB72_160
; %bb.20:
	s_or_b32 exec_lo, exec_lo, s9
                                        ; implicit-def: $vgpr9_vgpr10
	s_and_saveexec_b32 s9, s2
	s_cbranch_execnz .LBB72_161
.LBB72_21:
	s_or_b32 exec_lo, exec_lo, s9
                                        ; implicit-def: $vgpr11_vgpr12
	s_and_saveexec_b32 s2, s5
	s_cbranch_execnz .LBB72_162
.LBB72_22:
	s_or_b32 exec_lo, exec_lo, s2
                                        ; implicit-def: $vgpr13_vgpr14
	s_and_saveexec_b32 s2, s4
	s_cbranch_execnz .LBB72_163
.LBB72_23:
	s_or_b32 exec_lo, exec_lo, s2
                                        ; implicit-def: $vgpr17_vgpr18
	s_and_saveexec_b32 s2, s3
	s_cbranch_execnz .LBB72_164
.LBB72_24:
	s_or_b32 exec_lo, exec_lo, s2
                                        ; implicit-def: $vgpr21_vgpr22
	s_and_saveexec_b32 s2, s6
	s_cbranch_execnz .LBB72_165
.LBB72_25:
	s_or_b32 exec_lo, exec_lo, s2
                                        ; implicit-def: $vgpr23_vgpr24
	s_and_saveexec_b32 s2, s7
	s_cbranch_execnz .LBB72_166
.LBB72_26:
	s_or_b32 exec_lo, exec_lo, s2
                                        ; implicit-def: $vgpr25_vgpr26
	s_and_saveexec_b32 s2, s8
	s_cbranch_execz .LBB72_28
.LBB72_27:
	v_add_co_u32 v5, vcc_lo, 0x3000, v5
	v_add_co_ci_u32_e32 v6, vcc_lo, 0, v6, vcc_lo
	global_load_b64 v[25:26], v[5:6], off offset:2048
.LBB72_28:
	s_or_b32 exec_lo, exec_lo, s2
	v_lshlrev_b32_e32 v5, 3, v30
	v_lshlrev_b32_e32 v6, 3, v28
	v_dual_mov_b32 v50, 0 :: v_dual_lshlrev_b32 v27, 3, v27
	v_mov_b32_e32 v45, 0
	s_waitcnt vmcnt(0)
	ds_store_b64 v5, v[1:2]
	ds_store_b64 v6, v[9:10] offset:2048
	ds_store_b64 v27, v[11:12] offset:4096
	v_dual_mov_b32 v30, 0 :: v_dual_lshlrev_b32 v1, 3, v32
	v_dual_mov_b32 v31, 0 :: v_dual_lshlrev_b32 v2, 3, v31
	v_lshlrev_b32_e32 v5, 3, v38
	v_lshlrev_b32_e32 v6, 3, v37
	v_lshlrev_b32_e32 v9, 3, v36
	ds_store_b64 v1, v[13:14] offset:6144
	ds_store_b64 v2, v[17:18] offset:8192
	;; [unrolled: 1-line block ×5, first 2 shown]
	v_mov_b32_e32 v1, 0
	v_mov_b32_e32 v2, 0
	s_mov_b32 s3, 0
	s_mov_b32 s5, 0
	s_mov_b64 s[6:7], 0
	s_mov_b32 s8, exec_lo
	v_dual_mov_b32 v22, v2 :: v_dual_mov_b32 v21, v1
	v_dual_mov_b32 v14, v2 :: v_dual_mov_b32 v13, v1
	;; [unrolled: 1-line block ×3, first 2 shown]
	v_mov_b32_e32 v6, v2
	v_dual_mov_b32 v40, v2 :: v_dual_mov_b32 v5, v1
	v_dual_mov_b32 v10, v2 :: v_dual_mov_b32 v39, v1
	v_mov_b32_e32 v9, v1
	s_waitcnt lgkmcnt(0)
	s_barrier
	buffer_gl0_inv
                                        ; implicit-def: $sgpr4
                                        ; implicit-def: $vgpr32
                                        ; implicit-def: $vgpr27_vgpr28
	v_cmpx_gt_u32_e64 s23, v33
	s_cbranch_execz .LBB72_42
; %bb.29:
	v_add_nc_u32_e32 v25, v34, v34
	v_dual_mov_b32 v39, 0 :: v_dual_mov_b32 v50, 0
	v_mov_b32_e32 v40, 0
	v_or_b32_e32 v5, 1, v33
	ds_load_b64 v[1:2], v25
	v_cmp_ne_u32_e32 vcc_lo, v35, v19
	v_dual_mov_b32 v30, 0 :: v_dual_mov_b32 v21, v39
	v_dual_mov_b32 v22, v40 :: v_dual_mov_b32 v13, v39
	;; [unrolled: 1-line block ×3, first 2 shown]
	v_cndmask_b32_e64 v45, 0, 1, vcc_lo
	v_cmp_gt_u32_e32 vcc_lo, s23, v5
	v_dual_mov_b32 v18, v40 :: v_dual_mov_b32 v5, v39
	v_dual_mov_b32 v6, v40 :: v_dual_mov_b32 v31, 0
	;; [unrolled: 1-line block ×3, first 2 shown]
	s_mov_b32 s2, 0
                                        ; implicit-def: $sgpr4
                                        ; implicit-def: $vgpr32
                                        ; implicit-def: $vgpr27_vgpr28
	s_and_saveexec_b32 s9, vcc_lo
	s_cbranch_execz .LBB72_41
; %bb.30:
	ds_load_2addr_b64 v[9:12], v25 offset0:1 offset1:2
	v_dual_mov_b32 v39, 0 :: v_dual_mov_b32 v50, 0
	v_mov_b32_e32 v40, 0
	v_or_b32_e32 v5, 2, v33
	v_cmp_ne_u32_e32 vcc_lo, v19, v20
	s_delay_alu instid0(VALU_DEP_4) | instskip(NEXT) | instid1(VALU_DEP_4)
	v_dual_mov_b32 v30, 0 :: v_dual_mov_b32 v21, v39
	v_dual_mov_b32 v22, v40 :: v_dual_mov_b32 v13, v39
	;; [unrolled: 1-line block ×3, first 2 shown]
	v_cndmask_b32_e64 v31, 0, 1, vcc_lo
	v_cmp_gt_u32_e32 vcc_lo, s23, v5
	v_dual_mov_b32 v18, v40 :: v_dual_mov_b32 v5, v39
	v_mov_b32_e32 v6, v40
                                        ; implicit-def: $sgpr3
                                        ; implicit-def: $vgpr32
                                        ; implicit-def: $vgpr27_vgpr28
	s_and_saveexec_b32 s27, vcc_lo
	s_cbranch_execz .LBB72_40
; %bb.31:
	s_waitcnt lgkmcnt(0)
	v_dual_mov_b32 v39, 0 :: v_dual_mov_b32 v6, v12
	v_dual_mov_b32 v5, v11 :: v_dual_mov_b32 v40, 0
	v_cmp_ne_u32_e32 vcc_lo, v20, v15
	s_delay_alu instid0(VALU_DEP_3) | instskip(NEXT) | instid1(VALU_DEP_3)
	v_dual_mov_b32 v50, 0 :: v_dual_mov_b32 v21, v39
	v_dual_mov_b32 v13, v39 :: v_dual_mov_b32 v22, v40
	;; [unrolled: 1-line block ×3, first 2 shown]
	v_or_b32_e32 v11, 3, v33
	v_cndmask_b32_e64 v30, 0, 1, vcc_lo
	v_mov_b32_e32 v18, v40
	s_mov_b32 s33, exec_lo
                                        ; implicit-def: $sgpr3
                                        ; implicit-def: $vgpr32
                                        ; implicit-def: $vgpr27_vgpr28
	s_delay_alu instid0(VALU_DEP_3)
	v_cmpx_gt_u32_e64 s23, v11
	s_cbranch_execz .LBB72_39
; %bb.32:
	ds_load_2addr_b64 v[17:20], v25 offset0:3 offset1:4
	v_mov_b32_e32 v39, 0
	v_mov_b32_e32 v40, 0
	v_cmp_ne_u32_e64 s4, v15, v16
	v_cmp_ne_u32_e32 vcc_lo, v7, v8
	v_or_b32_e32 v11, 4, v33
	v_cmp_ne_u32_e64 s2, v8, v3
	v_cmp_ne_u32_e64 s3, v16, v7
	v_cndmask_b32_e64 v50, 0, 1, s4
	v_dual_mov_b32 v21, v39 :: v_dual_mov_b32 v22, v40
	v_dual_mov_b32 v13, v39 :: v_dual_mov_b32 v14, v40
	s_mov_b32 s35, 0
	s_mov_b32 s34, exec_lo
                                        ; implicit-def: $sgpr36
                                        ; implicit-def: $vgpr32
                                        ; implicit-def: $vgpr27_vgpr28
	v_cmpx_gt_u32_e64 s23, v11
	s_cbranch_execz .LBB72_38
; %bb.33:
	v_cndmask_b32_e64 v7, 0, 1, s3
	v_cndmask_b32_e64 v8, 0, 1, s2
	v_cndmask_b32_e64 v11, 0, 1, vcc_lo
	s_waitcnt lgkmcnt(0)
	v_dual_mov_b32 v13, v19 :: v_dual_mov_b32 v14, v20
	v_lshlrev_b16 v7, 8, v7
	v_lshlrev_b16 v8, 8, v8
	s_mov_b32 s2, 0
	s_mov_b32 s3, exec_lo
                                        ; implicit-def: $sgpr4
                                        ; implicit-def: $vgpr27_vgpr28
	v_mov_b32_e32 v39, 0
	v_or_b32_e32 v7, v50, v7
	v_or_b32_e32 v8, v11, v8
	;; [unrolled: 1-line block ×3, first 2 shown]
	v_mov_b32_e32 v40, 0
	v_mov_b32_e32 v21, v39
	v_and_b32_e32 v7, 0xffff, v7
	v_lshlrev_b32_e32 v8, 16, v8
	s_delay_alu instid0(VALU_DEP_4) | instskip(NEXT) | instid1(VALU_DEP_2)
	v_mov_b32_e32 v22, v40
	v_or_b32_e32 v32, v7, v8
	s_delay_alu instid0(VALU_DEP_1)
	v_and_b32_e32 v50, 0xffff, v32
	v_cmpx_gt_u32_e64 s23, v11
	s_cbranch_execz .LBB72_37
; %bb.34:
	ds_load_2addr_b64 v[21:24], v25 offset0:5 offset1:6
	v_dual_mov_b32 v39, 0 :: v_dual_and_b32 v50, 0xffffff, v32
	v_or_b32_e32 v7, 6, v33
	v_mov_b32_e32 v40, 0
	s_mov_b32 s35, exec_lo
                                        ; implicit-def: $sgpr4
                                        ; implicit-def: $vgpr27_vgpr28
	s_delay_alu instid0(VALU_DEP_2)
	v_cmpx_gt_u32_e64 s23, v7
	s_xor_b32 s35, exec_lo, s35
	s_cbranch_execz .LBB72_36
; %bb.35:
	ds_load_b64 v[27:28], v25 offset:56
	v_or_b32_e32 v7, 7, v33
	v_cmp_ne_u32_e32 vcc_lo, v3, v4
	s_waitcnt lgkmcnt(1)
	v_mov_b32_e32 v40, v24
	v_dual_mov_b32 v26, v24 :: v_dual_mov_b32 v25, v23
	v_cmp_gt_u32_e64 s2, s23, v7
	v_dual_mov_b32 v50, v32 :: v_dual_mov_b32 v39, v23
	s_and_b32 s4, vcc_lo, exec_lo
	s_delay_alu instid0(VALU_DEP_2)
	s_and_b32 s2, s2, exec_lo
.LBB72_36:
	s_or_b32 exec_lo, exec_lo, s35
	s_delay_alu instid0(SALU_CYCLE_1)
	s_and_b32 s4, s4, exec_lo
	s_and_b32 s2, s2, exec_lo
.LBB72_37:
	s_or_b32 exec_lo, exec_lo, s3
	s_waitcnt lgkmcnt(0)
	v_dual_mov_b32 v15, v21 :: v_dual_mov_b32 v16, v22
	v_dual_mov_b32 v7, v17 :: v_dual_mov_b32 v8, v18
	;; [unrolled: 1-line block ×3, first 2 shown]
	s_and_b32 s36, s4, exec_lo
	s_and_b32 s35, s2, exec_lo
.LBB72_38:
	s_or_b32 exec_lo, exec_lo, s34
	s_delay_alu instid0(SALU_CYCLE_1)
	s_and_b32 s3, s36, exec_lo
	s_and_b32 s2, s35, exec_lo
.LBB72_39:
	s_or_b32 exec_lo, exec_lo, s33
	s_delay_alu instid0(SALU_CYCLE_1)
	s_and_b32 s3, s3, exec_lo
	s_and_b32 s2, s2, exec_lo
.LBB72_40:
	s_or_b32 exec_lo, exec_lo, s27
	s_delay_alu instid0(SALU_CYCLE_1)
	s_and_b32 s4, s3, exec_lo
	s_and_b32 s3, s2, exec_lo
.LBB72_41:
	s_or_b32 exec_lo, exec_lo, s9
	s_delay_alu instid0(SALU_CYCLE_1)
	s_and_b32 s4, s4, exec_lo
	s_and_b32 s3, s3, exec_lo
.LBB72_42:
	s_or_b32 exec_lo, exec_lo, s8
	s_mov_b32 s8, 0
	s_branch .LBB72_44
.LBB72_43:
	s_mov_b32 s5, -1
                                        ; implicit-def: $sgpr4
                                        ; implicit-def: $vgpr32
                                        ; implicit-def: $vgpr27_vgpr28
                                        ; implicit-def: $vgpr1_vgpr2
                                        ; implicit-def: $vgpr15_vgpr16
                                        ; implicit-def: $vgpr7_vgpr8
                                        ; implicit-def: $vgpr30
                                        ; implicit-def: $vgpr31
                                        ; implicit-def: $vgpr45
                                        ; implicit-def: $vgpr50
                                        ; implicit-def: $sgpr8
                                        ; implicit-def: $sgpr6_sgpr7
                                        ; implicit-def: $vgpr39_vgpr40
                                        ; implicit-def: $vgpr21_vgpr22
                                        ; implicit-def: $vgpr17_vgpr18
                                        ; implicit-def: $vgpr9_vgpr10
.LBB72_44:
	v_lshrrev_b32_e32 v47, 5, v0
	v_or_b32_e32 v49, 0x100, v0
	v_or_b32_e32 v48, 0x200, v0
	v_or_b32_e32 v46, 0x300, v0
	v_or_b32_e32 v44, 0x400, v0
	v_or_b32_e32 v43, 0x500, v0
	v_or_b32_e32 v42, 0x600, v0
	v_or_b32_e32 v41, 0x700, v0
	v_cmp_ne_u32_e64 s2, 0, v0
	s_and_b32 vcc_lo, exec_lo, s5
	s_cbranch_vccz .LBB72_48
; %bb.45:
	s_waitcnt lgkmcnt(0)
	v_add_co_u32 v1, s3, s12, v29
	s_delay_alu instid0(VALU_DEP_1) | instskip(SKIP_1) | instid1(VALU_DEP_3)
	v_add_co_ci_u32_e64 v2, null, s13, 0, s3
	v_lshrrev_b32_e32 v4, 5, v48
	v_add_co_u32 v1, vcc_lo, 0x1000, v1
	s_delay_alu instid0(VALU_DEP_3)
	v_add_co_ci_u32_e32 v2, vcc_lo, 0, v2, vcc_lo
	s_clause 0x7
	global_load_b32 v9, v29, s[12:13]
	global_load_b32 v10, v29, s[12:13] offset:1024
	global_load_b32 v11, v29, s[12:13] offset:2048
	;; [unrolled: 1-line block ×3, first 2 shown]
	global_load_b32 v17, v[1:2], off
	global_load_b32 v18, v[1:2], off offset:1024
	global_load_b32 v19, v[1:2], off offset:2048
	;; [unrolled: 1-line block ×3, first 2 shown]
	v_lshrrev_b32_e32 v2, 5, v49
	v_lshrrev_b32_e32 v5, 5, v46
	;; [unrolled: 1-line block ×3, first 2 shown]
	v_add_nc_u32_e32 v3, v47, v0
	v_lshrrev_b32_e32 v7, 5, v43
	v_lshrrev_b32_e32 v16, 5, v42
	;; [unrolled: 1-line block ×3, first 2 shown]
	s_sub_u32 s4, 0, s15
	s_subb_u32 s5, 0, 0
	v_add_nc_u32_e32 v15, v2, v0
	v_add_nc_u32_e32 v14, v4, v0
	v_lshrrev_b32_e32 v21, 2, v0
	s_cmp_eq_u64 s[4:5], s[24:25]
	v_add_nc_u32_e32 v13, v5, v0
	v_add_nc_u32_e32 v8, v6, v0
	v_lshlrev_b32_e32 v22, 2, v3
	v_add_nc_u32_e32 v7, v7, v0
	v_add_nc_u32_e32 v6, v16, v0
	;; [unrolled: 1-line block ×3, first 2 shown]
	s_cselect_b32 s3, 0, -4
	s_cselect_b32 s5, 0, -1
	v_lshlrev_b32_e32 v2, 2, v15
	s_add_u32 s4, s12, s3
	v_lshlrev_b32_e32 v20, 2, v14
	v_lshl_add_u32 v4, v0, 3, v21
	s_addc_u32 s5, s13, s5
	v_lshlrev_b32_e32 v21, 2, v13
	v_lshlrev_b32_e32 v23, 2, v8
	;; [unrolled: 1-line block ×6, first 2 shown]
	s_mov_b32 s3, -1
	s_waitcnt vmcnt(7)
	ds_store_b32 v22, v9
	s_waitcnt vmcnt(6)
	ds_store_b32 v2, v10 offset:1024
	s_waitcnt vmcnt(5)
	ds_store_b32 v20, v11 offset:2048
	;; [unrolled: 2-line block ×7, first 2 shown]
	s_waitcnt lgkmcnt(0)
	s_barrier
	buffer_gl0_inv
	s_load_b32 s4, s[4:5], 0x0
	ds_load_2addr_b32 v[11:12], v16 offset0:6 offset1:7
	ds_load_2addr_b32 v[9:10], v16 offset1:1
	ds_load_2addr_b32 v[1:2], v16 offset0:4 offset1:5
	ds_load_2addr_b32 v[17:18], v16 offset0:2 offset1:3
	s_waitcnt lgkmcnt(0)
	ds_store_b32 v29, v12 offset:8448
	s_waitcnt lgkmcnt(0)
	v_mov_b32_e32 v19, s4
	s_barrier
	buffer_gl0_inv
	s_and_saveexec_b32 s4, s2
	s_cbranch_execz .LBB72_47
; %bb.46:
	ds_load_b32 v19, v29 offset:8444
.LBB72_47:
	s_or_b32 exec_lo, exec_lo, s4
	v_lshlrev_b32_e32 v30, 3, v0
	s_waitcnt lgkmcnt(0)
	s_barrier
	buffer_gl0_inv
	v_lshlrev_b32_e32 v14, 3, v14
	v_add_co_u32 v26, s2, s10, v30
	s_delay_alu instid0(VALU_DEP_1) | instskip(SKIP_1) | instid1(VALU_DEP_3)
	v_add_co_ci_u32_e64 v27, null, s11, 0, s2
	v_lshlrev_b32_e32 v13, 3, v13
	v_add_co_u32 v20, vcc_lo, 0x1000, v26
	s_delay_alu instid0(VALU_DEP_3)
	v_add_co_ci_u32_e32 v21, vcc_lo, 0, v27, vcc_lo
	v_add_co_u32 v22, vcc_lo, v26, 0x2000
	v_add_co_ci_u32_e32 v23, vcc_lo, 0, v27, vcc_lo
	v_add_co_u32 v24, vcc_lo, 0x2000, v26
	v_add_co_ci_u32_e32 v25, vcc_lo, 0, v27, vcc_lo
	v_add_co_u32 v26, vcc_lo, 0x3000, v26
	v_add_co_ci_u32_e32 v27, vcc_lo, 0, v27, vcc_lo
	s_clause 0x7
	global_load_b64 v[28:29], v30, s[10:11]
	global_load_b64 v[30:31], v30, s[10:11] offset:2048
	global_load_b64 v[32:33], v[22:23], off offset:-4096
	global_load_b64 v[20:21], v[20:21], off offset:2048
	global_load_b64 v[22:23], v[22:23], off
	global_load_b64 v[24:25], v[24:25], off offset:2048
	global_load_b64 v[34:35], v[26:27], off
	global_load_b64 v[26:27], v[26:27], off offset:2048
	v_cmp_ne_u32_e32 vcc_lo, v18, v1
	v_lshlrev_b32_e32 v8, 3, v8
	v_lshlrev_b32_e32 v7, 3, v7
	;; [unrolled: 1-line block ×4, first 2 shown]
	v_cndmask_b32_e64 v36, 0, 1, vcc_lo
	v_cmp_ne_u32_e32 vcc_lo, v17, v18
	v_cmp_ne_u32_e64 s4, v11, v12
                                        ; implicit-def: $vgpr50
                                        ; implicit-def: $sgpr8
                                        ; implicit-def: $sgpr6_sgpr7
                                        ; implicit-def: $vgpr39_vgpr40
	v_cndmask_b32_e64 v18, 0, 1, vcc_lo
	v_cmp_ne_u32_e32 vcc_lo, v2, v11
	v_cndmask_b32_e64 v37, 0, 1, vcc_lo
	v_cmp_ne_u32_e32 vcc_lo, v1, v2
	v_lshlrev_b32_e32 v2, 3, v3
	v_lshlrev_b32_e32 v3, 3, v15
	v_lshlrev_b16 v15, 8, v36
	v_lshlrev_b16 v36, 8, v37
	v_cndmask_b32_e64 v1, 0, 1, vcc_lo
	v_lshl_add_u32 v37, v4, 2, v16
	v_cmp_ne_u32_e32 vcc_lo, v10, v17
	v_or_b32_e32 v18, v18, v15
	s_waitcnt vmcnt(7)
	ds_store_b64 v2, v[28:29]
	s_waitcnt vmcnt(6)
	ds_store_b64 v3, v[30:31] offset:2048
	s_waitcnt vmcnt(5)
	ds_store_b64 v14, v[32:33] offset:4096
	s_waitcnt vmcnt(4)
	ds_store_b64 v13, v[20:21] offset:6144
	s_waitcnt vmcnt(3)
	ds_store_b64 v8, v[22:23] offset:8192
	s_waitcnt vmcnt(2)
	ds_store_b64 v7, v[24:25] offset:10240
	s_waitcnt vmcnt(1)
	ds_store_b64 v6, v[34:35] offset:12288
	s_waitcnt vmcnt(0)
	ds_store_b64 v5, v[26:27] offset:14336
	v_or_b32_e32 v36, v1, v36
	s_waitcnt lgkmcnt(0)
	s_barrier
	buffer_gl0_inv
	ds_load_2addr_b64 v[1:4], v37 offset1:1
	ds_load_2addr_b64 v[5:8], v37 offset0:2 offset1:3
	ds_load_2addr_b64 v[13:16], v37 offset0:4 offset1:5
	;; [unrolled: 1-line block ×3, first 2 shown]
	v_cndmask_b32_e64 v30, 0, 1, vcc_lo
	v_cmp_ne_u32_e32 vcc_lo, v9, v10
	v_and_b32_e32 v18, 0xffff, v18
	v_lshlrev_b32_e32 v20, 16, v36
                                        ; implicit-def: $vgpr21_vgpr22
	v_cndmask_b32_e64 v31, 0, 1, vcc_lo
	v_cmp_ne_u32_e32 vcc_lo, v19, v9
	s_delay_alu instid0(VALU_DEP_3)
	v_or_b32_e32 v32, v18, v20
                                        ; implicit-def: $vgpr17_vgpr18
                                        ; implicit-def: $vgpr9_vgpr10
	v_cndmask_b32_e64 v45, 0, 1, vcc_lo
.LBB72_48:
	s_waitcnt lgkmcnt(0)
	v_dual_mov_b32 v12, s7 :: v_dual_mov_b32 v11, s6
	v_mov_b32_e32 v19, s8
	s_and_saveexec_b32 s2, s3
; %bb.49:
	v_cndmask_b32_e64 v19, 0, 1, s4
	v_dual_mov_b32 v10, v4 :: v_dual_mov_b32 v9, v3
	v_dual_mov_b32 v18, v8 :: v_dual_mov_b32 v17, v7
	;; [unrolled: 1-line block ×5, first 2 shown]
	v_mov_b32_e32 v50, v32
; %bb.50:
	s_or_b32 exec_lo, exec_lo, s2
	v_and_b32_e32 v54, 1, v31
	v_and_b32_e32 v55, 1, v30
	;; [unrolled: 1-line block ×3, first 2 shown]
	v_lshrrev_b32_e32 v57, 16, v50
	v_and_b32_e32 v61, 0xff, v31
	v_cmp_eq_u32_e32 vcc_lo, 1, v54
	v_and_b32_e32 v60, 0xff, v30
	v_cmp_eq_u32_e64 s10, 1, v55
	v_and_b32_e32 v59, 0xff, v50
	v_lshrrev_b32_e32 v58, 8, v50
	v_lshrrev_b32_e32 v56, 24, v50
	v_and_b32_e32 v53, 0xff, v19
	v_cmp_eq_u32_e64 s8, 1, v52
	v_mbcnt_lo_u32_b32 v51, -1, 0
	s_cmp_lg_u32 s15, 0
	s_barrier
	buffer_gl0_inv
	s_cbranch_scc0 .LBB72_115
; %bb.51:
	v_cmp_lt_u64_e64 s3, v[1:2], v[9:10]
	v_cmp_eq_u16_e64 s2, 0, v61
	v_and_b32_e32 v7, 0xff, v58
	v_and_b32_e32 v15, 0x1000000, v50
	;; [unrolled: 1-line block ×4, first 2 shown]
	s_and_b32 s3, s2, s3
	s_delay_alu instid0(VALU_DEP_3)
	v_cmp_ne_u32_e64 s9, 0, v15
	v_cndmask_b32_e64 v4, v10, v2, s3
	v_cndmask_b32_e64 v3, v9, v1, s3
	v_cmp_eq_u16_e64 s3, 0, v60
	v_cmp_ne_u32_e64 s11, 0, v16
	v_cmp_ne_u32_e64 s12, 0, v8
	s_or_b32 s8, s8, s9
	v_cmp_lt_u64_e64 s4, v[3:4], v[5:6]
	v_and_b32_e32 v8, 1, v45
	s_or_b32 s8, s8, s11
	v_and_b32_e32 v15, 15, v51
	s_or_b32 s11, s8, s12
	s_delay_alu instid0(VALU_DEP_3) | instskip(NEXT) | instid1(SALU_CYCLE_1)
	s_and_b32 s4, s3, s4
	v_cndmask_b32_e64 v4, v6, v4, s4
	v_cndmask_b32_e64 v3, v5, v3, s4
	v_cmp_eq_u16_e64 s4, 0, v59
	s_delay_alu instid0(VALU_DEP_2) | instskip(NEXT) | instid1(VALU_DEP_1)
	v_cmp_lt_u64_e64 s5, v[3:4], v[17:18]
	s_and_b32 s5, s4, s5
	s_delay_alu instid0(SALU_CYCLE_1) | instskip(SKIP_3) | instid1(VALU_DEP_3)
	v_cndmask_b32_e64 v4, v18, v4, s5
	v_cndmask_b32_e64 v3, v17, v3, s5
	v_cmp_eq_u16_e64 s5, 0, v7
	v_and_b32_e32 v7, 0xff, v57
	v_cmp_lt_u64_e64 s6, v[3:4], v[13:14]
	s_delay_alu instid0(VALU_DEP_1) | instskip(NEXT) | instid1(SALU_CYCLE_1)
	s_and_b32 s6, s5, s6
	v_cndmask_b32_e64 v4, v14, v4, s6
	v_cndmask_b32_e64 v3, v13, v3, s6
	v_cmp_eq_u16_e64 s6, 0, v7
	v_and_b32_e32 v7, 1, v50
	s_delay_alu instid0(VALU_DEP_3) | instskip(NEXT) | instid1(VALU_DEP_2)
	v_cmp_lt_u64_e64 s7, v[3:4], v[21:22]
	v_cmp_eq_u32_e64 s9, 1, v7
	s_delay_alu instid0(VALU_DEP_2) | instskip(NEXT) | instid1(VALU_DEP_1)
	s_and_b32 s7, s6, s7
	s_or_b32 s11, s11, s9
	v_cndmask_b32_e64 v4, v22, v4, s7
	v_cndmask_b32_e64 v3, v21, v3, s7
	v_cmp_eq_u16_e64 s7, 0, v56
	s_or_b32 s11, s11, s10
	v_cmp_eq_u32_e64 s9, 1, v8
	s_or_b32 s11, s11, vcc_lo
	v_cmp_lt_u64_e64 s13, v[3:4], v[39:40]
	s_delay_alu instid0(VALU_DEP_2) | instskip(SKIP_2) | instid1(VALU_DEP_2)
	s_or_b32 vcc_lo, s11, s9
	s_mov_b32 s11, exec_lo
	v_cndmask_b32_e64 v16, 0, 1, vcc_lo
	s_and_b32 s8, s7, s13
	v_cndmask_b32_e64 v19, 0, 1, vcc_lo
	v_cndmask_b32_e64 v4, v40, v4, s8
	v_cndmask_b32_e64 v3, v39, v3, s8
	v_cmp_eq_u16_e64 s8, 0, v53
	v_mov_b32_dpp v20, v16 row_shr:1 row_mask:0xf bank_mask:0xf
	s_delay_alu instid0(VALU_DEP_3) | instskip(NEXT) | instid1(VALU_DEP_1)
	v_cmp_lt_u64_e64 s10, v[3:4], v[11:12]
	s_and_b32 s10, s8, s10
	s_delay_alu instid0(SALU_CYCLE_1) | instskip(SKIP_1) | instid1(VALU_DEP_2)
	v_cndmask_b32_e64 v8, v12, v4, s10
	v_cndmask_b32_e64 v7, v11, v3, s10
	v_mov_b32_dpp v4, v8 row_shr:1 row_mask:0xf bank_mask:0xf
	s_delay_alu instid0(VALU_DEP_2)
	v_mov_b32_dpp v3, v7 row_shr:1 row_mask:0xf bank_mask:0xf
	v_cmpx_ne_u32_e32 0, v15
; %bb.52:
	s_delay_alu instid0(VALU_DEP_2) | instskip(NEXT) | instid1(VALU_DEP_1)
	v_cmp_lt_u64_e64 s10, v[3:4], v[7:8]
	v_cndmask_b32_e64 v3, v7, v3, s10
	v_and_b32_e32 v16, 1, v20
	v_cndmask_b32_e64 v4, v8, v4, s10
	s_delay_alu instid0(VALU_DEP_3) | instskip(NEXT) | instid1(VALU_DEP_3)
	v_cndmask_b32_e32 v7, v3, v7, vcc_lo
	v_or_b32_e32 v19, v16, v19
	s_delay_alu instid0(VALU_DEP_3) | instskip(NEXT) | instid1(VALU_DEP_2)
	v_cndmask_b32_e32 v8, v4, v8, vcc_lo
	v_and_b32_e32 v16, 0xffff, v19
; %bb.53:
	s_or_b32 exec_lo, exec_lo, s11
	v_mov_b32_dpp v3, v7 row_shr:2 row_mask:0xf bank_mask:0xf
	s_delay_alu instid0(VALU_DEP_3) | instskip(NEXT) | instid1(VALU_DEP_3)
	v_mov_b32_dpp v4, v8 row_shr:2 row_mask:0xf bank_mask:0xf
	v_mov_b32_dpp v20, v16 row_shr:2 row_mask:0xf bank_mask:0xf
	s_mov_b32 s13, exec_lo
	v_cmpx_lt_u32_e32 1, v15
; %bb.54:
	v_and_b32_e32 v16, 1, v19
	s_delay_alu instid0(VALU_DEP_3) | instskip(SKIP_2) | instid1(VALU_DEP_4)
	v_and_b32_e32 v20, 1, v20
	v_cmp_lt_u64_e64 s11, v[3:4], v[7:8]
	v_cmp_eq_u16_e64 s12, 0, v19
	v_cmp_eq_u32_e32 vcc_lo, 1, v16
	s_delay_alu instid0(VALU_DEP_4) | instskip(NEXT) | instid1(VALU_DEP_1)
	v_cmp_eq_u32_e64 s10, 1, v20
	s_or_b32 s10, vcc_lo, s10
	s_delay_alu instid0(VALU_DEP_3)
	s_and_b32 vcc_lo, s12, s11
	v_cndmask_b32_e64 v19, 0, 1, s10
	v_dual_cndmask_b32 v7, v7, v3 :: v_dual_cndmask_b32 v8, v8, v4
	v_cndmask_b32_e64 v16, 0, 1, s10
; %bb.55:
	s_or_b32 exec_lo, exec_lo, s13
	s_delay_alu instid0(VALU_DEP_2) | instskip(NEXT) | instid1(VALU_DEP_3)
	v_mov_b32_dpp v3, v7 row_shr:4 row_mask:0xf bank_mask:0xf
	v_mov_b32_dpp v4, v8 row_shr:4 row_mask:0xf bank_mask:0xf
	s_delay_alu instid0(VALU_DEP_3)
	v_mov_b32_dpp v20, v16 row_shr:4 row_mask:0xf bank_mask:0xf
	s_mov_b32 s13, exec_lo
	v_cmpx_lt_u32_e32 3, v15
; %bb.56:
	v_and_b32_e32 v16, 1, v19
	s_delay_alu instid0(VALU_DEP_3) | instskip(SKIP_2) | instid1(VALU_DEP_4)
	v_and_b32_e32 v20, 1, v20
	v_cmp_lt_u64_e64 s11, v[3:4], v[7:8]
	v_cmp_eq_u16_e64 s12, 0, v19
	v_cmp_eq_u32_e32 vcc_lo, 1, v16
	s_delay_alu instid0(VALU_DEP_4) | instskip(NEXT) | instid1(VALU_DEP_1)
	v_cmp_eq_u32_e64 s10, 1, v20
	s_or_b32 s10, vcc_lo, s10
	s_delay_alu instid0(VALU_DEP_3)
	s_and_b32 vcc_lo, s12, s11
	v_cndmask_b32_e64 v19, 0, 1, s10
	v_dual_cndmask_b32 v7, v7, v3 :: v_dual_cndmask_b32 v8, v8, v4
	v_cndmask_b32_e64 v16, 0, 1, s10
; %bb.57:
	s_or_b32 exec_lo, exec_lo, s13
	s_delay_alu instid0(VALU_DEP_2) | instskip(NEXT) | instid1(VALU_DEP_3)
	v_mov_b32_dpp v3, v7 row_shr:8 row_mask:0xf bank_mask:0xf
	v_mov_b32_dpp v4, v8 row_shr:8 row_mask:0xf bank_mask:0xf
	s_delay_alu instid0(VALU_DEP_3)
	v_mov_b32_dpp v20, v16 row_shr:8 row_mask:0xf bank_mask:0xf
	s_mov_b32 s13, exec_lo
	v_cmpx_lt_u32_e32 7, v15
; %bb.58:
	v_and_b32_e32 v15, 1, v19
	s_delay_alu instid0(VALU_DEP_3) | instskip(SKIP_2) | instid1(VALU_DEP_4)
	v_and_b32_e32 v16, 1, v20
	v_cmp_lt_u64_e64 s11, v[3:4], v[7:8]
	v_cmp_eq_u16_e64 s12, 0, v19
	v_cmp_eq_u32_e32 vcc_lo, 1, v15
	s_delay_alu instid0(VALU_DEP_4) | instskip(NEXT) | instid1(VALU_DEP_1)
	v_cmp_eq_u32_e64 s10, 1, v16
	s_or_b32 s10, vcc_lo, s10
	s_delay_alu instid0(VALU_DEP_3)
	s_and_b32 vcc_lo, s12, s11
	v_cndmask_b32_e64 v19, 0, 1, s10
	v_dual_cndmask_b32 v7, v7, v3 :: v_dual_cndmask_b32 v8, v8, v4
	v_cndmask_b32_e64 v16, 0, 1, s10
; %bb.59:
	s_or_b32 exec_lo, exec_lo, s13
	ds_swizzle_b32 v3, v7 offset:swizzle(BROADCAST,32,15)
	ds_swizzle_b32 v4, v8 offset:swizzle(BROADCAST,32,15)
	;; [unrolled: 1-line block ×3, first 2 shown]
	v_and_b32_e32 v16, 16, v51
	s_mov_b32 s13, exec_lo
	s_delay_alu instid0(VALU_DEP_1)
	v_cmpx_ne_u32_e32 0, v16
	s_cbranch_execz .LBB72_61
; %bb.60:
	v_and_b32_e32 v16, 1, v19
	s_waitcnt lgkmcnt(0)
	v_and_b32_e32 v15, 1, v15
	v_cmp_lt_u64_e64 s11, v[3:4], v[7:8]
	v_cmp_eq_u16_e64 s12, 0, v19
	v_cmp_eq_u32_e32 vcc_lo, 1, v16
	s_delay_alu instid0(VALU_DEP_4) | instskip(NEXT) | instid1(VALU_DEP_1)
	v_cmp_eq_u32_e64 s10, 1, v15
	s_or_b32 s10, vcc_lo, s10
	s_delay_alu instid0(VALU_DEP_3)
	s_and_b32 vcc_lo, s12, s11
	v_cndmask_b32_e64 v19, 0, 1, s10
	v_dual_cndmask_b32 v8, v8, v4 :: v_dual_cndmask_b32 v7, v7, v3
.LBB72_61:
	s_or_b32 exec_lo, exec_lo, s13
	s_waitcnt lgkmcnt(2)
	v_or_b32_e32 v3, 31, v0
	s_mov_b32 s10, exec_lo
	s_delay_alu instid0(VALU_DEP_1)
	v_cmpx_eq_u32_e64 v3, v0
	s_cbranch_execz .LBB72_63
; %bb.62:
	v_lshlrev_b32_e32 v3, 4, v47
	ds_store_b64 v3, v[7:8]
	ds_store_b8 v3, v19 offset:8
.LBB72_63:
	s_or_b32 exec_lo, exec_lo, s10
	s_delay_alu instid0(SALU_CYCLE_1)
	s_mov_b32 s13, exec_lo
	s_waitcnt lgkmcnt(0)
	s_barrier
	buffer_gl0_inv
	v_cmpx_gt_u32_e32 8, v0
	s_cbranch_execz .LBB72_71
; %bb.64:
	v_lshlrev_b32_e32 v20, 4, v0
	s_mov_b32 s11, exec_lo
	ds_load_b64 v[3:4], v20
	ds_load_b32 v27, v20 offset:8
	v_and_b32_e32 v23, 7, v51
	s_waitcnt lgkmcnt(1)
	v_mov_b32_dpp v15, v3 row_shr:1 row_mask:0xf bank_mask:0xf
	s_waitcnt lgkmcnt(0)
	v_mov_b32_e32 v24, v27
	v_mov_b32_dpp v16, v4 row_shr:1 row_mask:0xf bank_mask:0xf
	v_dual_mov_b32 v26, v27 :: v_dual_and_b32 v25, 0xffffff00, v27
	v_mov_b32_dpp v28, v27 row_shr:1 row_mask:0xf bank_mask:0xf
	v_cmpx_ne_u32_e32 0, v23
; %bb.65:
	v_and_b32_e32 v24, 0xff, v27
	s_delay_alu instid0(VALU_DEP_3) | instskip(SKIP_1) | instid1(VALU_DEP_3)
	v_or_b32_e32 v27, v28, v27
	v_cmp_lt_u64_e32 vcc_lo, v[15:16], v[3:4]
	v_cmp_eq_u16_e64 s10, 0, v24
	s_delay_alu instid0(VALU_DEP_3) | instskip(SKIP_1) | instid1(VALU_DEP_3)
	v_and_b32_e32 v26, 1, v27
	v_and_b32_e32 v24, 1, v27
	s_and_b32 vcc_lo, s10, vcc_lo
	s_delay_alu instid0(VALU_DEP_2)
	v_or_b32_e32 v27, v26, v25
	v_dual_cndmask_b32 v4, v4, v16 :: v_dual_cndmask_b32 v3, v3, v15
; %bb.66:
	s_or_b32 exec_lo, exec_lo, s11
	s_delay_alu instid0(VALU_DEP_1) | instskip(NEXT) | instid1(VALU_DEP_2)
	v_mov_b32_dpp v15, v3 row_shr:2 row_mask:0xf bank_mask:0xf
	v_mov_b32_dpp v16, v4 row_shr:2 row_mask:0xf bank_mask:0xf
	;; [unrolled: 1-line block ×3, first 2 shown]
	s_mov_b32 s23, exec_lo
	v_cmpx_lt_u32_e32 1, v23
	s_cbranch_execz .LBB72_68
; %bb.67:
	v_and_b32_e32 v24, 1, v26
	v_and_b32_e32 v27, 1, v28
	;; [unrolled: 1-line block ×3, first 2 shown]
	v_cmp_lt_u64_e64 s11, v[15:16], v[3:4]
	s_delay_alu instid0(VALU_DEP_4) | instskip(NEXT) | instid1(VALU_DEP_4)
	v_cmp_eq_u32_e32 vcc_lo, 1, v24
	v_cmp_eq_u32_e64 s10, 1, v27
	s_delay_alu instid0(VALU_DEP_4) | instskip(NEXT) | instid1(VALU_DEP_2)
	v_cmp_eq_u16_e64 s12, 0, v26
	s_or_b32 s10, vcc_lo, s10
	s_delay_alu instid0(VALU_DEP_1) | instskip(SKIP_3) | instid1(VALU_DEP_2)
	s_and_b32 vcc_lo, s12, s11
	v_cndmask_b32_e64 v24, 0, 1, s10
	v_cndmask_b32_e64 v26, 0, 1, s10
	v_dual_cndmask_b32 v4, v4, v16 :: v_dual_cndmask_b32 v3, v3, v15
	v_or_b32_e32 v27, v25, v26
	s_delay_alu instid0(VALU_DEP_4)
	v_mov_b32_e32 v26, v24
.LBB72_68:
	s_or_b32 exec_lo, exec_lo, s23
	s_delay_alu instid0(VALU_DEP_3)
	v_mov_b32_dpp v15, v3 row_shr:4 row_mask:0xf bank_mask:0xf
	v_mov_b32_dpp v16, v4 row_shr:4 row_mask:0xf bank_mask:0xf
	;; [unrolled: 1-line block ×3, first 2 shown]
	s_mov_b32 s23, exec_lo
	v_cmpx_lt_u32_e32 3, v23
	s_cbranch_execz .LBB72_70
; %bb.69:
	s_delay_alu instid0(VALU_DEP_2) | instskip(SKIP_3) | instid1(VALU_DEP_3)
	v_and_b32_e32 v24, 1, v25
	v_and_b32_e32 v25, 0xff, v26
	v_cmp_lt_u64_e32 vcc_lo, v[15:16], v[3:4]
	v_and_b32_e32 v23, 1, v26
	v_cmp_eq_u16_e64 s12, 0, v25
	v_cndmask_b32_e32 v16, v4, v16, vcc_lo
	s_delay_alu instid0(VALU_DEP_3) | instskip(NEXT) | instid1(VALU_DEP_3)
	v_cmp_eq_u32_e64 s10, 1, v23
	s_and_b32 vcc_lo, s12, vcc_lo
	v_cndmask_b32_e32 v3, v3, v15, vcc_lo
	v_cmp_eq_u32_e64 s11, 1, v24
	v_cndmask_b32_e64 v4, v4, v16, s12
	s_delay_alu instid0(VALU_DEP_2) | instskip(NEXT) | instid1(SALU_CYCLE_1)
	s_or_b32 s10, s10, s11
	v_cndmask_b32_e64 v24, 0, 1, s10
.LBB72_70:
	s_or_b32 exec_lo, exec_lo, s23
	ds_store_b64 v20, v[3:4]
	ds_store_b8 v20, v24 offset:8
.LBB72_71:
	s_or_b32 exec_lo, exec_lo, s13
	v_mov_b32_e32 v3, 0
	v_cmp_gt_u32_e32 vcc_lo, 32, v0
	v_dual_mov_b32 v4, 0 :: v_dual_mov_b32 v27, 0
	s_mov_b32 s12, exec_lo
	s_waitcnt lgkmcnt(0)
	s_barrier
	buffer_gl0_inv
	v_cmpx_lt_u32_e32 31, v0
	s_cbranch_execz .LBB72_73
; %bb.72:
	v_lshl_add_u32 v15, v47, 4, -16
	v_cmp_eq_u16_e64 s11, 0, v19
	ds_load_b64 v[3:4], v15
	ds_load_u8 v27, v15 offset:8
	s_waitcnt lgkmcnt(1)
	v_cmp_lt_u64_e64 s10, v[3:4], v[7:8]
	s_waitcnt lgkmcnt(0)
	v_or_b32_e32 v15, v19, v27
	s_delay_alu instid0(VALU_DEP_2) | instskip(NEXT) | instid1(VALU_DEP_1)
	s_and_b32 s10, s11, s10
	v_and_b32_e32 v19, 1, v15
	v_cndmask_b32_e64 v7, v7, v3, s10
	v_cndmask_b32_e64 v8, v8, v4, s10
.LBB72_73:
	s_or_b32 exec_lo, exec_lo, s12
	v_add_nc_u32_e32 v15, -1, v51
	v_and_b32_e32 v16, 0xffff, v19
	s_delay_alu instid0(VALU_DEP_2) | instskip(NEXT) | instid1(VALU_DEP_1)
	v_cmp_gt_i32_e64 s10, 0, v15
	v_cndmask_b32_e64 v15, v15, v51, s10
	v_cmp_eq_u32_e64 s10, 0, v51
	s_delay_alu instid0(VALU_DEP_2)
	v_lshlrev_b32_e32 v15, 2, v15
	ds_bpermute_b32 v28, v15, v7
	ds_bpermute_b32 v29, v15, v8
	;; [unrolled: 1-line block ×3, first 2 shown]
	s_and_saveexec_b32 s23, vcc_lo
	s_cbranch_execz .LBB72_112
; %bb.74:
	v_mov_b32_e32 v20, 0
	ds_load_b64 v[7:8], v20 offset:112
	ds_load_u8 v31, v20 offset:120
	s_and_saveexec_b32 s11, s10
	s_cbranch_execz .LBB72_76
; %bb.75:
	s_add_i32 s12, s15, 32
	s_mov_b32 s13, 0
	v_dual_mov_b32 v15, s12 :: v_dual_mov_b32 v16, 1
	s_lshl_b64 s[24:25], s[12:13], 4
	s_delay_alu instid0(SALU_CYCLE_1)
	s_add_u32 s12, s16, s24
	s_addc_u32 s13, s17, s25
	s_waitcnt lgkmcnt(1)
	global_store_b64 v20, v[7:8], s[12:13]
	s_waitcnt lgkmcnt(0)
	global_store_b8 v20, v31, s[12:13] offset:8
	s_waitcnt_vscnt null, 0x0
	buffer_gl1_inv
	buffer_gl0_inv
	global_store_b8 v15, v16, s[20:21]
.LBB72_76:
	s_or_b32 exec_lo, exec_lo, s11
	v_xad_u32 v15, v51, -1, s15
	s_mov_b32 s12, 0
	s_mov_b32 s11, exec_lo
	s_delay_alu instid0(VALU_DEP_1)
	v_add_nc_u32_e32 v19, 32, v15
	global_load_u8 v32, v19, s[20:21] glc
	s_waitcnt vmcnt(0)
	v_cmpx_eq_u16_e32 0, v32
	s_cbranch_execz .LBB72_80
; %bb.77:
	v_add_co_u32 v23, s13, s20, v19
	s_delay_alu instid0(VALU_DEP_1)
	v_add_co_ci_u32_e64 v24, null, s21, 0, s13
.LBB72_78:                              ; =>This Inner Loop Header: Depth=1
	global_load_u8 v32, v[23:24], off glc
	s_waitcnt vmcnt(0)
	v_cmp_ne_u16_e32 vcc_lo, 0, v32
	s_or_b32 s12, vcc_lo, s12
	s_delay_alu instid0(SALU_CYCLE_1)
	s_and_not1_b32 exec_lo, exec_lo, s12
	s_cbranch_execnz .LBB72_78
; %bb.79:
	s_or_b32 exec_lo, exec_lo, s12
.LBB72_80:
	s_delay_alu instid0(SALU_CYCLE_1)
	s_or_b32 exec_lo, exec_lo, s11
	v_dual_mov_b32 v16, s17 :: v_dual_mov_b32 v23, s16
	v_cmp_eq_u16_e32 vcc_lo, 1, v32
	v_lshlrev_b64 v[19:20], 4, v[19:20]
	s_waitcnt lgkmcnt(0)
	s_waitcnt_vscnt null, 0x0
	buffer_gl1_inv
	buffer_gl0_inv
	v_add_nc_u32_e32 v35, 1, v51
	v_lshlrev_b32_e64 v34, v51, -1
	v_cndmask_b32_e32 v23, s18, v23, vcc_lo
	v_cndmask_b32_e32 v16, s19, v16, vcc_lo
	s_mov_b32 s12, exec_lo
	s_delay_alu instid0(VALU_DEP_2) | instskip(NEXT) | instid1(VALU_DEP_2)
	v_add_co_u32 v19, vcc_lo, v23, v19
	v_add_co_ci_u32_e32 v20, vcc_lo, v16, v20, vcc_lo
	v_cmp_ne_u32_e32 vcc_lo, 31, v51
	s_clause 0x1
	global_load_u8 v25, v[19:20], off offset:8
	global_load_b64 v[23:24], v[19:20], off
	v_add_co_ci_u32_e32 v16, vcc_lo, 0, v51, vcc_lo
	v_cmp_eq_u16_e32 vcc_lo, 2, v32
	s_delay_alu instid0(VALU_DEP_2) | instskip(SKIP_1) | instid1(VALU_DEP_1)
	v_lshlrev_b32_e32 v33, 2, v16
	v_and_or_b32 v16, vcc_lo, v34, 0x80000000
	v_ctz_i32_b32_e32 v16, v16
	s_waitcnt vmcnt(1)
	v_and_b32_e32 v26, 1, v25
	s_waitcnt vmcnt(0)
	ds_bpermute_b32 v19, v33, v23
	ds_bpermute_b32 v20, v33, v24
	;; [unrolled: 1-line block ×3, first 2 shown]
	v_cmpx_le_u32_e64 v35, v16
	s_cbranch_execz .LBB72_82
; %bb.81:
	v_and_b32_e32 v26, 0xff, v25
	s_waitcnt lgkmcnt(0)
	v_and_b32_e32 v36, 1, v36
	v_cmp_lt_u64_e32 vcc_lo, v[19:20], v[23:24]
	s_delay_alu instid0(VALU_DEP_3) | instskip(NEXT) | instid1(VALU_DEP_3)
	v_cmp_eq_u16_e64 s11, 0, v26
	v_or_b32_e32 v25, v36, v25
	s_delay_alu instid0(VALU_DEP_2) | instskip(NEXT) | instid1(VALU_DEP_1)
	s_and_b32 vcc_lo, s11, vcc_lo
	v_dual_cndmask_b32 v23, v23, v19 :: v_dual_and_b32 v26, 0xff, v25
	v_cndmask_b32_e32 v24, v24, v20, vcc_lo
.LBB72_82:
	s_or_b32 exec_lo, exec_lo, s12
	v_cmp_gt_u32_e32 vcc_lo, 30, v51
	v_add_nc_u32_e32 v37, 2, v51
	s_mov_b32 s24, exec_lo
	s_waitcnt lgkmcnt(2)
	v_cndmask_b32_e64 v19, 0, 1, vcc_lo
	s_delay_alu instid0(VALU_DEP_1) | instskip(SKIP_1) | instid1(VALU_DEP_1)
	v_lshlrev_b32_e32 v19, 1, v19
	s_waitcnt lgkmcnt(0)
	v_add_lshl_u32 v36, v19, v51, 2
	ds_bpermute_b32 v19, v36, v23
	ds_bpermute_b32 v20, v36, v24
	ds_bpermute_b32 v38, v36, v26
	v_cmpx_le_u32_e64 v37, v16
	s_cbranch_execz .LBB72_84
; %bb.83:
	v_and_b32_e32 v26, 0xff, v25
	s_waitcnt lgkmcnt(1)
	v_cmp_lt_u64_e32 vcc_lo, v[19:20], v[23:24]
	s_waitcnt lgkmcnt(0)
	v_and_b32_e32 v38, 1, v38
	v_cmp_eq_u16_e64 s11, 0, v26
	s_delay_alu instid0(VALU_DEP_2) | instskip(NEXT) | instid1(VALU_DEP_2)
	v_cmp_eq_u32_e64 s13, 1, v38
	s_and_b32 vcc_lo, s11, vcc_lo
	v_dual_cndmask_b32 v24, v24, v20 :: v_dual_and_b32 v25, 1, v25
	v_cndmask_b32_e32 v23, v23, v19, vcc_lo
	s_delay_alu instid0(VALU_DEP_2) | instskip(NEXT) | instid1(VALU_DEP_1)
	v_cmp_eq_u32_e64 s12, 1, v25
	s_or_b32 s11, s12, s13
	s_delay_alu instid0(SALU_CYCLE_1)
	v_cndmask_b32_e64 v25, 0, 1, s11
	v_cndmask_b32_e64 v26, 0, 1, s11
.LBB72_84:
	s_or_b32 exec_lo, exec_lo, s24
	v_cmp_gt_u32_e32 vcc_lo, 28, v51
	v_add_nc_u32_e32 v62, 4, v51
	s_mov_b32 s24, exec_lo
	s_waitcnt lgkmcnt(2)
	v_cndmask_b32_e64 v19, 0, 1, vcc_lo
	s_delay_alu instid0(VALU_DEP_1) | instskip(SKIP_1) | instid1(VALU_DEP_1)
	v_lshlrev_b32_e32 v19, 2, v19
	s_waitcnt lgkmcnt(0)
	v_add_lshl_u32 v38, v19, v51, 2
	ds_bpermute_b32 v19, v38, v23
	ds_bpermute_b32 v20, v38, v24
	ds_bpermute_b32 v63, v38, v26
	v_cmpx_le_u32_e64 v62, v16
	s_cbranch_execz .LBB72_86
; %bb.85:
	v_and_b32_e32 v26, 0xff, v25
	s_waitcnt lgkmcnt(1)
	v_cmp_lt_u64_e32 vcc_lo, v[19:20], v[23:24]
	s_waitcnt lgkmcnt(0)
	v_and_b32_e32 v63, 1, v63
	v_cmp_eq_u16_e64 s11, 0, v26
	s_delay_alu instid0(VALU_DEP_2) | instskip(NEXT) | instid1(VALU_DEP_2)
	v_cmp_eq_u32_e64 s13, 1, v63
	s_and_b32 vcc_lo, s11, vcc_lo
	v_dual_cndmask_b32 v24, v24, v20 :: v_dual_and_b32 v25, 1, v25
	v_cndmask_b32_e32 v23, v23, v19, vcc_lo
	s_delay_alu instid0(VALU_DEP_2) | instskip(NEXT) | instid1(VALU_DEP_1)
	v_cmp_eq_u32_e64 s12, 1, v25
	s_or_b32 s11, s12, s13
	s_delay_alu instid0(SALU_CYCLE_1)
	v_cndmask_b32_e64 v25, 0, 1, s11
	v_cndmask_b32_e64 v26, 0, 1, s11
.LBB72_86:
	;; [unrolled: 34-line block ×3, first 2 shown]
	s_or_b32 exec_lo, exec_lo, s24
	v_cmp_gt_u32_e32 vcc_lo, 16, v51
	v_add_nc_u32_e32 v66, 16, v51
	s_mov_b32 s24, exec_lo
	s_waitcnt lgkmcnt(2)
	v_cndmask_b32_e64 v19, 0, 1, vcc_lo
	s_delay_alu instid0(VALU_DEP_1) | instskip(SKIP_1) | instid1(VALU_DEP_1)
	v_lshlrev_b32_e32 v19, 4, v19
	s_waitcnt lgkmcnt(0)
	v_add_lshl_u32 v65, v19, v51, 2
	ds_bpermute_b32 v19, v65, v23
	ds_bpermute_b32 v20, v65, v24
	;; [unrolled: 1-line block ×3, first 2 shown]
	v_cmpx_le_u32_e64 v66, v16
	s_cbranch_execz .LBB72_90
; %bb.89:
	s_waitcnt lgkmcnt(1)
	v_cmp_lt_u64_e32 vcc_lo, v[19:20], v[23:24]
	v_and_b32_e32 v16, 0xff, v25
	v_and_b32_e32 v25, 1, v25
	s_waitcnt lgkmcnt(0)
	v_and_b32_e32 v26, 1, v26
	v_cndmask_b32_e32 v20, v24, v20, vcc_lo
	v_cmp_eq_u16_e64 s11, 0, v16
	v_cmp_eq_u32_e64 s12, 1, v25
	s_delay_alu instid0(VALU_DEP_4) | instskip(NEXT) | instid1(VALU_DEP_3)
	v_cmp_eq_u32_e64 s13, 1, v26
	s_and_b32 vcc_lo, s11, vcc_lo
	v_cndmask_b32_e64 v24, v24, v20, s11
	s_delay_alu instid0(VALU_DEP_2)
	s_or_b32 s11, s12, s13
	v_cndmask_b32_e32 v23, v23, v19, vcc_lo
	v_cndmask_b32_e64 v25, 0, 1, s11
.LBB72_90:
	s_or_b32 exec_lo, exec_lo, s24
	v_mov_b32_e32 v16, 0
	s_branch .LBB72_92
.LBB72_91:                              ;   in Loop: Header=BB72_92 Depth=1
	s_or_b32 exec_lo, exec_lo, s25
	v_cmp_lt_u64_e32 vcc_lo, v[23:24], v[19:20]
	s_waitcnt lgkmcnt(2)
	v_and_b32_e32 v25, 0xff, v67
	s_waitcnt lgkmcnt(1)
	v_and_b32_e32 v26, 1, v67
	v_subrev_nc_u32_e32 v15, 32, v15
	v_cndmask_b32_e32 v24, v20, v24, vcc_lo
	v_cmp_eq_u16_e64 s11, 0, v25
	s_delay_alu instid0(VALU_DEP_4) | instskip(NEXT) | instid1(VALU_DEP_2)
	v_cmp_eq_u32_e64 s12, 1, v26
	v_cndmask_b32_e64 v24, v20, v24, s11
	s_and_b32 vcc_lo, s11, vcc_lo
	s_delay_alu instid0(VALU_DEP_2)
	s_or_b32 s11, s12, s24
	v_cndmask_b32_e32 v23, v19, v23, vcc_lo
	v_cndmask_b32_e64 v25, 0, 1, s11
.LBB72_92:                              ; =>This Loop Header: Depth=1
                                        ;     Child Loop BB72_95 Depth 2
	s_waitcnt lgkmcnt(2)
	v_and_b32_e32 v19, 0xff, v32
	s_delay_alu instid0(VALU_DEP_2) | instskip(NEXT) | instid1(VALU_DEP_2)
	v_mov_b32_e32 v67, v25
	v_cmp_ne_u16_e32 vcc_lo, 2, v19
	v_cndmask_b32_e64 v19, 0, 1, vcc_lo
	;;#ASMSTART
	;;#ASMEND
	s_delay_alu instid0(VALU_DEP_1)
	v_cmp_ne_u32_e32 vcc_lo, 0, v19
	s_waitcnt lgkmcnt(1)
	v_dual_mov_b32 v19, v23 :: v_dual_mov_b32 v20, v24
	s_cmp_lg_u32 vcc_lo, exec_lo
	s_cbranch_scc1 .LBB72_107
; %bb.93:                               ;   in Loop: Header=BB72_92 Depth=1
	global_load_u8 v32, v15, s[20:21] glc
	s_mov_b32 s11, exec_lo
	s_waitcnt vmcnt(0)
	v_cmpx_eq_u16_e32 0, v32
	s_cbranch_execz .LBB72_97
; %bb.94:                               ;   in Loop: Header=BB72_92 Depth=1
	v_add_co_u32 v23, s12, s20, v15
	s_delay_alu instid0(VALU_DEP_1)
	v_add_co_ci_u32_e64 v24, null, s21, 0, s12
	s_mov_b32 s12, 0
.LBB72_95:                              ;   Parent Loop BB72_92 Depth=1
                                        ; =>  This Inner Loop Header: Depth=2
	global_load_u8 v32, v[23:24], off glc
	s_waitcnt vmcnt(0)
	v_cmp_ne_u16_e32 vcc_lo, 0, v32
	s_or_b32 s12, vcc_lo, s12
	s_delay_alu instid0(SALU_CYCLE_1)
	s_and_not1_b32 exec_lo, exec_lo, s12
	s_cbranch_execnz .LBB72_95
; %bb.96:                               ;   in Loop: Header=BB72_92 Depth=1
	s_or_b32 exec_lo, exec_lo, s12
.LBB72_97:                              ;   in Loop: Header=BB72_92 Depth=1
	s_delay_alu instid0(SALU_CYCLE_1)
	s_or_b32 exec_lo, exec_lo, s11
	s_waitcnt lgkmcnt(0)
	v_dual_mov_b32 v25, s17 :: v_dual_mov_b32 v26, s16
	v_cmp_eq_u16_e32 vcc_lo, 1, v32
	v_lshlrev_b64 v[23:24], 4, v[15:16]
	buffer_gl1_inv
	buffer_gl0_inv
	s_mov_b32 s13, exec_lo
	v_cndmask_b32_e32 v26, s18, v26, vcc_lo
	v_cndmask_b32_e32 v25, s19, v25, vcc_lo
	s_delay_alu instid0(VALU_DEP_2) | instskip(NEXT) | instid1(VALU_DEP_2)
	v_add_co_u32 v23, vcc_lo, v26, v23
	v_add_co_ci_u32_e32 v24, vcc_lo, v25, v24, vcc_lo
	v_cmp_eq_u16_e32 vcc_lo, 2, v32
	s_clause 0x1
	global_load_u8 v68, v[23:24], off offset:8
	global_load_b64 v[23:24], v[23:24], off
	v_and_or_b32 v69, vcc_lo, v34, 0x80000000
	s_delay_alu instid0(VALU_DEP_1)
	v_ctz_i32_b32_e32 v69, v69
	s_waitcnt vmcnt(1)
	v_and_b32_e32 v70, 1, v68
	s_waitcnt vmcnt(0)
	ds_bpermute_b32 v25, v33, v23
	ds_bpermute_b32 v26, v33, v24
	;; [unrolled: 1-line block ×3, first 2 shown]
	v_cmp_eq_u32_e64 s24, 1, v70
	v_cmpx_le_u32_e64 v35, v69
	s_cbranch_execz .LBB72_99
; %bb.98:                               ;   in Loop: Header=BB72_92 Depth=1
	s_waitcnt lgkmcnt(0)
	v_and_b32_e32 v70, 1, v71
	v_and_b32_e32 v71, 0xff, v68
	v_cmp_lt_u64_e32 vcc_lo, v[25:26], v[23:24]
	s_delay_alu instid0(VALU_DEP_2) | instskip(NEXT) | instid1(VALU_DEP_1)
	v_cmp_eq_u16_e64 s11, 0, v71
	s_and_b32 vcc_lo, s11, vcc_lo
	s_and_not1_b32 s11, s24, exec_lo
	v_dual_cndmask_b32 v24, v24, v26 :: v_dual_cndmask_b32 v23, v23, v25
	v_or_b32_e32 v68, v70, v68
	s_delay_alu instid0(VALU_DEP_1) | instskip(NEXT) | instid1(VALU_DEP_1)
	v_and_b32_e32 v70, 1, v68
	v_cmp_eq_u32_e64 s12, 1, v70
	v_and_b32_e32 v70, 0xff, v68
	s_delay_alu instid0(VALU_DEP_2) | instskip(NEXT) | instid1(SALU_CYCLE_1)
	s_and_b32 s12, s12, exec_lo
	s_or_b32 s24, s11, s12
.LBB72_99:                              ;   in Loop: Header=BB72_92 Depth=1
	s_or_b32 exec_lo, exec_lo, s13
	s_waitcnt lgkmcnt(2)
	ds_bpermute_b32 v25, v36, v23
	s_waitcnt lgkmcnt(2)
	ds_bpermute_b32 v26, v36, v24
	s_waitcnt lgkmcnt(2)
	ds_bpermute_b32 v71, v36, v70
	s_mov_b32 s25, exec_lo
	v_cmpx_le_u32_e64 v37, v69
	s_cbranch_execz .LBB72_101
; %bb.100:                              ;   in Loop: Header=BB72_92 Depth=1
	v_and_b32_e32 v70, 0xff, v68
	s_waitcnt lgkmcnt(1)
	v_cmp_lt_u64_e32 vcc_lo, v[25:26], v[23:24]
	v_and_b32_e32 v68, 1, v68
	s_delay_alu instid0(VALU_DEP_3) | instskip(NEXT) | instid1(VALU_DEP_2)
	v_cmp_eq_u16_e64 s11, 0, v70
	v_cmp_eq_u32_e64 s12, 1, v68
	s_delay_alu instid0(VALU_DEP_2) | instskip(SKIP_3) | instid1(VALU_DEP_2)
	s_and_b32 vcc_lo, s11, vcc_lo
	s_waitcnt lgkmcnt(0)
	v_dual_cndmask_b32 v24, v24, v26 :: v_dual_and_b32 v71, 1, v71
	v_cndmask_b32_e32 v23, v23, v25, vcc_lo
	v_cmp_eq_u32_e64 s13, 1, v71
	s_delay_alu instid0(VALU_DEP_1) | instskip(SKIP_4) | instid1(SALU_CYCLE_1)
	s_or_b32 s11, s12, s13
	s_and_not1_b32 s12, s24, exec_lo
	v_cndmask_b32_e64 v68, 0, 1, s11
	v_cndmask_b32_e64 v70, 0, 1, s11
	s_and_b32 s11, s11, exec_lo
	s_or_b32 s24, s12, s11
.LBB72_101:                             ;   in Loop: Header=BB72_92 Depth=1
	s_or_b32 exec_lo, exec_lo, s25
	s_waitcnt lgkmcnt(2)
	ds_bpermute_b32 v25, v38, v23
	s_waitcnt lgkmcnt(2)
	ds_bpermute_b32 v26, v38, v24
	s_waitcnt lgkmcnt(2)
	ds_bpermute_b32 v71, v38, v70
	s_mov_b32 s25, exec_lo
	v_cmpx_le_u32_e64 v62, v69
	s_cbranch_execz .LBB72_103
; %bb.102:                              ;   in Loop: Header=BB72_92 Depth=1
	v_and_b32_e32 v70, 0xff, v68
	s_waitcnt lgkmcnt(1)
	v_cmp_lt_u64_e32 vcc_lo, v[25:26], v[23:24]
	v_and_b32_e32 v68, 1, v68
	s_delay_alu instid0(VALU_DEP_3) | instskip(NEXT) | instid1(VALU_DEP_2)
	v_cmp_eq_u16_e64 s11, 0, v70
	v_cmp_eq_u32_e64 s12, 1, v68
	s_delay_alu instid0(VALU_DEP_2) | instskip(SKIP_3) | instid1(VALU_DEP_2)
	s_and_b32 vcc_lo, s11, vcc_lo
	s_waitcnt lgkmcnt(0)
	v_dual_cndmask_b32 v24, v24, v26 :: v_dual_and_b32 v71, 1, v71
	v_cndmask_b32_e32 v23, v23, v25, vcc_lo
	v_cmp_eq_u32_e64 s13, 1, v71
	s_delay_alu instid0(VALU_DEP_1) | instskip(SKIP_4) | instid1(SALU_CYCLE_1)
	s_or_b32 s11, s12, s13
	s_and_not1_b32 s12, s24, exec_lo
	v_cndmask_b32_e64 v68, 0, 1, s11
	v_cndmask_b32_e64 v70, 0, 1, s11
	s_and_b32 s11, s11, exec_lo
	s_or_b32 s24, s12, s11
.LBB72_103:                             ;   in Loop: Header=BB72_92 Depth=1
	;; [unrolled: 32-line block ×3, first 2 shown]
	s_or_b32 exec_lo, exec_lo, s25
	s_waitcnt lgkmcnt(2)
	ds_bpermute_b32 v25, v65, v23
	s_waitcnt lgkmcnt(2)
	ds_bpermute_b32 v26, v65, v24
	ds_bpermute_b32 v70, v65, v70
	s_mov_b32 s25, exec_lo
	v_cmpx_le_u32_e64 v66, v69
	s_cbranch_execz .LBB72_91
; %bb.106:                              ;   in Loop: Header=BB72_92 Depth=1
	s_waitcnt lgkmcnt(1)
	v_cmp_lt_u64_e32 vcc_lo, v[25:26], v[23:24]
	v_and_b32_e32 v69, 0xff, v68
	s_waitcnt lgkmcnt(0)
	v_and_b32_e32 v70, 1, v70
	v_cndmask_b32_e32 v26, v24, v26, vcc_lo
	s_delay_alu instid0(VALU_DEP_3) | instskip(NEXT) | instid1(VALU_DEP_3)
	v_cmp_eq_u16_e64 s11, 0, v69
	v_cmp_eq_u32_e64 s13, 1, v70
	s_delay_alu instid0(VALU_DEP_2) | instskip(SKIP_2) | instid1(VALU_DEP_2)
	s_and_b32 vcc_lo, s11, vcc_lo
	v_dual_cndmask_b32 v23, v23, v25 :: v_dual_and_b32 v68, 1, v68
	v_cndmask_b32_e64 v24, v24, v26, s11
	v_cmp_eq_u32_e64 s12, 1, v68
	s_delay_alu instid0(VALU_DEP_1) | instskip(SKIP_2) | instid1(SALU_CYCLE_1)
	s_or_b32 s11, s12, s13
	s_and_not1_b32 s12, s24, exec_lo
	s_and_b32 s11, s11, exec_lo
	s_or_b32 s24, s12, s11
	s_branch .LBB72_91
.LBB72_107:                             ;   in Loop: Header=BB72_92 Depth=1
                                        ; implicit-def: $vgpr25
                                        ; implicit-def: $vgpr23_vgpr24
                                        ; implicit-def: $vgpr32
	s_cbranch_execz .LBB72_92
; %bb.108:
	s_and_saveexec_b32 s12, s10
	s_cbranch_execz .LBB72_110
; %bb.109:
	v_cmp_lt_u64_e32 vcc_lo, v[19:20], v[7:8]
	v_and_b32_e32 v15, 0xff, v31
	s_mov_b32 s17, 0
	s_add_i32 s16, s15, 32
	v_mov_b32_e32 v24, 2
	s_lshl_b64 s[24:25], s[16:17], 4
	v_cndmask_b32_e32 v16, v8, v20, vcc_lo
	v_cmp_eq_u16_e64 s11, 0, v15
	v_or_b32_e32 v15, v31, v67
	v_mov_b32_e32 v23, s16
	s_delay_alu instid0(VALU_DEP_3)
	s_and_b32 vcc_lo, s11, vcc_lo
	v_cndmask_b32_e64 v8, v8, v16, s11
	v_dual_cndmask_b32 v7, v7, v19 :: v_dual_mov_b32 v16, 0
	v_and_b32_e32 v15, 1, v15
	s_add_u32 s24, s18, s24
	s_addc_u32 s25, s19, s25
	s_clause 0x1
	global_store_b64 v16, v[7:8], s[24:25]
	global_store_b8 v16, v15, s[24:25] offset:8
	s_waitcnt lgkmcnt(0)
	s_waitcnt_vscnt null, 0x0
	buffer_gl1_inv
	buffer_gl0_inv
	global_store_b8 v23, v24, s[20:21]
.LBB72_110:
	s_or_b32 exec_lo, exec_lo, s12
	v_cmp_eq_u32_e32 vcc_lo, 0, v0
	s_and_b32 exec_lo, exec_lo, vcc_lo
	s_cbranch_execz .LBB72_112
; %bb.111:
	v_mov_b32_e32 v7, 0
	ds_store_b64 v7, v[19:20] offset:112
	ds_store_b8 v7, v67 offset:120
.LBB72_112:
	s_or_b32 exec_lo, exec_lo, s23
	v_dual_mov_b32 v7, 0 :: v_dual_mov_b32 v16, v2
	s_waitcnt lgkmcnt(0)
	s_waitcnt_vscnt null, 0x0
	s_barrier
	buffer_gl0_inv
	ds_load_b64 v[7:8], v7 offset:112
	v_mov_b32_e32 v19, v45
	v_mov_b32_e32 v15, v1
	s_mov_b32 s12, 0
	s_mov_b32 s13, exec_lo
	v_cmpx_ne_u32_e32 0, v0
	s_cbranch_execz .LBB72_114
; %bb.113:
	v_cndmask_b32_e64 v3, v28, v3, s10
	v_cndmask_b32_e64 v4, v29, v4, s10
	v_cndmask_b32_e64 v15, v30, v27, s10
	v_and_b32_e32 v16, 0xff, v45
	s_delay_alu instid0(VALU_DEP_3) | instskip(NEXT) | instid1(VALU_DEP_3)
	v_cmp_lt_u64_e32 vcc_lo, v[3:4], v[1:2]
	v_and_b32_e32 v15, 1, v15
	s_delay_alu instid0(VALU_DEP_3) | instskip(SKIP_1) | instid1(VALU_DEP_3)
	v_cmp_eq_u16_e64 s10, 0, v16
	v_cndmask_b32_e32 v4, v2, v4, vcc_lo
	v_cmp_eq_u32_e64 s11, 1, v15
	s_delay_alu instid0(VALU_DEP_3) | instskip(SKIP_1) | instid1(VALU_DEP_3)
	s_and_b32 vcc_lo, s10, vcc_lo
	v_cndmask_b32_e32 v15, v1, v3, vcc_lo
	v_cndmask_b32_e64 v16, v2, v4, s10
	s_delay_alu instid0(VALU_DEP_3) | instskip(NEXT) | instid1(SALU_CYCLE_1)
	s_or_b32 s9, s9, s11
	v_cndmask_b32_e64 v19, 0, 1, s9
.LBB72_114:
	s_or_b32 exec_lo, exec_lo, s13
	s_waitcnt lgkmcnt(0)
	v_cmp_lt_u64_e32 vcc_lo, v[7:8], v[15:16]
	s_delay_alu instid0(VALU_DEP_2) | instskip(NEXT) | instid1(VALU_DEP_1)
	v_dual_cndmask_b32 v4, v16, v8 :: v_dual_and_b32 v3, 0xff, v19
	v_cmp_eq_u16_e64 s9, 0, v3
	s_delay_alu instid0(VALU_DEP_1) | instskip(NEXT) | instid1(VALU_DEP_2)
	s_and_b32 vcc_lo, s9, vcc_lo
	v_cndmask_b32_e64 v20, v16, v4, s9
	v_cndmask_b32_e32 v19, v15, v7, vcc_lo
	s_delay_alu instid0(VALU_DEP_1) | instskip(SKIP_3) | instid1(VALU_DEP_2)
	v_cmp_lt_u64_e32 vcc_lo, v[19:20], v[9:10]
	v_cndmask_b32_e32 v3, v10, v20, vcc_lo
	s_and_b32 vcc_lo, s2, vcc_lo
	v_cndmask_b32_e32 v25, v9, v19, vcc_lo
	v_cndmask_b32_e64 v26, v10, v3, s2
	s_delay_alu instid0(VALU_DEP_1) | instskip(SKIP_3) | instid1(VALU_DEP_2)
	v_cmp_lt_u64_e32 vcc_lo, v[25:26], v[5:6]
	v_cndmask_b32_e32 v3, v6, v26, vcc_lo
	s_and_b32 vcc_lo, s3, vcc_lo
	v_cndmask_b32_e32 v27, v5, v25, vcc_lo
	v_cndmask_b32_e64 v28, v6, v3, s3
	s_delay_alu instid0(VALU_DEP_1) | instskip(SKIP_2) | instid1(VALU_DEP_1)
	v_cmp_lt_u64_e32 vcc_lo, v[27:28], v[17:18]
	v_cndmask_b32_e32 v3, v18, v28, vcc_lo
	s_and_b32 vcc_lo, s4, vcc_lo
	v_cndmask_b32_e64 v4, v18, v3, s4
	v_cndmask_b32_e32 v3, v17, v27, vcc_lo
	s_delay_alu instid0(VALU_DEP_1) | instskip(SKIP_3) | instid1(VALU_DEP_2)
	v_cmp_lt_u64_e32 vcc_lo, v[3:4], v[13:14]
	v_cndmask_b32_e32 v7, v14, v4, vcc_lo
	s_and_b32 vcc_lo, s5, vcc_lo
	v_cndmask_b32_e32 v31, v13, v3, vcc_lo
	v_cndmask_b32_e64 v32, v14, v7, s5
	s_delay_alu instid0(VALU_DEP_1) | instskip(SKIP_2) | instid1(VALU_DEP_1)
	v_cmp_lt_u64_e32 vcc_lo, v[31:32], v[21:22]
	v_cndmask_b32_e32 v7, v22, v32, vcc_lo
	s_and_b32 vcc_lo, s6, vcc_lo
	v_cndmask_b32_e64 v8, v22, v7, s6
	v_cndmask_b32_e32 v7, v21, v31, vcc_lo
	;; [unrolled: 12-line block ×3, first 2 shown]
	s_and_b32 vcc_lo, exec_lo, s12
	s_cbranch_vccnz .LBB72_116
	s_branch .LBB72_145
.LBB72_115:
                                        ; implicit-def: $vgpr19_vgpr20
                                        ; implicit-def: $vgpr15_vgpr16
                                        ; implicit-def: $vgpr7_vgpr8
                                        ; implicit-def: $vgpr3_vgpr4
                                        ; implicit-def: $vgpr35_vgpr36_vgpr37_vgpr38
                                        ; implicit-def: $vgpr31_vgpr32_vgpr33_vgpr34
                                        ; implicit-def: $vgpr27_vgpr28_vgpr29_vgpr30
                                        ; implicit-def: $vgpr23_vgpr24_vgpr25_vgpr26
	s_cbranch_execz .LBB72_145
.LBB72_116:
	v_cmp_eq_u32_e32 vcc_lo, 0, v0
	s_cmp_lg_u64 s[30:31], 0
	v_cmp_ne_u32_e64 s2, 0, v0
	s_cselect_b32 s3, -1, 0
	s_delay_alu instid0(SALU_CYCLE_1) | instskip(NEXT) | instid1(SALU_CYCLE_1)
	s_and_b32 s3, vcc_lo, s3
	s_and_saveexec_b32 s5, s3
	s_cbranch_execz .LBB72_118
; %bb.117:
	v_dual_mov_b32 v3, 0 :: v_dual_and_b32 v4, 0xff, v45
	s_load_b64 s[6:7], s[30:31], 0x0
	global_load_u8 v3, v3, s[30:31] offset:8
	v_cmp_eq_u16_e64 s4, 0, v4
	s_waitcnt lgkmcnt(0)
	v_cmp_lt_u64_e64 s3, s[6:7], v[1:2]
	s_delay_alu instid0(VALU_DEP_1) | instskip(NEXT) | instid1(VALU_DEP_3)
	v_cndmask_b32_e64 v7, v2, s7, s3
	s_and_b32 s3, s4, s3
	s_delay_alu instid0(SALU_CYCLE_1) | instskip(NEXT) | instid1(VALU_DEP_2)
	v_cndmask_b32_e64 v1, v1, s6, s3
	v_cndmask_b32_e64 v2, v2, v7, s4
	s_waitcnt vmcnt(0)
	v_or_b32_e32 v3, v45, v3
	s_delay_alu instid0(VALU_DEP_1)
	v_and_b32_e32 v45, 1, v3
.LBB72_118:
	s_or_b32 exec_lo, exec_lo, s5
	v_cmp_lt_u64_e64 s4, v[1:2], v[9:10]
	v_cmp_eq_u16_e64 s3, 0, v61
	v_and_b32_e32 v7, 0xff, v58
	v_lshrrev_b32_e32 v8, 23, v50
	v_and_b32_e32 v16, 0xff, v57
	v_and_b32_e32 v15, 1, v57
	s_and_b32 s4, s3, s4
	v_and_b32_e32 v19, 1, v50
	v_cndmask_b32_e64 v26, v10, v2, s4
	v_cndmask_b32_e64 v25, v9, v1, s4
	v_cmp_eq_u16_e64 s4, 0, v60
	v_and_b32_e32 v8, 2, v8
	v_cmp_eq_u32_e64 s12, 1, v52
	v_cmp_eq_u32_e64 s11, 1, v55
	v_cmp_lt_u64_e64 s5, v[25:26], v[5:6]
	v_cmp_eq_u32_e64 s10, 1, v54
	v_or_b32_e32 v8, v15, v8
	s_delay_alu instid0(VALU_DEP_3) | instskip(NEXT) | instid1(SALU_CYCLE_1)
	s_and_b32 s5, s4, s5
	v_cndmask_b32_e64 v28, v6, v26, s5
	v_cndmask_b32_e64 v27, v5, v25, s5
	v_cmp_eq_u16_e64 s5, 0, v59
	s_delay_alu instid0(VALU_DEP_2) | instskip(NEXT) | instid1(VALU_DEP_1)
	v_cmp_lt_u64_e64 s6, v[27:28], v[17:18]
	s_and_b32 s6, s5, s6
	s_delay_alu instid0(SALU_CYCLE_1) | instskip(SKIP_3) | instid1(VALU_DEP_3)
	v_cndmask_b32_e64 v4, v18, v28, s6
	v_cndmask_b32_e64 v3, v17, v27, s6
	v_cmp_eq_u16_e64 s6, 0, v7
	v_lshrrev_b16 v7, 7, v50
	v_cmp_lt_u64_e64 s7, v[3:4], v[13:14]
	s_delay_alu instid0(VALU_DEP_2) | instskip(NEXT) | instid1(VALU_DEP_2)
	v_and_b32_e32 v7, 2, v7
	s_and_b32 s7, s6, s7
	s_delay_alu instid0(VALU_DEP_1)
	v_or_b32_e32 v15, v19, v7
	v_cndmask_b32_e64 v32, v14, v4, s7
	v_cndmask_b32_e64 v31, v13, v3, s7
	v_cmp_eq_u16_e64 s7, 0, v16
	v_lshlrev_b16 v16, 2, v8
	v_and_b32_e32 v19, 1, v45
	s_delay_alu instid0(VALU_DEP_4) | instskip(NEXT) | instid1(VALU_DEP_3)
	v_cmp_lt_u64_e64 s8, v[31:32], v[21:22]
	v_or_b32_e32 v15, v15, v16
	s_delay_alu instid0(VALU_DEP_2) | instskip(NEXT) | instid1(VALU_DEP_1)
	s_and_b32 s8, s7, s8
	v_cmp_ne_u16_e64 s13, 0, v15
	v_cndmask_b32_e64 v8, v22, v32, s8
	v_cndmask_b32_e64 v7, v21, v31, s8
	v_cmp_eq_u16_e64 s8, 0, v56
	s_delay_alu instid0(VALU_DEP_4) | instskip(SKIP_1) | instid1(VALU_DEP_3)
	s_or_b32 s13, s13, s12
	v_cmp_eq_u32_e64 s12, 1, v19
	v_cmp_lt_u64_e64 s9, v[7:8], v[39:40]
	s_or_b32 s13, s13, s11
	s_delay_alu instid0(SALU_CYCLE_1)
	s_or_b32 s10, s13, s10
	s_delay_alu instid0(VALU_DEP_2) | instid1(SALU_CYCLE_1)
	s_or_b32 s10, s10, s12
	s_delay_alu instid0(VALU_DEP_1)
	s_and_b32 s9, s8, s9
	v_cndmask_b32_e64 v37, 0, 1, s10
	v_cndmask_b32_e64 v36, v40, v8, s9
	;; [unrolled: 1-line block ×3, first 2 shown]
	v_cmp_eq_u16_e64 s9, 0, v53
	v_cndmask_b32_e64 v33, 0, 1, s10
	v_mov_b32_dpp v38, v37 row_shr:1 row_mask:0xf bank_mask:0xf
	s_mov_b32 s12, exec_lo
	v_cmp_lt_u64_e64 s11, v[35:36], v[11:12]
	s_delay_alu instid0(VALU_DEP_1) | instskip(NEXT) | instid1(SALU_CYCLE_1)
	s_and_b32 s11, s9, s11
	v_cndmask_b32_e64 v16, v12, v36, s11
	v_cndmask_b32_e64 v15, v11, v35, s11
	v_and_b32_e32 v34, 15, v51
	s_delay_alu instid0(VALU_DEP_2)
	v_dual_mov_b32 v24, v16 :: v_dual_mov_b32 v23, v15
	v_mov_b32_dpp v30, v16 row_shr:1 row_mask:0xf bank_mask:0xf
	v_mov_b32_e32 v20, v16
	v_mov_b32_dpp v29, v15 row_shr:1 row_mask:0xf bank_mask:0xf
	v_mov_b32_e32 v19, v15
	v_cmpx_ne_u32_e32 0, v34
; %bb.119:
	s_delay_alu instid0(VALU_DEP_3) | instskip(SKIP_1) | instid1(VALU_DEP_1)
	v_cmp_lt_u64_e64 s11, v[29:30], v[15:16]
	v_and_b32_e32 v19, 1, v38
	v_or_b32_e32 v33, v19, v33
	s_delay_alu instid0(VALU_DEP_3) | instskip(SKIP_1) | instid1(VALU_DEP_2)
	v_cndmask_b32_e64 v20, v16, v30, s11
	v_cndmask_b32_e64 v23, v15, v29, s11
	;; [unrolled: 1-line block ×3, first 2 shown]
	s_delay_alu instid0(VALU_DEP_2) | instskip(NEXT) | instid1(VALU_DEP_2)
	v_cndmask_b32_e64 v19, v23, v15, s10
	v_dual_mov_b32 v24, v20 :: v_dual_and_b32 v37, 0xffff, v33
	s_delay_alu instid0(VALU_DEP_2)
	v_mov_b32_e32 v23, v19
; %bb.120:
	s_or_b32 exec_lo, exec_lo, s12
	v_mov_b32_dpp v29, v19 row_shr:2 row_mask:0xf bank_mask:0xf
	v_mov_b32_dpp v30, v20 row_shr:2 row_mask:0xf bank_mask:0xf
	;; [unrolled: 1-line block ×3, first 2 shown]
	s_mov_b32 s15, exec_lo
	v_cmpx_lt_u32_e32 1, v34
	s_cbranch_execz .LBB72_122
; %bb.121:
	v_cmp_lt_u64_e64 s10, v[29:30], v[23:24]
	v_and_b32_e32 v19, 1, v33
	v_and_b32_e32 v20, 1, v38
	v_cmp_eq_u16_e64 s11, 0, v33
	s_delay_alu instid0(VALU_DEP_3) | instskip(NEXT) | instid1(VALU_DEP_3)
	v_cmp_eq_u32_e64 s12, 1, v19
	v_cmp_eq_u32_e64 s13, 1, v20
	s_delay_alu instid0(VALU_DEP_3) | instskip(NEXT) | instid1(SALU_CYCLE_1)
	s_and_b32 s10, s11, s10
	v_cndmask_b32_e64 v20, v24, v30, s10
	v_cndmask_b32_e64 v19, v23, v29, s10
	s_delay_alu instid0(VALU_DEP_3) | instskip(NEXT) | instid1(SALU_CYCLE_1)
	s_or_b32 s11, s12, s13
	v_cndmask_b32_e64 v33, 0, 1, s11
	v_cndmask_b32_e64 v37, 0, 1, s11
	s_delay_alu instid0(VALU_DEP_3)
	v_dual_mov_b32 v24, v20 :: v_dual_mov_b32 v23, v19
.LBB72_122:
	s_or_b32 exec_lo, exec_lo, s15
	v_mov_b32_dpp v29, v19 row_shr:4 row_mask:0xf bank_mask:0xf
	v_mov_b32_dpp v30, v20 row_shr:4 row_mask:0xf bank_mask:0xf
	v_mov_b32_dpp v38, v37 row_shr:4 row_mask:0xf bank_mask:0xf
	s_mov_b32 s15, exec_lo
	v_cmpx_lt_u32_e32 3, v34
	s_cbranch_execz .LBB72_124
; %bb.123:
	v_cmp_lt_u64_e64 s10, v[29:30], v[23:24]
	v_and_b32_e32 v19, 1, v33
	v_and_b32_e32 v20, 1, v38
	v_cmp_eq_u16_e64 s11, 0, v33
	s_delay_alu instid0(VALU_DEP_3) | instskip(NEXT) | instid1(VALU_DEP_3)
	v_cmp_eq_u32_e64 s12, 1, v19
	v_cmp_eq_u32_e64 s13, 1, v20
	s_delay_alu instid0(VALU_DEP_3) | instskip(NEXT) | instid1(SALU_CYCLE_1)
	s_and_b32 s10, s11, s10
	v_cndmask_b32_e64 v20, v24, v30, s10
	v_cndmask_b32_e64 v19, v23, v29, s10
	s_delay_alu instid0(VALU_DEP_3) | instskip(NEXT) | instid1(SALU_CYCLE_1)
	s_or_b32 s11, s12, s13
	v_cndmask_b32_e64 v33, 0, 1, s11
	v_cndmask_b32_e64 v37, 0, 1, s11
	s_delay_alu instid0(VALU_DEP_3)
	v_dual_mov_b32 v24, v20 :: v_dual_mov_b32 v23, v19
.LBB72_124:
	s_or_b32 exec_lo, exec_lo, s15
	v_mov_b32_dpp v29, v19 row_shr:8 row_mask:0xf bank_mask:0xf
	v_mov_b32_dpp v30, v20 row_shr:8 row_mask:0xf bank_mask:0xf
	;; [unrolled: 1-line block ×3, first 2 shown]
	s_mov_b32 s15, exec_lo
	v_cmpx_lt_u32_e32 7, v34
	s_cbranch_execz .LBB72_126
; %bb.125:
	v_cmp_lt_u64_e64 s10, v[29:30], v[23:24]
	v_cmp_eq_u16_e64 s11, 0, v33
	s_delay_alu instid0(VALU_DEP_1) | instskip(NEXT) | instid1(SALU_CYCLE_1)
	s_and_b32 s10, s11, s10
	v_cndmask_b32_e64 v24, v24, v30, s10
	v_and_b32_e32 v19, 1, v33
	v_cndmask_b32_e64 v23, v23, v29, s10
	v_and_b32_e32 v20, 1, v38
	s_delay_alu instid0(VALU_DEP_1) | instskip(SKIP_3) | instid1(VALU_DEP_2)
	v_cmp_eq_u32_e64 s13, 1, v20
	v_mov_b32_e32 v20, v24
	v_cmp_eq_u32_e64 s12, 1, v19
	v_mov_b32_e32 v19, v23
	s_or_b32 s11, s12, s13
	s_delay_alu instid0(SALU_CYCLE_1)
	v_cndmask_b32_e64 v33, 0, 1, s11
	v_cndmask_b32_e64 v37, 0, 1, s11
.LBB72_126:
	s_or_b32 exec_lo, exec_lo, s15
	ds_swizzle_b32 v29, v19 offset:swizzle(BROADCAST,32,15)
	ds_swizzle_b32 v30, v20 offset:swizzle(BROADCAST,32,15)
	;; [unrolled: 1-line block ×3, first 2 shown]
	v_and_b32_e32 v37, 16, v51
	s_mov_b32 s15, exec_lo
	s_delay_alu instid0(VALU_DEP_1)
	v_cmpx_ne_u32_e32 0, v37
	s_cbranch_execz .LBB72_128
; %bb.127:
	s_waitcnt lgkmcnt(1)
	v_cmp_lt_u64_e64 s10, v[29:30], v[23:24]
	v_and_b32_e32 v19, 1, v33
	s_waitcnt lgkmcnt(0)
	v_and_b32_e32 v20, 1, v34
	v_cmp_eq_u16_e64 s11, 0, v33
	s_delay_alu instid0(VALU_DEP_3) | instskip(NEXT) | instid1(VALU_DEP_3)
	v_cmp_eq_u32_e64 s12, 1, v19
	v_cmp_eq_u32_e64 s13, 1, v20
	s_delay_alu instid0(VALU_DEP_3) | instskip(NEXT) | instid1(SALU_CYCLE_1)
	s_and_b32 s10, s11, s10
	v_cndmask_b32_e64 v20, v24, v30, s10
	v_cndmask_b32_e64 v19, v23, v29, s10
	s_delay_alu instid0(VALU_DEP_3) | instskip(NEXT) | instid1(SALU_CYCLE_1)
	s_or_b32 s11, s12, s13
	v_cndmask_b32_e64 v33, 0, 1, s11
	s_delay_alu instid0(VALU_DEP_2)
	v_dual_mov_b32 v24, v20 :: v_dual_mov_b32 v23, v19
.LBB72_128:
	s_or_b32 exec_lo, exec_lo, s15
	s_waitcnt lgkmcnt(2)
	v_or_b32_e32 v29, 31, v0
	s_mov_b32 s11, exec_lo
	s_delay_alu instid0(VALU_DEP_1)
	v_cmpx_eq_u32_e64 v29, v0
	s_cbranch_execz .LBB72_130
; %bb.129:
	v_lshlrev_b32_e32 v29, 4, v47
	ds_store_b64 v29, v[23:24]
	ds_store_b8 v29, v33 offset:8
.LBB72_130:
	s_or_b32 exec_lo, exec_lo, s11
	s_delay_alu instid0(SALU_CYCLE_1)
	s_mov_b32 s15, exec_lo
	s_waitcnt lgkmcnt(0)
	s_barrier
	buffer_gl0_inv
	v_cmpx_gt_u32_e32 8, v0
	s_cbranch_execz .LBB72_138
; %bb.131:
	v_lshlrev_b32_e32 v34, 4, v0
	s_mov_b32 s12, exec_lo
	ds_load_b64 v[23:24], v34
	ds_load_b32 v53, v34 offset:8
	v_and_b32_e32 v37, 7, v51
	s_waitcnt lgkmcnt(1)
	v_mov_b32_dpp v29, v23 row_shr:1 row_mask:0xf bank_mask:0xf
	s_waitcnt lgkmcnt(0)
	v_mov_b32_e32 v38, v53
	v_mov_b32_dpp v30, v24 row_shr:1 row_mask:0xf bank_mask:0xf
	v_and_b32_e32 v50, 0xffffff00, v53
	v_mov_b32_dpp v54, v53 row_shr:1 row_mask:0xf bank_mask:0xf
	v_mov_b32_e32 v52, v53
	v_cmpx_ne_u32_e32 0, v37
; %bb.132:
	v_and_b32_e32 v38, 0xff, v53
	s_delay_alu instid0(VALU_DEP_4) | instskip(SKIP_1) | instid1(VALU_DEP_3)
	v_or_b32_e32 v53, v54, v53
	v_cmp_lt_u64_e64 s10, v[29:30], v[23:24]
	v_cmp_eq_u16_e64 s11, 0, v38
	s_delay_alu instid0(VALU_DEP_3) | instskip(SKIP_1) | instid1(VALU_DEP_3)
	v_and_b32_e32 v52, 1, v53
	v_and_b32_e32 v38, 1, v53
	s_and_b32 s10, s11, s10
	s_delay_alu instid0(VALU_DEP_2)
	v_or_b32_e32 v53, v52, v50
	v_cndmask_b32_e64 v24, v24, v30, s10
	v_cndmask_b32_e64 v23, v23, v29, s10
; %bb.133:
	s_or_b32 exec_lo, exec_lo, s12
	s_delay_alu instid0(VALU_DEP_1) | instskip(NEXT) | instid1(VALU_DEP_3)
	v_mov_b32_dpp v29, v23 row_shr:2 row_mask:0xf bank_mask:0xf
	v_mov_b32_dpp v30, v24 row_shr:2 row_mask:0xf bank_mask:0xf
	;; [unrolled: 1-line block ×3, first 2 shown]
	s_mov_b32 s16, exec_lo
	v_cmpx_lt_u32_e32 1, v37
	s_cbranch_execz .LBB72_135
; %bb.134:
	v_and_b32_e32 v38, 1, v52
	v_and_b32_e32 v53, 1, v54
	;; [unrolled: 1-line block ×3, first 2 shown]
	v_cmp_lt_u64_e64 s12, v[29:30], v[23:24]
	s_delay_alu instid0(VALU_DEP_4) | instskip(NEXT) | instid1(VALU_DEP_4)
	v_cmp_eq_u32_e64 s10, 1, v38
	v_cmp_eq_u32_e64 s11, 1, v53
	s_delay_alu instid0(VALU_DEP_4) | instskip(NEXT) | instid1(VALU_DEP_2)
	v_cmp_eq_u16_e64 s13, 0, v52
	s_or_b32 s10, s10, s11
	s_delay_alu instid0(SALU_CYCLE_1) | instskip(SKIP_1) | instid1(VALU_DEP_3)
	v_cndmask_b32_e64 v38, 0, 1, s10
	v_cndmask_b32_e64 v52, 0, 1, s10
	s_and_b32 s10, s13, s12
	s_delay_alu instid0(SALU_CYCLE_1) | instskip(SKIP_1) | instid1(VALU_DEP_3)
	v_cndmask_b32_e64 v24, v24, v30, s10
	v_cndmask_b32_e64 v23, v23, v29, s10
	v_or_b32_e32 v53, v50, v52
	v_mov_b32_e32 v52, v38
.LBB72_135:
	s_or_b32 exec_lo, exec_lo, s16
	s_delay_alu instid0(VALU_DEP_3)
	v_mov_b32_dpp v29, v23 row_shr:4 row_mask:0xf bank_mask:0xf
	v_mov_b32_dpp v30, v24 row_shr:4 row_mask:0xf bank_mask:0xf
	;; [unrolled: 1-line block ×3, first 2 shown]
	s_mov_b32 s16, exec_lo
	v_cmpx_lt_u32_e32 3, v37
	s_cbranch_execz .LBB72_137
; %bb.136:
	v_and_b32_e32 v37, 1, v52
	v_and_b32_e32 v38, 1, v50
	v_and_b32_e32 v50, 0xff, v52
	v_cmp_lt_u64_e64 s10, v[29:30], v[23:24]
	s_delay_alu instid0(VALU_DEP_4) | instskip(NEXT) | instid1(VALU_DEP_4)
	v_cmp_eq_u32_e64 s11, 1, v37
	v_cmp_eq_u32_e64 s12, 1, v38
	s_delay_alu instid0(VALU_DEP_4) | instskip(NEXT) | instid1(VALU_DEP_4)
	v_cmp_eq_u16_e64 s13, 0, v50
	v_cndmask_b32_e64 v30, v24, v30, s10
	s_delay_alu instid0(VALU_DEP_3) | instskip(NEXT) | instid1(VALU_DEP_2)
	s_or_b32 s11, s11, s12
	s_and_b32 s10, s13, s10
	v_cndmask_b32_e64 v38, 0, 1, s11
	s_delay_alu instid0(VALU_DEP_2)
	v_cndmask_b32_e64 v24, v24, v30, s13
	v_cndmask_b32_e64 v23, v23, v29, s10
.LBB72_137:
	s_or_b32 exec_lo, exec_lo, s16
	ds_store_b64 v34, v[23:24]
	ds_store_b8 v34, v38 offset:8
.LBB72_138:
	s_or_b32 exec_lo, exec_lo, s15
	v_mov_b32_e32 v23, 0
	v_mov_b32_e32 v24, 0
	s_mov_b32 s12, exec_lo
	s_waitcnt lgkmcnt(0)
	s_barrier
	buffer_gl0_inv
	v_cmpx_lt_u32_e32 31, v0
	s_cbranch_execz .LBB72_140
; %bb.139:
	v_lshl_add_u32 v23, v47, 4, -16
	v_cmp_eq_u16_e64 s11, 0, v33
	ds_load_b64 v[23:24], v23
	s_waitcnt lgkmcnt(0)
	v_cmp_lt_u64_e64 s10, v[23:24], v[19:20]
	s_delay_alu instid0(VALU_DEP_1) | instskip(NEXT) | instid1(SALU_CYCLE_1)
	s_and_b32 s10, s11, s10
	v_cndmask_b32_e64 v19, v19, v23, s10
	v_cndmask_b32_e64 v20, v20, v24, s10
.LBB72_140:
	s_or_b32 exec_lo, exec_lo, s12
	v_add_nc_u32_e32 v29, -1, v51
	s_delay_alu instid0(VALU_DEP_1) | instskip(NEXT) | instid1(VALU_DEP_1)
	v_cmp_gt_i32_e64 s10, 0, v29
	v_cndmask_b32_e64 v29, v29, v51, s10
	s_delay_alu instid0(VALU_DEP_1)
	v_lshlrev_b32_e32 v29, 2, v29
	ds_bpermute_b32 v19, v29, v19
	ds_bpermute_b32 v20, v29, v20
	s_and_saveexec_b32 s11, s2
	s_cbranch_execz .LBB72_142
; %bb.141:
	v_cmp_eq_u32_e64 s2, 0, v51
	v_and_b32_e32 v7, 0xff, v45
	s_waitcnt lgkmcnt(0)
	s_delay_alu instid0(VALU_DEP_2) | instskip(SKIP_1) | instid1(VALU_DEP_3)
	v_cndmask_b32_e64 v4, v20, v24, s2
	v_cndmask_b32_e64 v3, v19, v23, s2
	v_cmp_eq_u16_e64 s10, 0, v7
	s_delay_alu instid0(VALU_DEP_2) | instskip(NEXT) | instid1(VALU_DEP_1)
	v_cmp_lt_u64_e64 s2, v[3:4], v[1:2]
	v_cndmask_b32_e64 v4, v2, v4, s2
	s_delay_alu instid0(VALU_DEP_3) | instskip(NEXT) | instid1(SALU_CYCLE_1)
	s_and_b32 s2, s10, s2
	v_cndmask_b32_e64 v1, v1, v3, s2
	s_delay_alu instid0(VALU_DEP_2) | instskip(NEXT) | instid1(VALU_DEP_1)
	v_cndmask_b32_e64 v2, v2, v4, s10
	v_cmp_lt_u64_e64 s2, v[1:2], v[9:10]
	s_delay_alu instid0(VALU_DEP_1) | instskip(SKIP_1) | instid1(SALU_CYCLE_1)
	v_cndmask_b32_e64 v3, v10, v2, s2
	s_and_b32 s2, s3, s2
	v_cndmask_b32_e64 v25, v9, v1, s2
	s_delay_alu instid0(VALU_DEP_2) | instskip(NEXT) | instid1(VALU_DEP_1)
	v_cndmask_b32_e64 v26, v10, v3, s3
	v_cmp_lt_u64_e64 s2, v[25:26], v[5:6]
	s_delay_alu instid0(VALU_DEP_1) | instskip(SKIP_1) | instid1(SALU_CYCLE_1)
	v_cndmask_b32_e64 v3, v6, v26, s2
	s_and_b32 s2, s4, s2
	v_cndmask_b32_e64 v27, v5, v25, s2
	s_delay_alu instid0(VALU_DEP_2) | instskip(NEXT) | instid1(VALU_DEP_1)
	v_cndmask_b32_e64 v28, v6, v3, s4
	v_cmp_lt_u64_e64 s2, v[27:28], v[17:18]
	s_delay_alu instid0(VALU_DEP_1) | instskip(SKIP_1) | instid1(VALU_DEP_1)
	v_cndmask_b32_e64 v3, v18, v28, s2
	s_and_b32 s2, s5, s2
	v_cndmask_b32_e64 v4, v18, v3, s5
	v_cndmask_b32_e64 v3, v17, v27, s2
	s_delay_alu instid0(VALU_DEP_1) | instskip(NEXT) | instid1(VALU_DEP_1)
	v_cmp_lt_u64_e64 s2, v[3:4], v[13:14]
	v_cndmask_b32_e64 v5, v14, v4, s2
	s_and_b32 s2, s6, s2
	s_delay_alu instid0(SALU_CYCLE_1) | instskip(NEXT) | instid1(VALU_DEP_2)
	v_cndmask_b32_e64 v31, v13, v3, s2
	v_cndmask_b32_e64 v32, v14, v5, s6
	s_delay_alu instid0(VALU_DEP_1) | instskip(NEXT) | instid1(VALU_DEP_1)
	v_cmp_lt_u64_e64 s2, v[31:32], v[21:22]
	v_cndmask_b32_e64 v5, v22, v32, s2
	s_and_b32 s2, s7, s2
	s_delay_alu instid0(SALU_CYCLE_1) | instskip(NEXT) | instid1(VALU_DEP_2)
	;; [unrolled: 7-line block ×4, first 2 shown]
	v_cndmask_b32_e64 v15, v11, v35, s2
	v_cndmask_b32_e64 v16, v12, v5, s9
.LBB72_142:
	s_or_b32 exec_lo, exec_lo, s11
	s_and_saveexec_b32 s2, vcc_lo
	s_cbranch_execz .LBB72_144
; %bb.143:
	v_mov_b32_e32 v9, 0
	v_mov_b32_e32 v11, 2
	ds_load_b64 v[5:6], v9 offset:112
	ds_load_u8 v10, v9 offset:120
	s_waitcnt lgkmcnt(1)
	global_store_b64 v9, v[5:6], s[18:19] offset:512
	s_waitcnt lgkmcnt(0)
	global_store_b8 v9, v10, s[18:19] offset:520
	s_waitcnt_vscnt null, 0x0
	buffer_gl1_inv
	buffer_gl0_inv
	global_store_b8 v9, v11, s[20:21] offset:32
.LBB72_144:
	s_or_b32 exec_lo, exec_lo, s2
	s_waitcnt lgkmcnt(0)
	v_dual_mov_b32 v20, v2 :: v_dual_mov_b32 v19, v1
.LBB72_145:
	s_load_b64 s[0:1], s[0:1], 0x18
	v_lshlrev_b32_e32 v33, 1, v0
	v_lshlrev_b32_e32 v2, 3, v0
	s_waitcnt lgkmcnt(0)
	s_add_u32 s0, s0, s28
	s_addc_u32 s1, s1, s29
	s_and_b32 vcc_lo, exec_lo, s14
	s_cbranch_vccz .LBB72_155
; %bb.146:
	v_and_b32_e32 v1, 0x1f8, v33
	v_lshrrev_b32_e32 v5, 5, v49
	v_lshrrev_b32_e32 v6, 5, v48
	s_waitcnt_vscnt null, 0x0
	s_barrier
	v_lshl_add_u32 v1, v0, 6, v1
	buffer_gl0_inv
	v_lshrrev_b32_e32 v9, 5, v44
	v_lshrrev_b32_e32 v10, 5, v43
	;; [unrolled: 1-line block ×3, first 2 shown]
	ds_store_2addr_b64 v1, v[19:20], v[25:26] offset1:1
	ds_store_2addr_b64 v1, v[27:28], v[3:4] offset0:2 offset1:3
	ds_store_2addr_b64 v1, v[31:32], v[7:8] offset0:4 offset1:5
	;; [unrolled: 1-line block ×3, first 2 shown]
	v_add_lshl_u32 v1, v5, v0, 3
	v_add_lshl_u32 v5, v6, v0, 3
	v_lshrrev_b32_e32 v6, 5, v46
	v_lshrrev_b32_e32 v12, 5, v41
	v_add_lshl_u32 v9, v9, v0, 3
	v_add_lshl_u32 v10, v10, v0, 3
	s_waitcnt lgkmcnt(0)
	v_add_lshl_u32 v6, v6, v0, 3
	s_barrier
	buffer_gl0_inv
	v_add_lshl_u32 v11, v11, v0, 3
	v_add_lshl_u32 v12, v12, v0, 3
	ds_load_b64 v[29:30], v1 offset:2048
	ds_load_b64 v[23:24], v5 offset:4096
	;; [unrolled: 1-line block ×7, first 2 shown]
	v_add_co_u32 v11, s3, s0, v2
	v_mov_b32_e32 v1, 0
	v_add_co_ci_u32_e64 v12, null, s1, 0, s3
	s_lshl_b32 s2, s26, 11
	s_mov_b32 s3, exec_lo
	s_sub_i32 s2, s22, s2
	s_delay_alu instid0(SALU_CYCLE_1)
	v_cmpx_gt_u32_e64 s2, v0
	s_cbranch_execnz .LBB72_167
; %bb.147:
	s_or_b32 exec_lo, exec_lo, s3
	s_delay_alu instid0(SALU_CYCLE_1)
	s_mov_b32 s3, exec_lo
	v_cmpx_gt_u32_e64 s2, v49
	s_cbranch_execnz .LBB72_168
.LBB72_148:
	s_or_b32 exec_lo, exec_lo, s3
	s_delay_alu instid0(SALU_CYCLE_1)
	s_mov_b32 s3, exec_lo
	v_cmpx_gt_u32_e64 s2, v48
	s_cbranch_execnz .LBB72_169
.LBB72_149:
	s_or_b32 exec_lo, exec_lo, s3
	s_delay_alu instid0(SALU_CYCLE_1)
	s_mov_b32 s3, exec_lo
	v_cmpx_gt_u32_e64 s2, v46
	s_cbranch_execnz .LBB72_170
.LBB72_150:
	s_or_b32 exec_lo, exec_lo, s3
	s_delay_alu instid0(SALU_CYCLE_1)
	s_mov_b32 s3, exec_lo
	v_cmpx_gt_u32_e64 s2, v44
	s_cbranch_execnz .LBB72_171
.LBB72_151:
	s_or_b32 exec_lo, exec_lo, s3
	s_delay_alu instid0(SALU_CYCLE_1)
	s_mov_b32 s3, exec_lo
	v_cmpx_gt_u32_e64 s2, v43
	s_cbranch_execnz .LBB72_172
.LBB72_152:
	s_or_b32 exec_lo, exec_lo, s3
	s_delay_alu instid0(SALU_CYCLE_1)
	s_mov_b32 s3, exec_lo
	v_cmpx_gt_u32_e64 s2, v42
	s_cbranch_execz .LBB72_154
.LBB72_153:
	v_add_co_u32 v11, vcc_lo, 0x3000, v11
	v_add_co_ci_u32_e32 v12, vcc_lo, 0, v12, vcc_lo
	s_waitcnt lgkmcnt(1)
	global_store_b64 v[11:12], v[9:10], off
.LBB72_154:
	s_or_b32 exec_lo, exec_lo, s3
	v_cmp_gt_u32_e64 s2, s2, v41
	s_branch .LBB72_157
.LBB72_155:
	s_mov_b32 s2, 0
                                        ; implicit-def: $vgpr5_vgpr6
	s_cbranch_execz .LBB72_157
; %bb.156:
	v_and_b32_e32 v1, 0x1f8, v33
	s_waitcnt lgkmcnt(0)
	v_lshrrev_b32_e32 v5, 5, v49
	s_waitcnt_vscnt null, 0x0
	s_barrier
	buffer_gl0_inv
	v_lshl_add_u32 v1, v0, 6, v1
	v_add_lshl_u32 v5, v5, v0, 3
	v_lshrrev_b32_e32 v6, 5, v46
	v_lshrrev_b32_e32 v9, 5, v44
	;; [unrolled: 1-line block ×3, first 2 shown]
	ds_store_2addr_b64 v1, v[19:20], v[25:26] offset1:1
	ds_store_2addr_b64 v1, v[27:28], v[3:4] offset0:2 offset1:3
	ds_store_2addr_b64 v1, v[31:32], v[7:8] offset0:4 offset1:5
	ds_store_2addr_b64 v1, v[35:36], v[15:16] offset0:6 offset1:7
	v_add_lshl_u32 v3, v47, v0, 3
	s_waitcnt lgkmcnt(0)
	s_barrier
	buffer_gl0_inv
	ds_load_b64 v[3:4], v3
	ds_load_b64 v[7:8], v5 offset:2048
	v_lshrrev_b32_e32 v1, 5, v48
	v_lshrrev_b32_e32 v5, 5, v43
	;; [unrolled: 1-line block ×3, first 2 shown]
	v_add_lshl_u32 v6, v6, v0, 3
	v_add_lshl_u32 v13, v9, v0, 3
	;; [unrolled: 1-line block ×6, first 2 shown]
	ds_load_b64 v[9:10], v1 offset:4096
	ds_load_b64 v[11:12], v6 offset:6144
	;; [unrolled: 1-line block ×6, first 2 shown]
	v_add_co_u32 v23, s3, s0, v2
	s_delay_alu instid0(VALU_DEP_1)
	v_add_co_ci_u32_e64 v24, null, s1, 0, s3
	v_mov_b32_e32 v1, 0
	s_or_b32 s2, s2, exec_lo
	s_waitcnt lgkmcnt(6)
	global_store_b64 v2, v[7:8], s[0:1] offset:2048
	v_add_co_u32 v7, vcc_lo, 0x1000, v23
	v_add_co_ci_u32_e32 v8, vcc_lo, 0, v24, vcc_lo
	v_add_co_u32 v19, vcc_lo, v23, 0x2000
	v_add_co_ci_u32_e32 v20, vcc_lo, 0, v24, vcc_lo
	;; [unrolled: 2-line block ×3, first 2 shown]
	global_store_b64 v2, v[3:4], s[0:1]
	s_waitcnt lgkmcnt(3)
	global_store_b64 v[19:20], v[13:14], off
	v_add_co_u32 v2, vcc_lo, 0x3000, v23
	v_add_co_ci_u32_e32 v3, vcc_lo, 0, v24, vcc_lo
	global_store_b64 v[7:8], v[11:12], off offset:2048
	s_waitcnt lgkmcnt(2)
	s_clause 0x1
	global_store_b64 v[21:22], v[15:16], off offset:2048
	global_store_b64 v[19:20], v[9:10], off offset:-4096
	s_waitcnt lgkmcnt(1)
	global_store_b64 v[2:3], v[17:18], off
.LBB72_157:
	s_delay_alu instid0(VALU_DEP_1)
	s_and_saveexec_b32 s3, s2
	s_cbranch_execnz .LBB72_159
; %bb.158:
	s_nop 0
	s_sendmsg sendmsg(MSG_DEALLOC_VGPRS)
	s_endpgm
.LBB72_159:
	v_lshlrev_b64 v[0:1], 3, v[0:1]
	s_delay_alu instid0(VALU_DEP_1) | instskip(NEXT) | instid1(VALU_DEP_2)
	v_add_co_u32 v0, vcc_lo, s0, v0
	v_add_co_ci_u32_e32 v1, vcc_lo, s1, v1, vcc_lo
	s_delay_alu instid0(VALU_DEP_2) | instskip(NEXT) | instid1(VALU_DEP_2)
	v_add_co_u32 v0, vcc_lo, 0x3000, v0
	v_add_co_ci_u32_e32 v1, vcc_lo, 0, v1, vcc_lo
	s_waitcnt lgkmcnt(0)
	global_store_b64 v[0:1], v[5:6], off offset:2048
	s_nop 0
	s_sendmsg sendmsg(MSG_DEALLOC_VGPRS)
	s_endpgm
.LBB72_160:
	global_load_b64 v[1:2], v[5:6], off
	s_or_b32 exec_lo, exec_lo, s9
                                        ; implicit-def: $vgpr9_vgpr10
	s_and_saveexec_b32 s9, s2
	s_cbranch_execz .LBB72_21
.LBB72_161:
	global_load_b64 v[9:10], v[5:6], off offset:2048
	s_or_b32 exec_lo, exec_lo, s9
                                        ; implicit-def: $vgpr11_vgpr12
	s_and_saveexec_b32 s2, s5
	s_cbranch_execz .LBB72_22
.LBB72_162:
	v_add_co_u32 v11, vcc_lo, 0x1000, v5
	v_add_co_ci_u32_e32 v12, vcc_lo, 0, v6, vcc_lo
	global_load_b64 v[11:12], v[11:12], off
	s_or_b32 exec_lo, exec_lo, s2
                                        ; implicit-def: $vgpr13_vgpr14
	s_and_saveexec_b32 s2, s4
	s_cbranch_execz .LBB72_23
.LBB72_163:
	v_add_co_u32 v13, vcc_lo, 0x1000, v5
	v_add_co_ci_u32_e32 v14, vcc_lo, 0, v6, vcc_lo
	global_load_b64 v[13:14], v[13:14], off offset:2048
	s_or_b32 exec_lo, exec_lo, s2
                                        ; implicit-def: $vgpr17_vgpr18
	s_and_saveexec_b32 s2, s3
	s_cbranch_execz .LBB72_24
.LBB72_164:
	v_add_co_u32 v17, vcc_lo, 0x2000, v5
	v_add_co_ci_u32_e32 v18, vcc_lo, 0, v6, vcc_lo
	global_load_b64 v[17:18], v[17:18], off
	s_or_b32 exec_lo, exec_lo, s2
                                        ; implicit-def: $vgpr21_vgpr22
	s_and_saveexec_b32 s2, s6
	s_cbranch_execz .LBB72_25
.LBB72_165:
	v_add_co_u32 v21, vcc_lo, 0x2000, v5
	v_add_co_ci_u32_e32 v22, vcc_lo, 0, v6, vcc_lo
	global_load_b64 v[21:22], v[21:22], off offset:2048
	s_or_b32 exec_lo, exec_lo, s2
                                        ; implicit-def: $vgpr23_vgpr24
	s_and_saveexec_b32 s2, s7
	s_cbranch_execz .LBB72_26
.LBB72_166:
	v_add_co_u32 v23, vcc_lo, 0x3000, v5
	v_add_co_ci_u32_e32 v24, vcc_lo, 0, v6, vcc_lo
	global_load_b64 v[23:24], v[23:24], off
	s_or_b32 exec_lo, exec_lo, s2
                                        ; implicit-def: $vgpr25_vgpr26
	s_and_saveexec_b32 s2, s8
	s_cbranch_execnz .LBB72_27
	s_branch .LBB72_28
.LBB72_167:
	v_add_lshl_u32 v34, v47, v0, 3
	ds_load_b64 v[37:38], v34
	s_waitcnt lgkmcnt(0)
	global_store_b64 v[11:12], v[37:38], off
	s_or_b32 exec_lo, exec_lo, s3
	s_delay_alu instid0(SALU_CYCLE_1)
	s_mov_b32 s3, exec_lo
	v_cmpx_gt_u32_e64 s2, v49
	s_cbranch_execz .LBB72_148
.LBB72_168:
	s_waitcnt lgkmcnt(6)
	global_store_b64 v[11:12], v[29:30], off offset:2048
	s_or_b32 exec_lo, exec_lo, s3
	s_delay_alu instid0(SALU_CYCLE_1)
	s_mov_b32 s3, exec_lo
	v_cmpx_gt_u32_e64 s2, v48
	s_cbranch_execz .LBB72_149
.LBB72_169:
	s_waitcnt lgkmcnt(6)
	v_add_co_u32 v29, vcc_lo, 0x1000, v11
	v_add_co_ci_u32_e32 v30, vcc_lo, 0, v12, vcc_lo
	s_waitcnt lgkmcnt(5)
	global_store_b64 v[29:30], v[23:24], off
	s_or_b32 exec_lo, exec_lo, s3
	s_delay_alu instid0(SALU_CYCLE_1)
	s_mov_b32 s3, exec_lo
	v_cmpx_gt_u32_e64 s2, v46
	s_cbranch_execz .LBB72_150
.LBB72_170:
	s_waitcnt lgkmcnt(5)
	v_add_co_u32 v23, vcc_lo, 0x1000, v11
	v_add_co_ci_u32_e32 v24, vcc_lo, 0, v12, vcc_lo
	s_waitcnt lgkmcnt(4)
	global_store_b64 v[23:24], v[21:22], off offset:2048
	s_or_b32 exec_lo, exec_lo, s3
	s_delay_alu instid0(SALU_CYCLE_1)
	s_mov_b32 s3, exec_lo
	v_cmpx_gt_u32_e64 s2, v44
	s_cbranch_execz .LBB72_151
.LBB72_171:
	s_waitcnt lgkmcnt(4)
	v_add_co_u32 v21, vcc_lo, 0x2000, v11
	v_add_co_ci_u32_e32 v22, vcc_lo, 0, v12, vcc_lo
	s_waitcnt lgkmcnt(3)
	global_store_b64 v[21:22], v[17:18], off
	s_or_b32 exec_lo, exec_lo, s3
	s_delay_alu instid0(SALU_CYCLE_1)
	s_mov_b32 s3, exec_lo
	v_cmpx_gt_u32_e64 s2, v43
	s_cbranch_execz .LBB72_152
.LBB72_172:
	s_waitcnt lgkmcnt(3)
	v_add_co_u32 v17, vcc_lo, 0x2000, v11
	v_add_co_ci_u32_e32 v18, vcc_lo, 0, v12, vcc_lo
	s_waitcnt lgkmcnt(2)
	global_store_b64 v[17:18], v[13:14], off offset:2048
	s_or_b32 exec_lo, exec_lo, s3
	s_delay_alu instid0(SALU_CYCLE_1)
	s_mov_b32 s3, exec_lo
	v_cmpx_gt_u32_e64 s2, v42
	s_cbranch_execnz .LBB72_153
	s_branch .LBB72_154
	.section	.rodata,"a",@progbits
	.p2align	6, 0x0
	.amdhsa_kernel _ZN7rocprim6detail25device_scan_by_key_kernelILNS0_25lookback_scan_determinismE0ELb0ENS0_26wrapped_scan_by_key_configINS_14default_configEiyEEPiN6hipcub22TransformInputIteratorIyNS7_6CastOpIyEEPylEESB_yNS7_8EqualityENS7_3MinENS0_19lookback_scan_stateINS_5tupleIJybEEELb0ELb0EEEyEEvT2_T3_T4_T5_T6_T7_T8_mmmPKNSG_IJT9_bEEE
		.amdhsa_group_segment_fixed_size 16896
		.amdhsa_private_segment_fixed_size 0
		.amdhsa_kernarg_size 104
		.amdhsa_user_sgpr_count 15
		.amdhsa_user_sgpr_dispatch_ptr 0
		.amdhsa_user_sgpr_queue_ptr 0
		.amdhsa_user_sgpr_kernarg_segment_ptr 1
		.amdhsa_user_sgpr_dispatch_id 0
		.amdhsa_user_sgpr_private_segment_size 0
		.amdhsa_wavefront_size32 1
		.amdhsa_uses_dynamic_stack 0
		.amdhsa_enable_private_segment 0
		.amdhsa_system_sgpr_workgroup_id_x 1
		.amdhsa_system_sgpr_workgroup_id_y 0
		.amdhsa_system_sgpr_workgroup_id_z 0
		.amdhsa_system_sgpr_workgroup_info 0
		.amdhsa_system_vgpr_workitem_id 0
		.amdhsa_next_free_vgpr 72
		.amdhsa_next_free_sgpr 37
		.amdhsa_reserve_vcc 1
		.amdhsa_float_round_mode_32 0
		.amdhsa_float_round_mode_16_64 0
		.amdhsa_float_denorm_mode_32 3
		.amdhsa_float_denorm_mode_16_64 3
		.amdhsa_dx10_clamp 1
		.amdhsa_ieee_mode 1
		.amdhsa_fp16_overflow 0
		.amdhsa_workgroup_processor_mode 1
		.amdhsa_memory_ordered 1
		.amdhsa_forward_progress 0
		.amdhsa_shared_vgpr_count 0
		.amdhsa_exception_fp_ieee_invalid_op 0
		.amdhsa_exception_fp_denorm_src 0
		.amdhsa_exception_fp_ieee_div_zero 0
		.amdhsa_exception_fp_ieee_overflow 0
		.amdhsa_exception_fp_ieee_underflow 0
		.amdhsa_exception_fp_ieee_inexact 0
		.amdhsa_exception_int_div_zero 0
	.end_amdhsa_kernel
	.section	.text._ZN7rocprim6detail25device_scan_by_key_kernelILNS0_25lookback_scan_determinismE0ELb0ENS0_26wrapped_scan_by_key_configINS_14default_configEiyEEPiN6hipcub22TransformInputIteratorIyNS7_6CastOpIyEEPylEESB_yNS7_8EqualityENS7_3MinENS0_19lookback_scan_stateINS_5tupleIJybEEELb0ELb0EEEyEEvT2_T3_T4_T5_T6_T7_T8_mmmPKNSG_IJT9_bEEE,"axG",@progbits,_ZN7rocprim6detail25device_scan_by_key_kernelILNS0_25lookback_scan_determinismE0ELb0ENS0_26wrapped_scan_by_key_configINS_14default_configEiyEEPiN6hipcub22TransformInputIteratorIyNS7_6CastOpIyEEPylEESB_yNS7_8EqualityENS7_3MinENS0_19lookback_scan_stateINS_5tupleIJybEEELb0ELb0EEEyEEvT2_T3_T4_T5_T6_T7_T8_mmmPKNSG_IJT9_bEEE,comdat
.Lfunc_end72:
	.size	_ZN7rocprim6detail25device_scan_by_key_kernelILNS0_25lookback_scan_determinismE0ELb0ENS0_26wrapped_scan_by_key_configINS_14default_configEiyEEPiN6hipcub22TransformInputIteratorIyNS7_6CastOpIyEEPylEESB_yNS7_8EqualityENS7_3MinENS0_19lookback_scan_stateINS_5tupleIJybEEELb0ELb0EEEyEEvT2_T3_T4_T5_T6_T7_T8_mmmPKNSG_IJT9_bEEE, .Lfunc_end72-_ZN7rocprim6detail25device_scan_by_key_kernelILNS0_25lookback_scan_determinismE0ELb0ENS0_26wrapped_scan_by_key_configINS_14default_configEiyEEPiN6hipcub22TransformInputIteratorIyNS7_6CastOpIyEEPylEESB_yNS7_8EqualityENS7_3MinENS0_19lookback_scan_stateINS_5tupleIJybEEELb0ELb0EEEyEEvT2_T3_T4_T5_T6_T7_T8_mmmPKNSG_IJT9_bEEE
                                        ; -- End function
	.section	.AMDGPU.csdata,"",@progbits
; Kernel info:
; codeLenInByte = 12016
; NumSgprs: 39
; NumVgprs: 72
; ScratchSize: 0
; MemoryBound: 0
; FloatMode: 240
; IeeeMode: 1
; LDSByteSize: 16896 bytes/workgroup (compile time only)
; SGPRBlocks: 4
; VGPRBlocks: 8
; NumSGPRsForWavesPerEU: 39
; NumVGPRsForWavesPerEU: 72
; Occupancy: 14
; WaveLimiterHint : 1
; COMPUTE_PGM_RSRC2:SCRATCH_EN: 0
; COMPUTE_PGM_RSRC2:USER_SGPR: 15
; COMPUTE_PGM_RSRC2:TRAP_HANDLER: 0
; COMPUTE_PGM_RSRC2:TGID_X_EN: 1
; COMPUTE_PGM_RSRC2:TGID_Y_EN: 0
; COMPUTE_PGM_RSRC2:TGID_Z_EN: 0
; COMPUTE_PGM_RSRC2:TIDIG_COMP_CNT: 0
	.section	.text._ZN7rocprim6detail20lookback_scan_kernelILNS0_25lookback_scan_determinismE0ELb1ENS0_19wrapped_scan_configINS_14default_configEiEEN6hipcub22TransformInputIteratorIiNS6_6CastOpIiEEPilEEPlNS6_3SumEiiNS0_19lookback_scan_stateIiLb1ELb1EEEEEvT2_T3_mT5_T4_T7_jPT6_SM_bb,"axG",@progbits,_ZN7rocprim6detail20lookback_scan_kernelILNS0_25lookback_scan_determinismE0ELb1ENS0_19wrapped_scan_configINS_14default_configEiEEN6hipcub22TransformInputIteratorIiNS6_6CastOpIiEEPilEEPlNS6_3SumEiiNS0_19lookback_scan_stateIiLb1ELb1EEEEEvT2_T3_mT5_T4_T7_jPT6_SM_bb,comdat
	.protected	_ZN7rocprim6detail20lookback_scan_kernelILNS0_25lookback_scan_determinismE0ELb1ENS0_19wrapped_scan_configINS_14default_configEiEEN6hipcub22TransformInputIteratorIiNS6_6CastOpIiEEPilEEPlNS6_3SumEiiNS0_19lookback_scan_stateIiLb1ELb1EEEEEvT2_T3_mT5_T4_T7_jPT6_SM_bb ; -- Begin function _ZN7rocprim6detail20lookback_scan_kernelILNS0_25lookback_scan_determinismE0ELb1ENS0_19wrapped_scan_configINS_14default_configEiEEN6hipcub22TransformInputIteratorIiNS6_6CastOpIiEEPilEEPlNS6_3SumEiiNS0_19lookback_scan_stateIiLb1ELb1EEEEEvT2_T3_mT5_T4_T7_jPT6_SM_bb
	.globl	_ZN7rocprim6detail20lookback_scan_kernelILNS0_25lookback_scan_determinismE0ELb1ENS0_19wrapped_scan_configINS_14default_configEiEEN6hipcub22TransformInputIteratorIiNS6_6CastOpIiEEPilEEPlNS6_3SumEiiNS0_19lookback_scan_stateIiLb1ELb1EEEEEvT2_T3_mT5_T4_T7_jPT6_SM_bb
	.p2align	8
	.type	_ZN7rocprim6detail20lookback_scan_kernelILNS0_25lookback_scan_determinismE0ELb1ENS0_19wrapped_scan_configINS_14default_configEiEEN6hipcub22TransformInputIteratorIiNS6_6CastOpIiEEPilEEPlNS6_3SumEiiNS0_19lookback_scan_stateIiLb1ELb1EEEEEvT2_T3_mT5_T4_T7_jPT6_SM_bb,@function
_ZN7rocprim6detail20lookback_scan_kernelILNS0_25lookback_scan_determinismE0ELb1ENS0_19wrapped_scan_configINS_14default_configEiEEN6hipcub22TransformInputIteratorIiNS6_6CastOpIiEEPilEEPlNS6_3SumEiiNS0_19lookback_scan_stateIiLb1ELb1EEEEEvT2_T3_mT5_T4_T7_jPT6_SM_bb: ; @_ZN7rocprim6detail20lookback_scan_kernelILNS0_25lookback_scan_determinismE0ELb1ENS0_19wrapped_scan_configINS_14default_configEiEEN6hipcub22TransformInputIteratorIiNS6_6CastOpIiEEPilEEPlNS6_3SumEiiNS0_19lookback_scan_stateIiLb1ELb1EEEEEvT2_T3_mT5_T4_T7_jPT6_SM_bb
; %bb.0:
	s_endpgm
	.section	.rodata,"a",@progbits
	.p2align	6, 0x0
	.amdhsa_kernel _ZN7rocprim6detail20lookback_scan_kernelILNS0_25lookback_scan_determinismE0ELb1ENS0_19wrapped_scan_configINS_14default_configEiEEN6hipcub22TransformInputIteratorIiNS6_6CastOpIiEEPilEEPlNS6_3SumEiiNS0_19lookback_scan_stateIiLb1ELb1EEEEEvT2_T3_mT5_T4_T7_jPT6_SM_bb
		.amdhsa_group_segment_fixed_size 0
		.amdhsa_private_segment_fixed_size 0
		.amdhsa_kernarg_size 76
		.amdhsa_user_sgpr_count 15
		.amdhsa_user_sgpr_dispatch_ptr 0
		.amdhsa_user_sgpr_queue_ptr 0
		.amdhsa_user_sgpr_kernarg_segment_ptr 1
		.amdhsa_user_sgpr_dispatch_id 0
		.amdhsa_user_sgpr_private_segment_size 0
		.amdhsa_wavefront_size32 1
		.amdhsa_uses_dynamic_stack 0
		.amdhsa_enable_private_segment 0
		.amdhsa_system_sgpr_workgroup_id_x 1
		.amdhsa_system_sgpr_workgroup_id_y 0
		.amdhsa_system_sgpr_workgroup_id_z 0
		.amdhsa_system_sgpr_workgroup_info 0
		.amdhsa_system_vgpr_workitem_id 0
		.amdhsa_next_free_vgpr 1
		.amdhsa_next_free_sgpr 1
		.amdhsa_reserve_vcc 0
		.amdhsa_float_round_mode_32 0
		.amdhsa_float_round_mode_16_64 0
		.amdhsa_float_denorm_mode_32 3
		.amdhsa_float_denorm_mode_16_64 3
		.amdhsa_dx10_clamp 1
		.amdhsa_ieee_mode 1
		.amdhsa_fp16_overflow 0
		.amdhsa_workgroup_processor_mode 1
		.amdhsa_memory_ordered 1
		.amdhsa_forward_progress 0
		.amdhsa_shared_vgpr_count 0
		.amdhsa_exception_fp_ieee_invalid_op 0
		.amdhsa_exception_fp_denorm_src 0
		.amdhsa_exception_fp_ieee_div_zero 0
		.amdhsa_exception_fp_ieee_overflow 0
		.amdhsa_exception_fp_ieee_underflow 0
		.amdhsa_exception_fp_ieee_inexact 0
		.amdhsa_exception_int_div_zero 0
	.end_amdhsa_kernel
	.section	.text._ZN7rocprim6detail20lookback_scan_kernelILNS0_25lookback_scan_determinismE0ELb1ENS0_19wrapped_scan_configINS_14default_configEiEEN6hipcub22TransformInputIteratorIiNS6_6CastOpIiEEPilEEPlNS6_3SumEiiNS0_19lookback_scan_stateIiLb1ELb1EEEEEvT2_T3_mT5_T4_T7_jPT6_SM_bb,"axG",@progbits,_ZN7rocprim6detail20lookback_scan_kernelILNS0_25lookback_scan_determinismE0ELb1ENS0_19wrapped_scan_configINS_14default_configEiEEN6hipcub22TransformInputIteratorIiNS6_6CastOpIiEEPilEEPlNS6_3SumEiiNS0_19lookback_scan_stateIiLb1ELb1EEEEEvT2_T3_mT5_T4_T7_jPT6_SM_bb,comdat
.Lfunc_end73:
	.size	_ZN7rocprim6detail20lookback_scan_kernelILNS0_25lookback_scan_determinismE0ELb1ENS0_19wrapped_scan_configINS_14default_configEiEEN6hipcub22TransformInputIteratorIiNS6_6CastOpIiEEPilEEPlNS6_3SumEiiNS0_19lookback_scan_stateIiLb1ELb1EEEEEvT2_T3_mT5_T4_T7_jPT6_SM_bb, .Lfunc_end73-_ZN7rocprim6detail20lookback_scan_kernelILNS0_25lookback_scan_determinismE0ELb1ENS0_19wrapped_scan_configINS_14default_configEiEEN6hipcub22TransformInputIteratorIiNS6_6CastOpIiEEPilEEPlNS6_3SumEiiNS0_19lookback_scan_stateIiLb1ELb1EEEEEvT2_T3_mT5_T4_T7_jPT6_SM_bb
                                        ; -- End function
	.section	.AMDGPU.csdata,"",@progbits
; Kernel info:
; codeLenInByte = 4
; NumSgprs: 0
; NumVgprs: 0
; ScratchSize: 0
; MemoryBound: 0
; FloatMode: 240
; IeeeMode: 1
; LDSByteSize: 0 bytes/workgroup (compile time only)
; SGPRBlocks: 0
; VGPRBlocks: 0
; NumSGPRsForWavesPerEU: 1
; NumVGPRsForWavesPerEU: 1
; Occupancy: 16
; WaveLimiterHint : 0
; COMPUTE_PGM_RSRC2:SCRATCH_EN: 0
; COMPUTE_PGM_RSRC2:USER_SGPR: 15
; COMPUTE_PGM_RSRC2:TRAP_HANDLER: 0
; COMPUTE_PGM_RSRC2:TGID_X_EN: 1
; COMPUTE_PGM_RSRC2:TGID_Y_EN: 0
; COMPUTE_PGM_RSRC2:TGID_Z_EN: 0
; COMPUTE_PGM_RSRC2:TIDIG_COMP_CNT: 0
	.section	.text._ZN7rocprim6detail20lookback_scan_kernelILNS0_25lookback_scan_determinismE0ELb1ENS0_19wrapped_scan_configINS_14default_configEiEEN6hipcub22TransformInputIteratorIiNS6_6CastOpIiEEPilEEPlNS6_3SumEiiNS0_19lookback_scan_stateIiLb0ELb1EEEEEvT2_T3_mT5_T4_T7_jPT6_SM_bb,"axG",@progbits,_ZN7rocprim6detail20lookback_scan_kernelILNS0_25lookback_scan_determinismE0ELb1ENS0_19wrapped_scan_configINS_14default_configEiEEN6hipcub22TransformInputIteratorIiNS6_6CastOpIiEEPilEEPlNS6_3SumEiiNS0_19lookback_scan_stateIiLb0ELb1EEEEEvT2_T3_mT5_T4_T7_jPT6_SM_bb,comdat
	.protected	_ZN7rocprim6detail20lookback_scan_kernelILNS0_25lookback_scan_determinismE0ELb1ENS0_19wrapped_scan_configINS_14default_configEiEEN6hipcub22TransformInputIteratorIiNS6_6CastOpIiEEPilEEPlNS6_3SumEiiNS0_19lookback_scan_stateIiLb0ELb1EEEEEvT2_T3_mT5_T4_T7_jPT6_SM_bb ; -- Begin function _ZN7rocprim6detail20lookback_scan_kernelILNS0_25lookback_scan_determinismE0ELb1ENS0_19wrapped_scan_configINS_14default_configEiEEN6hipcub22TransformInputIteratorIiNS6_6CastOpIiEEPilEEPlNS6_3SumEiiNS0_19lookback_scan_stateIiLb0ELb1EEEEEvT2_T3_mT5_T4_T7_jPT6_SM_bb
	.globl	_ZN7rocprim6detail20lookback_scan_kernelILNS0_25lookback_scan_determinismE0ELb1ENS0_19wrapped_scan_configINS_14default_configEiEEN6hipcub22TransformInputIteratorIiNS6_6CastOpIiEEPilEEPlNS6_3SumEiiNS0_19lookback_scan_stateIiLb0ELb1EEEEEvT2_T3_mT5_T4_T7_jPT6_SM_bb
	.p2align	8
	.type	_ZN7rocprim6detail20lookback_scan_kernelILNS0_25lookback_scan_determinismE0ELb1ENS0_19wrapped_scan_configINS_14default_configEiEEN6hipcub22TransformInputIteratorIiNS6_6CastOpIiEEPilEEPlNS6_3SumEiiNS0_19lookback_scan_stateIiLb0ELb1EEEEEvT2_T3_mT5_T4_T7_jPT6_SM_bb,@function
_ZN7rocprim6detail20lookback_scan_kernelILNS0_25lookback_scan_determinismE0ELb1ENS0_19wrapped_scan_configINS_14default_configEiEEN6hipcub22TransformInputIteratorIiNS6_6CastOpIiEEPilEEPlNS6_3SumEiiNS0_19lookback_scan_stateIiLb0ELb1EEEEEvT2_T3_mT5_T4_T7_jPT6_SM_bb: ; @_ZN7rocprim6detail20lookback_scan_kernelILNS0_25lookback_scan_determinismE0ELb1ENS0_19wrapped_scan_configINS_14default_configEiEEN6hipcub22TransformInputIteratorIiNS6_6CastOpIiEEPilEEPlNS6_3SumEiiNS0_19lookback_scan_stateIiLb0ELb1EEEEEvT2_T3_mT5_T4_T7_jPT6_SM_bb
; %bb.0:
	s_clause 0x2
	s_load_b32 s2, s[0:1], 0x30
	s_load_b128 s[4:7], s[0:1], 0x10
	s_load_b64 s[34:35], s[0:1], 0x0
	s_lshl_b32 s12, s15, 10
	s_mov_b32 s13, 0
	v_lshlrev_b32_e32 v19, 2, v0
	v_lshrrev_b32_e32 v20, 3, v0
	v_or_b32_e32 v49, 64, v0
	v_or_b32_e32 v48, 0x80, v0
	;; [unrolled: 1-line block ×13, first 2 shown]
	s_waitcnt lgkmcnt(0)
	s_add_i32 s2, s2, -1
	v_or_b32_e32 v36, 0x380, v0
	s_lshl_b32 s3, s2, 10
	v_or_b32_e32 v33, 0x3c0, v0
	s_sub_u32 s14, s6, s3
	s_subb_u32 s33, s7, 0
	s_cmp_lg_u32 s15, s2
	s_cselect_b32 s36, -1, 0
	s_lshl_b64 s[2:3], s[12:13], 2
	s_delay_alu instid0(SALU_CYCLE_1)
	s_add_u32 s6, s34, s2
	s_addc_u32 s7, s35, s3
	s_and_b32 vcc_lo, exec_lo, s36
	s_mov_b32 s3, -1
	s_cbranch_vccz .LBB74_2
; %bb.1:
	s_clause 0xf
	global_load_b32 v1, v19, s[6:7]
	global_load_b32 v2, v19, s[6:7] offset:256
	global_load_b32 v3, v19, s[6:7] offset:512
	;; [unrolled: 1-line block ×15, first 2 shown]
	v_lshrrev_b32_e32 v18, 3, v49
	v_lshrrev_b32_e32 v21, 3, v48
	v_lshrrev_b32_e32 v22, 3, v47
	v_lshrrev_b32_e32 v23, 3, v46
	v_and_b32_e32 v17, 4, v20
	v_lshrrev_b32_e32 v24, 3, v45
	v_lshrrev_b32_e32 v25, 3, v44
	;; [unrolled: 1-line block ×11, first 2 shown]
	v_and_b32_e32 v18, 12, v18
	v_and_b32_e32 v21, 20, v21
	;; [unrolled: 1-line block ×4, first 2 shown]
	v_add_nc_u32_e32 v17, v17, v19
	v_and_b32_e32 v24, 44, v24
	v_and_b32_e32 v25, 52, v25
	;; [unrolled: 1-line block ×11, first 2 shown]
	v_add_nc_u32_e32 v18, v18, v19
	v_add_nc_u32_e32 v21, v21, v19
	;; [unrolled: 1-line block ×4, first 2 shown]
	s_mov_b32 s3, s13
	v_add_nc_u32_e32 v24, v24, v19
	v_add_nc_u32_e32 v25, v25, v19
	;; [unrolled: 1-line block ×11, first 2 shown]
	s_waitcnt vmcnt(15)
	ds_store_b32 v17, v1
	s_waitcnt vmcnt(14)
	ds_store_b32 v18, v2 offset:256
	s_waitcnt vmcnt(13)
	ds_store_b32 v21, v3 offset:512
	;; [unrolled: 2-line block ×15, first 2 shown]
	s_waitcnt lgkmcnt(0)
	s_barrier
.LBB74_2:
	v_cmp_gt_u32_e64 s2, s14, v0
	s_and_not1_b32 vcc_lo, exec_lo, s3
	s_cbranch_vccnz .LBB74_21
; %bb.3:
	s_load_b32 s16, s[6:7], 0x0
	v_add_co_u32 v17, s3, s6, v19
	s_delay_alu instid0(VALU_DEP_1)
	v_add_co_ci_u32_e64 v18, null, s7, 0, s3
	s_waitcnt lgkmcnt(0)
	s_mov_b32 s17, s16
	s_mov_b32 s18, s16
	;; [unrolled: 1-line block ×15, first 2 shown]
	v_dual_mov_b32 v1, s16 :: v_dual_mov_b32 v2, s17
	v_dual_mov_b32 v3, s18 :: v_dual_mov_b32 v4, s19
	;; [unrolled: 1-line block ×8, first 2 shown]
	v_mov_b32_e32 v21, s16
	s_and_saveexec_b32 s3, s2
	s_cbranch_execnz .LBB74_132
; %bb.4:
	s_or_b32 exec_lo, exec_lo, s3
	s_delay_alu instid0(SALU_CYCLE_1)
	s_mov_b32 s2, exec_lo
	v_cmpx_gt_u32_e64 s14, v49
	s_cbranch_execnz .LBB74_133
.LBB74_5:
	s_or_b32 exec_lo, exec_lo, s2
	s_delay_alu instid0(SALU_CYCLE_1)
	s_mov_b32 s2, exec_lo
	v_cmpx_gt_u32_e64 s14, v48
	s_cbranch_execnz .LBB74_134
.LBB74_6:
	s_or_b32 exec_lo, exec_lo, s2
	s_delay_alu instid0(SALU_CYCLE_1)
	s_mov_b32 s2, exec_lo
	v_cmpx_gt_u32_e64 s14, v47
	s_cbranch_execnz .LBB74_135
.LBB74_7:
	s_or_b32 exec_lo, exec_lo, s2
	s_delay_alu instid0(SALU_CYCLE_1)
	s_mov_b32 s2, exec_lo
	v_cmpx_gt_u32_e64 s14, v46
	s_cbranch_execnz .LBB74_136
.LBB74_8:
	s_or_b32 exec_lo, exec_lo, s2
	s_delay_alu instid0(SALU_CYCLE_1)
	s_mov_b32 s2, exec_lo
	v_cmpx_gt_u32_e64 s14, v45
	s_cbranch_execnz .LBB74_137
.LBB74_9:
	s_or_b32 exec_lo, exec_lo, s2
	s_delay_alu instid0(SALU_CYCLE_1)
	s_mov_b32 s2, exec_lo
	v_cmpx_gt_u32_e64 s14, v44
	s_cbranch_execnz .LBB74_138
.LBB74_10:
	s_or_b32 exec_lo, exec_lo, s2
	s_delay_alu instid0(SALU_CYCLE_1)
	s_mov_b32 s2, exec_lo
	v_cmpx_gt_u32_e64 s14, v43
	s_cbranch_execnz .LBB74_139
.LBB74_11:
	s_or_b32 exec_lo, exec_lo, s2
	s_delay_alu instid0(SALU_CYCLE_1)
	s_mov_b32 s2, exec_lo
	v_cmpx_gt_u32_e64 s14, v42
	s_cbranch_execnz .LBB74_140
.LBB74_12:
	s_or_b32 exec_lo, exec_lo, s2
	s_delay_alu instid0(SALU_CYCLE_1)
	s_mov_b32 s2, exec_lo
	v_cmpx_gt_u32_e64 s14, v41
	s_cbranch_execnz .LBB74_141
.LBB74_13:
	s_or_b32 exec_lo, exec_lo, s2
	s_delay_alu instid0(SALU_CYCLE_1)
	s_mov_b32 s2, exec_lo
	v_cmpx_gt_u32_e64 s14, v40
	s_cbranch_execnz .LBB74_142
.LBB74_14:
	s_or_b32 exec_lo, exec_lo, s2
	s_delay_alu instid0(SALU_CYCLE_1)
	s_mov_b32 s2, exec_lo
	v_cmpx_gt_u32_e64 s14, v39
	s_cbranch_execnz .LBB74_143
.LBB74_15:
	s_or_b32 exec_lo, exec_lo, s2
	s_delay_alu instid0(SALU_CYCLE_1)
	s_mov_b32 s2, exec_lo
	v_cmpx_gt_u32_e64 s14, v38
	s_cbranch_execnz .LBB74_144
.LBB74_16:
	s_or_b32 exec_lo, exec_lo, s2
	s_delay_alu instid0(SALU_CYCLE_1)
	s_mov_b32 s2, exec_lo
	v_cmpx_gt_u32_e64 s14, v37
	s_cbranch_execnz .LBB74_145
.LBB74_17:
	s_or_b32 exec_lo, exec_lo, s2
	s_delay_alu instid0(SALU_CYCLE_1)
	s_mov_b32 s2, exec_lo
	v_cmpx_gt_u32_e64 s14, v36
	s_cbranch_execnz .LBB74_146
.LBB74_18:
	s_or_b32 exec_lo, exec_lo, s2
	s_delay_alu instid0(SALU_CYCLE_1)
	s_mov_b32 s2, exec_lo
	v_cmpx_gt_u32_e64 s14, v33
	s_cbranch_execz .LBB74_20
.LBB74_19:
	global_load_b32 v16, v[17:18], off offset:3840
.LBB74_20:
	s_or_b32 exec_lo, exec_lo, s2
	v_lshrrev_b32_e32 v1, 3, v49
	v_lshrrev_b32_e32 v17, 3, v48
	v_and_b32_e32 v18, 4, v20
	v_lshrrev_b32_e32 v20, 3, v47
	v_lshrrev_b32_e32 v22, 3, v46
	;; [unrolled: 1-line block ×5, first 2 shown]
	v_and_b32_e32 v1, 12, v1
	v_and_b32_e32 v17, 28, v17
	;; [unrolled: 1-line block ×4, first 2 shown]
	v_add_nc_u32_e32 v18, v18, v19
	v_and_b32_e32 v23, 60, v23
	v_and_b32_e32 v24, 60, v24
	;; [unrolled: 1-line block ×3, first 2 shown]
	v_add_nc_u32_e32 v1, v1, v19
	v_add_nc_u32_e32 v17, v17, v19
	v_lshrrev_b32_e32 v26, 3, v42
	v_add_nc_u32_e32 v20, v20, v19
	v_lshrrev_b32_e32 v27, 3, v41
	;; [unrolled: 2-line block ×3, first 2 shown]
	v_add_nc_u32_e32 v23, v23, v19
	v_add_nc_u32_e32 v24, v24, v19
	;; [unrolled: 1-line block ×3, first 2 shown]
	s_waitcnt vmcnt(0)
	ds_store_b32 v18, v21
	ds_store_b32 v1, v2 offset:256
	ds_store_b32 v17, v3 offset:512
	;; [unrolled: 1-line block ×7, first 2 shown]
	v_lshrrev_b32_e32 v4, 3, v39
	v_lshrrev_b32_e32 v5, 3, v38
	v_and_b32_e32 v26, 0x7c, v26
	v_lshrrev_b32_e32 v6, 3, v37
	v_lshrrev_b32_e32 v7, 3, v36
	;; [unrolled: 1-line block ×3, first 2 shown]
	v_and_b32_e32 v27, 0x7c, v27
	v_and_b32_e32 v28, 0x7c, v28
	;; [unrolled: 1-line block ×4, first 2 shown]
	v_add_nc_u32_e32 v1, v26, v19
	v_and_b32_e32 v6, 0x7c, v6
	v_and_b32_e32 v7, 0x7c, v7
	v_and_b32_e32 v8, 0x7c, v8
	v_add_nc_u32_e32 v2, v27, v19
	v_add_nc_u32_e32 v3, v28, v19
	;; [unrolled: 1-line block ×7, first 2 shown]
	ds_store_b32 v1, v9 offset:2048
	ds_store_b32 v2, v10 offset:2304
	;; [unrolled: 1-line block ×8, first 2 shown]
	s_waitcnt lgkmcnt(0)
	s_barrier
.LBB74_21:
	v_lshlrev_b32_e32 v1, 4, v0
	v_lshrrev_b32_e32 v35, 1, v0
	buffer_gl0_inv
	s_load_b64 s[6:7], s[0:1], 0x28
	v_lshrrev_b32_e32 v34, 5, v0
	v_cmp_gt_u32_e32 vcc_lo, 32, v0
	v_add_lshl_u32 v1, v35, v1, 2
	s_cmp_lg_u32 s15, 0
	ds_load_2addr_b32 v[29:30], v1 offset1:1
	ds_load_2addr_b32 v[31:32], v1 offset0:2 offset1:3
	ds_load_2addr_b32 v[27:28], v1 offset0:4 offset1:5
	;; [unrolled: 1-line block ×7, first 2 shown]
	s_waitcnt lgkmcnt(0)
	s_barrier
	buffer_gl0_inv
	v_add_nc_u32_e32 v1, v30, v29
	s_delay_alu instid0(VALU_DEP_1)
	v_add3_u32 v50, v1, v31, v32
	s_cbranch_scc0 .LBB74_46
; %bb.22:
	s_delay_alu instid0(VALU_DEP_1) | instskip(SKIP_1) | instid1(VALU_DEP_2)
	v_add3_u32 v1, v50, v27, v28
	v_add_lshl_u32 v2, v34, v0, 2
	v_add3_u32 v1, v1, v25, v26
	s_delay_alu instid0(VALU_DEP_1) | instskip(NEXT) | instid1(VALU_DEP_1)
	v_add3_u32 v1, v1, v23, v24
	v_add3_u32 v1, v1, v21, v22
	s_delay_alu instid0(VALU_DEP_1) | instskip(NEXT) | instid1(VALU_DEP_1)
	v_add3_u32 v1, v1, v17, v18
	v_add3_u32 v1, v1, v19, v20
	ds_store_b32 v2, v1
	s_waitcnt lgkmcnt(0)
	s_barrier
	buffer_gl0_inv
	s_and_saveexec_b32 s3, vcc_lo
	s_cbranch_execz .LBB74_24
; %bb.23:
	v_lshrrev_b32_e32 v2, 2, v0
	v_mbcnt_lo_u32_b32 v5, -1, 0
	s_delay_alu instid0(VALU_DEP_2) | instskip(NEXT) | instid1(VALU_DEP_2)
	v_and_b32_e32 v2, 12, v2
	v_and_b32_e32 v7, 15, v5
	v_add_nc_u32_e32 v9, -1, v5
	s_delay_alu instid0(VALU_DEP_3) | instskip(NEXT) | instid1(VALU_DEP_3)
	v_lshl_or_b32 v4, v0, 3, v2
	v_cmp_ne_u32_e64 s2, 0, v7
	ds_load_2addr_b32 v[2:3], v4 offset1:1
	s_waitcnt lgkmcnt(0)
	v_add_nc_u32_e32 v6, v3, v2
	s_delay_alu instid0(VALU_DEP_1) | instskip(NEXT) | instid1(VALU_DEP_1)
	v_mov_b32_dpp v8, v6 row_shr:1 row_mask:0xf bank_mask:0xf
	v_cndmask_b32_e64 v8, 0, v8, s2
	v_cmp_lt_u32_e64 s2, 1, v7
	s_delay_alu instid0(VALU_DEP_2) | instskip(NEXT) | instid1(VALU_DEP_1)
	v_add_nc_u32_e32 v6, v8, v6
	v_mov_b32_dpp v8, v6 row_shr:2 row_mask:0xf bank_mask:0xf
	s_delay_alu instid0(VALU_DEP_1) | instskip(SKIP_1) | instid1(VALU_DEP_2)
	v_cndmask_b32_e64 v8, 0, v8, s2
	v_cmp_lt_u32_e64 s2, 3, v7
	v_add_nc_u32_e32 v6, v6, v8
	s_delay_alu instid0(VALU_DEP_1) | instskip(NEXT) | instid1(VALU_DEP_1)
	v_mov_b32_dpp v8, v6 row_shr:4 row_mask:0xf bank_mask:0xf
	v_cndmask_b32_e64 v8, 0, v8, s2
	v_cmp_lt_u32_e64 s2, 7, v7
	s_delay_alu instid0(VALU_DEP_2) | instskip(NEXT) | instid1(VALU_DEP_1)
	v_add_nc_u32_e32 v6, v6, v8
	v_mov_b32_dpp v8, v6 row_shr:8 row_mask:0xf bank_mask:0xf
	s_delay_alu instid0(VALU_DEP_1) | instskip(SKIP_2) | instid1(VALU_DEP_3)
	v_cndmask_b32_e64 v7, 0, v8, s2
	v_bfe_i32 v8, v5, 4, 1
	v_cmp_gt_i32_e64 s2, 0, v9
	v_add_nc_u32_e32 v6, v6, v7
	s_delay_alu instid0(VALU_DEP_2)
	v_cndmask_b32_e64 v5, v9, v5, s2
	v_cmp_eq_u32_e64 s2, 0, v0
	ds_swizzle_b32 v7, v6 offset:swizzle(BROADCAST,32,15)
	v_lshlrev_b32_e32 v5, 2, v5
	s_waitcnt lgkmcnt(0)
	v_and_b32_e32 v7, v8, v7
	s_delay_alu instid0(VALU_DEP_1) | instskip(SKIP_3) | instid1(VALU_DEP_1)
	v_add_nc_u32_e32 v6, v6, v7
	ds_bpermute_b32 v5, v5, v6
	s_waitcnt lgkmcnt(0)
	v_add_nc_u32_e32 v2, v5, v2
	v_cndmask_b32_e64 v1, v2, v1, s2
	s_delay_alu instid0(VALU_DEP_1)
	v_add_nc_u32_e32 v2, v1, v3
	ds_store_2addr_b32 v4, v1, v2 offset1:1
.LBB74_24:
	s_or_b32 exec_lo, exec_lo, s3
	v_cmp_eq_u32_e64 s2, 0, v0
	v_mov_b32_e32 v8, 0
	s_mov_b32 s8, exec_lo
	s_waitcnt lgkmcnt(0)
	s_barrier
	buffer_gl0_inv
	v_cmpx_ne_u32_e32 0, v0
	s_cbranch_execz .LBB74_26
; %bb.25:
	v_add_nc_u32_e32 v1, -1, v0
	s_delay_alu instid0(VALU_DEP_1) | instskip(NEXT) | instid1(VALU_DEP_1)
	v_lshrrev_b32_e32 v2, 5, v1
	v_add_lshl_u32 v1, v2, v1, 2
	ds_load_b32 v8, v1
.LBB74_26:
	s_or_b32 exec_lo, exec_lo, s8
	s_and_saveexec_b32 s10, vcc_lo
	s_cbranch_execz .LBB74_45
; %bb.27:
	v_mov_b32_e32 v4, 0
	v_mbcnt_lo_u32_b32 v16, -1, 0
	s_mov_b32 s9, 0
	ds_load_b32 v1, v4 offset:256
	v_cmp_eq_u32_e64 s3, 0, v16
	s_delay_alu instid0(VALU_DEP_1)
	s_and_saveexec_b32 s11, s3
	s_cbranch_execz .LBB74_29
; %bb.28:
	s_add_i32 s8, s15, 32
	v_mov_b32_e32 v2, 1
	s_lshl_b64 s[8:9], s[8:9], 3
	s_delay_alu instid0(SALU_CYCLE_1)
	s_add_u32 s8, s6, s8
	s_addc_u32 s9, s7, s9
	s_waitcnt lgkmcnt(0)
	global_store_b64 v4, v[1:2], s[8:9]
.LBB74_29:
	s_or_b32 exec_lo, exec_lo, s11
	v_xad_u32 v2, v16, -1, s15
	s_mov_b32 s8, exec_lo
	s_delay_alu instid0(VALU_DEP_1) | instskip(NEXT) | instid1(VALU_DEP_1)
	v_add_nc_u32_e32 v3, 32, v2
	v_lshlrev_b64 v[3:4], 3, v[3:4]
	s_delay_alu instid0(VALU_DEP_1) | instskip(NEXT) | instid1(VALU_DEP_2)
	v_add_co_u32 v6, vcc_lo, s6, v3
	v_add_co_ci_u32_e32 v7, vcc_lo, s7, v4, vcc_lo
	global_load_b64 v[4:5], v[6:7], off glc
	s_waitcnt vmcnt(0)
	v_and_b32_e32 v3, 0xff, v5
	s_delay_alu instid0(VALU_DEP_1)
	v_cmpx_eq_u16_e32 0, v3
	s_cbranch_execz .LBB74_33
; %bb.30:
	s_mov_b32 s9, 0
.LBB74_31:                              ; =>This Inner Loop Header: Depth=1
	global_load_b64 v[4:5], v[6:7], off glc
	s_waitcnt vmcnt(0)
	v_and_b32_e32 v3, 0xff, v5
	s_delay_alu instid0(VALU_DEP_1) | instskip(SKIP_1) | instid1(SALU_CYCLE_1)
	v_cmp_ne_u16_e32 vcc_lo, 0, v3
	s_or_b32 s9, vcc_lo, s9
	s_and_not1_b32 exec_lo, exec_lo, s9
	s_cbranch_execnz .LBB74_31
; %bb.32:
	s_or_b32 exec_lo, exec_lo, s9
.LBB74_33:
	s_delay_alu instid0(SALU_CYCLE_1)
	s_or_b32 exec_lo, exec_lo, s8
	v_cmp_ne_u32_e32 vcc_lo, 31, v16
	v_lshlrev_b32_e64 v10, v16, -1
	v_add_nc_u32_e32 v11, 1, v16
	v_add_nc_u32_e32 v13, 2, v16
	;; [unrolled: 1-line block ×3, first 2 shown]
	v_add_co_ci_u32_e32 v3, vcc_lo, 0, v16, vcc_lo
	v_add_nc_u32_e32 v52, 8, v16
	v_add_nc_u32_e32 v54, 16, v16
	s_delay_alu instid0(VALU_DEP_3)
	v_lshlrev_b32_e32 v9, 2, v3
	v_and_b32_e32 v3, 0xff, v5
	ds_bpermute_b32 v6, v9, v4
	v_cmp_eq_u16_e32 vcc_lo, 2, v3
	v_and_or_b32 v3, vcc_lo, v10, 0x80000000
	v_cmp_gt_u32_e32 vcc_lo, 30, v16
	s_delay_alu instid0(VALU_DEP_2) | instskip(SKIP_1) | instid1(VALU_DEP_2)
	v_ctz_i32_b32_e32 v3, v3
	v_cndmask_b32_e64 v7, 0, 1, vcc_lo
	v_cmp_le_u32_e32 vcc_lo, v11, v3
	s_waitcnt lgkmcnt(0)
	s_delay_alu instid0(VALU_DEP_2) | instskip(NEXT) | instid1(VALU_DEP_1)
	v_dual_cndmask_b32 v6, 0, v6 :: v_dual_lshlrev_b32 v7, 1, v7
	v_add_lshl_u32 v12, v7, v16, 2
	v_cmp_gt_u32_e32 vcc_lo, 28, v16
	s_delay_alu instid0(VALU_DEP_3) | instskip(SKIP_4) | instid1(VALU_DEP_1)
	v_add_nc_u32_e32 v4, v6, v4
	v_cndmask_b32_e64 v7, 0, 1, vcc_lo
	v_cmp_le_u32_e32 vcc_lo, v13, v3
	ds_bpermute_b32 v6, v12, v4
	v_lshlrev_b32_e32 v7, 2, v7
	v_add_lshl_u32 v14, v7, v16, 2
	s_waitcnt lgkmcnt(0)
	v_cndmask_b32_e32 v6, 0, v6, vcc_lo
	v_cmp_gt_u32_e32 vcc_lo, 24, v16
	s_delay_alu instid0(VALU_DEP_2) | instskip(SKIP_4) | instid1(VALU_DEP_1)
	v_add_nc_u32_e32 v4, v4, v6
	v_cndmask_b32_e64 v7, 0, 1, vcc_lo
	v_cmp_le_u32_e32 vcc_lo, v15, v3
	ds_bpermute_b32 v6, v14, v4
	v_lshlrev_b32_e32 v7, 3, v7
	v_add_lshl_u32 v51, v7, v16, 2
	s_waitcnt lgkmcnt(0)
	v_cndmask_b32_e32 v6, 0, v6, vcc_lo
	v_cmp_gt_u32_e32 vcc_lo, 16, v16
	s_delay_alu instid0(VALU_DEP_2) | instskip(SKIP_4) | instid1(VALU_DEP_1)
	v_add_nc_u32_e32 v4, v4, v6
	v_cndmask_b32_e64 v7, 0, 1, vcc_lo
	v_cmp_le_u32_e32 vcc_lo, v52, v3
	ds_bpermute_b32 v6, v51, v4
	v_lshlrev_b32_e32 v7, 4, v7
	v_add_lshl_u32 v53, v7, v16, 2
	s_waitcnt lgkmcnt(0)
	v_cndmask_b32_e32 v6, 0, v6, vcc_lo
	v_cmp_le_u32_e32 vcc_lo, v54, v3
	s_delay_alu instid0(VALU_DEP_2) | instskip(SKIP_3) | instid1(VALU_DEP_1)
	v_add_nc_u32_e32 v4, v4, v6
	ds_bpermute_b32 v6, v53, v4
	s_waitcnt lgkmcnt(0)
	v_cndmask_b32_e32 v3, 0, v6, vcc_lo
	v_dual_mov_b32 v3, 0 :: v_dual_add_nc_u32 v4, v4, v3
	s_branch .LBB74_35
.LBB74_34:                              ;   in Loop: Header=BB74_35 Depth=1
	s_or_b32 exec_lo, exec_lo, s8
	ds_bpermute_b32 v7, v9, v4
	v_and_b32_e32 v6, 0xff, v5
	v_subrev_nc_u32_e32 v2, 32, v2
	s_delay_alu instid0(VALU_DEP_2) | instskip(SKIP_1) | instid1(VALU_DEP_1)
	v_cmp_eq_u16_e32 vcc_lo, 2, v6
	v_and_or_b32 v6, vcc_lo, v10, 0x80000000
	v_ctz_i32_b32_e32 v6, v6
	s_delay_alu instid0(VALU_DEP_1) | instskip(SKIP_3) | instid1(VALU_DEP_2)
	v_cmp_le_u32_e32 vcc_lo, v11, v6
	s_waitcnt lgkmcnt(0)
	v_cndmask_b32_e32 v7, 0, v7, vcc_lo
	v_cmp_le_u32_e32 vcc_lo, v13, v6
	v_add_nc_u32_e32 v4, v7, v4
	ds_bpermute_b32 v7, v12, v4
	s_waitcnt lgkmcnt(0)
	v_cndmask_b32_e32 v7, 0, v7, vcc_lo
	v_cmp_le_u32_e32 vcc_lo, v15, v6
	s_delay_alu instid0(VALU_DEP_2) | instskip(SKIP_4) | instid1(VALU_DEP_2)
	v_add_nc_u32_e32 v4, v4, v7
	ds_bpermute_b32 v7, v14, v4
	s_waitcnt lgkmcnt(0)
	v_cndmask_b32_e32 v7, 0, v7, vcc_lo
	v_cmp_le_u32_e32 vcc_lo, v52, v6
	v_add_nc_u32_e32 v4, v4, v7
	ds_bpermute_b32 v7, v51, v4
	s_waitcnt lgkmcnt(0)
	v_cndmask_b32_e32 v7, 0, v7, vcc_lo
	v_cmp_le_u32_e32 vcc_lo, v54, v6
	s_delay_alu instid0(VALU_DEP_2) | instskip(SKIP_3) | instid1(VALU_DEP_1)
	v_add_nc_u32_e32 v4, v4, v7
	ds_bpermute_b32 v7, v53, v4
	s_waitcnt lgkmcnt(0)
	v_cndmask_b32_e32 v6, 0, v7, vcc_lo
	v_add3_u32 v4, v6, v16, v4
.LBB74_35:                              ; =>This Loop Header: Depth=1
                                        ;     Child Loop BB74_38 Depth 2
	s_delay_alu instid0(VALU_DEP_1) | instskip(NEXT) | instid1(VALU_DEP_1)
	v_dual_mov_b32 v16, v4 :: v_dual_and_b32 v5, 0xff, v5
	v_cmp_ne_u16_e32 vcc_lo, 2, v5
	v_cndmask_b32_e64 v5, 0, 1, vcc_lo
	;;#ASMSTART
	;;#ASMEND
	s_delay_alu instid0(VALU_DEP_1)
	v_cmp_ne_u32_e32 vcc_lo, 0, v5
	s_cmp_lg_u32 vcc_lo, exec_lo
	s_cbranch_scc1 .LBB74_40
; %bb.36:                               ;   in Loop: Header=BB74_35 Depth=1
	v_lshlrev_b64 v[4:5], 3, v[2:3]
	s_mov_b32 s8, exec_lo
	s_delay_alu instid0(VALU_DEP_1) | instskip(NEXT) | instid1(VALU_DEP_2)
	v_add_co_u32 v6, vcc_lo, s6, v4
	v_add_co_ci_u32_e32 v7, vcc_lo, s7, v5, vcc_lo
	global_load_b64 v[4:5], v[6:7], off glc
	s_waitcnt vmcnt(0)
	v_and_b32_e32 v55, 0xff, v5
	s_delay_alu instid0(VALU_DEP_1)
	v_cmpx_eq_u16_e32 0, v55
	s_cbranch_execz .LBB74_34
; %bb.37:                               ;   in Loop: Header=BB74_35 Depth=1
	s_mov_b32 s9, 0
.LBB74_38:                              ;   Parent Loop BB74_35 Depth=1
                                        ; =>  This Inner Loop Header: Depth=2
	global_load_b64 v[4:5], v[6:7], off glc
	s_waitcnt vmcnt(0)
	v_and_b32_e32 v55, 0xff, v5
	s_delay_alu instid0(VALU_DEP_1) | instskip(SKIP_1) | instid1(SALU_CYCLE_1)
	v_cmp_ne_u16_e32 vcc_lo, 0, v55
	s_or_b32 s9, vcc_lo, s9
	s_and_not1_b32 exec_lo, exec_lo, s9
	s_cbranch_execnz .LBB74_38
; %bb.39:                               ;   in Loop: Header=BB74_35 Depth=1
	s_or_b32 exec_lo, exec_lo, s9
	s_branch .LBB74_34
.LBB74_40:                              ;   in Loop: Header=BB74_35 Depth=1
                                        ; implicit-def: $vgpr4
                                        ; implicit-def: $vgpr5
	s_cbranch_execz .LBB74_35
; %bb.41:
	s_and_saveexec_b32 s8, s3
	s_cbranch_execz .LBB74_43
; %bb.42:
	s_add_i32 s16, s15, 32
	s_mov_b32 s17, 0
	v_dual_mov_b32 v3, 0 :: v_dual_mov_b32 v2, 2
	s_lshl_b64 s[16:17], s[16:17], 3
	v_add_nc_u32_e32 v1, v16, v1
	s_add_u32 s16, s6, s16
	s_addc_u32 s17, s7, s17
	global_store_b64 v3, v[1:2], s[16:17]
.LBB74_43:
	s_or_b32 exec_lo, exec_lo, s8
	s_delay_alu instid0(SALU_CYCLE_1)
	s_and_b32 exec_lo, exec_lo, s2
	s_cbranch_execz .LBB74_45
; %bb.44:
	v_mov_b32_e32 v1, 0
	ds_store_b32 v1, v16
.LBB74_45:
	s_or_b32 exec_lo, exec_lo, s10
	v_mov_b32_e32 v1, 0
	s_waitcnt lgkmcnt(0)
	s_waitcnt_vscnt null, 0x0
	s_barrier
	buffer_gl0_inv
	ds_load_b32 v1, v1
	s_waitcnt lgkmcnt(0)
	v_add_nc_u32_e32 v1, v1, v8
	s_delay_alu instid0(VALU_DEP_1) | instskip(NEXT) | instid1(VALU_DEP_1)
	v_add_nc_u32_e32 v2, v1, v29
	v_add_nc_u32_e32 v3, v2, v30
	s_delay_alu instid0(VALU_DEP_1) | instskip(NEXT) | instid1(VALU_DEP_1)
	v_add_nc_u32_e32 v4, v3, v31
	;; [unrolled: 3-line block ×7, first 2 shown]
	v_add_nc_u32_e32 v15, v14, v18
	s_delay_alu instid0(VALU_DEP_1)
	v_add_nc_u32_e32 v16, v15, v19
	s_load_b128 s[8:11], s[0:1], 0x38
	s_branch .LBB74_56
.LBB74_46:
                                        ; implicit-def: $vgpr1_vgpr2_vgpr3_vgpr4_vgpr5_vgpr6_vgpr7_vgpr8_vgpr9_vgpr10_vgpr11_vgpr12_vgpr13_vgpr14_vgpr15_vgpr16
	s_load_b128 s[8:11], s[0:1], 0x38
	s_cbranch_execz .LBB74_56
; %bb.47:
	s_clause 0x1
	s_load_b32 s2, s[0:1], 0x20
	s_load_b32 s3, s[0:1], 0x48
	s_waitcnt lgkmcnt(0)
	v_mov_b32_e32 v51, s2
	s_bitcmp0_b32 s3, 0
	s_cbranch_scc1 .LBB74_49
; %bb.48:
	v_mov_b32_e32 v1, 0
	s_load_b32 s2, s[8:9], 0x0
	global_load_b32 v1, v1, s[34:35] offset:-4
	s_waitcnt vmcnt(0) lgkmcnt(0)
	v_add_nc_u32_e32 v51, s2, v1
.LBB74_49:
	v_add3_u32 v1, v50, v27, v28
	v_add_lshl_u32 v2, v34, v0, 2
	s_mov_b32 s2, exec_lo
	s_delay_alu instid0(VALU_DEP_2) | instskip(NEXT) | instid1(VALU_DEP_1)
	v_add3_u32 v1, v1, v25, v26
	v_add3_u32 v1, v1, v23, v24
	s_delay_alu instid0(VALU_DEP_1) | instskip(NEXT) | instid1(VALU_DEP_1)
	v_add3_u32 v1, v1, v21, v22
	v_add3_u32 v1, v1, v17, v18
	s_delay_alu instid0(VALU_DEP_1)
	v_add3_u32 v1, v1, v19, v20
	ds_store_b32 v2, v1
	s_waitcnt lgkmcnt(0)
	s_barrier
	buffer_gl0_inv
	v_cmpx_gt_u32_e32 32, v0
	s_cbranch_execz .LBB74_51
; %bb.50:
	v_lshrrev_b32_e32 v2, 2, v0
	v_mbcnt_lo_u32_b32 v5, -1, 0
	s_delay_alu instid0(VALU_DEP_2) | instskip(NEXT) | instid1(VALU_DEP_2)
	v_and_b32_e32 v2, 12, v2
	v_add_nc_u32_e32 v9, -1, v5
	s_delay_alu instid0(VALU_DEP_2) | instskip(SKIP_3) | instid1(VALU_DEP_1)
	v_lshl_or_b32 v4, v0, 3, v2
	ds_load_2addr_b32 v[2:3], v4 offset1:1
	s_waitcnt lgkmcnt(0)
	v_add_nc_u32_e32 v6, v3, v2
	v_mov_b32_dpp v8, v6 row_shr:1 row_mask:0xf bank_mask:0xf
	v_and_b32_e32 v7, 15, v5
	s_delay_alu instid0(VALU_DEP_1) | instskip(NEXT) | instid1(VALU_DEP_3)
	v_cmp_ne_u32_e32 vcc_lo, 0, v7
	v_cndmask_b32_e32 v8, 0, v8, vcc_lo
	v_cmp_lt_u32_e32 vcc_lo, 1, v7
	s_delay_alu instid0(VALU_DEP_2) | instskip(NEXT) | instid1(VALU_DEP_1)
	v_add_nc_u32_e32 v6, v8, v6
	v_mov_b32_dpp v8, v6 row_shr:2 row_mask:0xf bank_mask:0xf
	s_delay_alu instid0(VALU_DEP_1) | instskip(SKIP_1) | instid1(VALU_DEP_2)
	v_cndmask_b32_e32 v8, 0, v8, vcc_lo
	v_cmp_lt_u32_e32 vcc_lo, 3, v7
	v_add_nc_u32_e32 v6, v6, v8
	s_delay_alu instid0(VALU_DEP_1) | instskip(NEXT) | instid1(VALU_DEP_1)
	v_mov_b32_dpp v8, v6 row_shr:4 row_mask:0xf bank_mask:0xf
	v_cndmask_b32_e32 v8, 0, v8, vcc_lo
	v_cmp_lt_u32_e32 vcc_lo, 7, v7
	s_delay_alu instid0(VALU_DEP_2) | instskip(NEXT) | instid1(VALU_DEP_1)
	v_add_nc_u32_e32 v6, v6, v8
	v_mov_b32_dpp v8, v6 row_shr:8 row_mask:0xf bank_mask:0xf
	s_delay_alu instid0(VALU_DEP_1) | instskip(SKIP_2) | instid1(VALU_DEP_3)
	v_cndmask_b32_e32 v7, 0, v8, vcc_lo
	v_bfe_i32 v8, v5, 4, 1
	v_cmp_gt_i32_e32 vcc_lo, 0, v9
	v_dual_cndmask_b32 v5, v9, v5 :: v_dual_add_nc_u32 v6, v6, v7
	v_cmp_eq_u32_e32 vcc_lo, 0, v0
	ds_swizzle_b32 v7, v6 offset:swizzle(BROADCAST,32,15)
	v_lshlrev_b32_e32 v5, 2, v5
	s_waitcnt lgkmcnt(0)
	v_and_b32_e32 v7, v8, v7
	s_delay_alu instid0(VALU_DEP_1) | instskip(SKIP_3) | instid1(VALU_DEP_1)
	v_add_nc_u32_e32 v6, v6, v7
	ds_bpermute_b32 v5, v5, v6
	s_waitcnt lgkmcnt(0)
	v_add_nc_u32_e32 v2, v5, v2
	v_cndmask_b32_e32 v1, v2, v1, vcc_lo
	s_delay_alu instid0(VALU_DEP_1)
	v_add_nc_u32_e32 v2, v1, v3
	ds_store_2addr_b32 v4, v1, v2 offset1:1
.LBB74_51:
	s_or_b32 exec_lo, exec_lo, s2
	v_cmp_eq_u32_e32 vcc_lo, 0, v0
	v_mov_b32_e32 v1, v51
	s_mov_b32 s3, exec_lo
	s_waitcnt lgkmcnt(0)
	s_barrier
	buffer_gl0_inv
	v_cmpx_ne_u32_e32 0, v0
	s_cbranch_execz .LBB74_53
; %bb.52:
	v_add_nc_u32_e32 v1, -1, v0
	s_delay_alu instid0(VALU_DEP_1) | instskip(NEXT) | instid1(VALU_DEP_1)
	v_lshrrev_b32_e32 v2, 5, v1
	v_add_lshl_u32 v1, v2, v1, 2
	ds_load_b32 v1, v1
	s_waitcnt lgkmcnt(0)
	v_add_nc_u32_e32 v1, v1, v51
.LBB74_53:
	s_or_b32 exec_lo, exec_lo, s3
	s_delay_alu instid0(VALU_DEP_1) | instskip(NEXT) | instid1(VALU_DEP_1)
	v_add_nc_u32_e32 v2, v1, v29
	v_add_nc_u32_e32 v3, v2, v30
	s_delay_alu instid0(VALU_DEP_1) | instskip(NEXT) | instid1(VALU_DEP_1)
	v_add_nc_u32_e32 v4, v3, v31
	v_add_nc_u32_e32 v5, v4, v32
	s_delay_alu instid0(VALU_DEP_1) | instskip(NEXT) | instid1(VALU_DEP_1)
	v_add_nc_u32_e32 v6, v5, v27
	v_add_nc_u32_e32 v7, v6, v28
	s_delay_alu instid0(VALU_DEP_1) | instskip(NEXT) | instid1(VALU_DEP_1)
	v_add_nc_u32_e32 v8, v7, v25
	v_add_nc_u32_e32 v9, v8, v26
	s_delay_alu instid0(VALU_DEP_1) | instskip(NEXT) | instid1(VALU_DEP_1)
	v_add_nc_u32_e32 v10, v9, v23
	v_add_nc_u32_e32 v11, v10, v24
	s_delay_alu instid0(VALU_DEP_1) | instskip(NEXT) | instid1(VALU_DEP_1)
	v_add_nc_u32_e32 v12, v11, v21
	v_add_nc_u32_e32 v13, v12, v22
	s_delay_alu instid0(VALU_DEP_1) | instskip(NEXT) | instid1(VALU_DEP_1)
	v_add_nc_u32_e32 v14, v13, v17
	v_add_nc_u32_e32 v15, v14, v18
	s_delay_alu instid0(VALU_DEP_1)
	v_add_nc_u32_e32 v16, v15, v19
	s_and_saveexec_b32 s2, vcc_lo
	s_cbranch_execz .LBB74_55
; %bb.54:
	v_dual_mov_b32 v19, 0 :: v_dual_mov_b32 v18, 2
	ds_load_b32 v17, v19 offset:256
	s_waitcnt lgkmcnt(0)
	v_add_nc_u32_e32 v17, v17, v51
	global_store_b64 v19, v[17:18], s[6:7] offset:256
.LBB74_55:
	s_or_b32 exec_lo, exec_lo, s2
.LBB74_56:
	s_lshl_b64 s[2:3], s[12:13], 3
	v_lshlrev_b32_e32 v18, 6, v0
	v_lshlrev_b32_e32 v17, 3, v0
	s_add_u32 s2, s4, s2
	s_addc_u32 s3, s5, s3
	s_and_b32 vcc_lo, exec_lo, s36
	s_mov_b32 s4, -1
	s_waitcnt lgkmcnt(0)
	s_waitcnt_vscnt null, 0x0
	s_barrier
	buffer_gl0_inv
	s_cbranch_vccz .LBB74_58
; %bb.57:
	v_lshl_add_u32 v19, v35, 2, v18
	v_lshrrev_b32_e32 v20, 5, v48
	v_lshrrev_b32_e32 v23, 5, v46
	;; [unrolled: 1-line block ×3, first 2 shown]
	v_add_lshl_u32 v21, v34, v0, 2
	ds_store_2addr_b32 v19, v1, v2 offset1:1
	ds_store_2addr_b32 v19, v3, v4 offset0:2 offset1:3
	ds_store_2addr_b32 v19, v5, v6 offset0:4 offset1:5
	;; [unrolled: 1-line block ×7, first 2 shown]
	v_lshrrev_b32_e32 v19, 5, v49
	v_lshrrev_b32_e32 v24, 5, v45
	;; [unrolled: 1-line block ×3, first 2 shown]
	v_add_lshl_u32 v20, v20, v0, 2
	v_lshrrev_b32_e32 v32, 5, v42
	v_add_lshl_u32 v22, v19, v0, 2
	v_lshrrev_b32_e32 v19, 5, v47
	v_lshrrev_b32_e32 v51, 5, v41
	v_add_lshl_u32 v28, v23, v0, 2
	v_add_lshl_u32 v26, v26, v0, 2
	v_lshrrev_b32_e32 v52, 5, v40
	v_add_lshl_u32 v27, v19, v0, 2
	s_waitcnt lgkmcnt(0)
	s_barrier
	buffer_gl0_inv
	v_add_lshl_u32 v24, v24, v0, 2
	v_add_lshl_u32 v30, v25, v0, 2
	ds_load_b32 v19, v21
	ds_load_b32 v21, v22 offset:256
	ds_load_b32 v23, v20 offset:512
	;; [unrolled: 1-line block ×7, first 2 shown]
	v_lshrrev_b32_e32 v26, 5, v39
	v_lshrrev_b32_e32 v28, 5, v38
	v_add_lshl_u32 v20, v32, v0, 2
	v_add_lshl_u32 v22, v51, v0, 2
	v_lshrrev_b32_e32 v30, 5, v37
	v_lshrrev_b32_e32 v32, 5, v36
	v_lshrrev_b32_e32 v51, 5, v33
	v_add_lshl_u32 v24, v52, v0, 2
	v_add_lshl_u32 v26, v26, v0, 2
	;; [unrolled: 1-line block ×6, first 2 shown]
	ds_load_b32 v52, v20 offset:2048
	ds_load_b32 v54, v22 offset:2304
	;; [unrolled: 1-line block ×8, first 2 shown]
	s_waitcnt lgkmcnt(15)
	v_ashrrev_i32_e32 v20, 31, v19
	v_add_co_u32 v68, s5, s2, v17
	s_waitcnt lgkmcnt(14)
	v_ashrrev_i32_e32 v22, 31, v21
	s_waitcnt lgkmcnt(13)
	v_ashrrev_i32_e32 v24, 31, v23
	v_add_co_ci_u32_e64 v69, null, s3, 0, s5
	s_waitcnt lgkmcnt(12)
	v_ashrrev_i32_e32 v26, 31, v25
	s_waitcnt lgkmcnt(11)
	v_ashrrev_i32_e32 v28, 31, v27
	;; [unrolled: 2-line block ×4, first 2 shown]
	s_clause 0x3
	global_store_b64 v17, v[19:20], s[2:3]
	global_store_b64 v17, v[21:22], s[2:3] offset:512
	global_store_b64 v17, v[23:24], s[2:3] offset:1024
	;; [unrolled: 1-line block ×3, first 2 shown]
	v_add_co_u32 v19, vcc_lo, 0x1000, v68
	s_waitcnt lgkmcnt(8)
	v_ashrrev_i32_e32 v51, 31, v50
	s_waitcnt lgkmcnt(7)
	v_ashrrev_i32_e32 v53, 31, v52
	v_add_co_ci_u32_e32 v20, vcc_lo, 0, v69, vcc_lo
	s_waitcnt lgkmcnt(6)
	v_ashrrev_i32_e32 v55, 31, v54
	s_waitcnt lgkmcnt(5)
	v_ashrrev_i32_e32 v57, 31, v56
	;; [unrolled: 2-line block ×7, first 2 shown]
	s_mov_b32 s4, 0
	s_clause 0xb
	global_store_b64 v17, v[27:28], s[2:3] offset:2048
	global_store_b64 v17, v[29:30], s[2:3] offset:2560
	;; [unrolled: 1-line block ×4, first 2 shown]
	global_store_b64 v[19:20], v[52:53], off
	global_store_b64 v[19:20], v[54:55], off offset:512
	global_store_b64 v[19:20], v[56:57], off offset:1024
	;; [unrolled: 1-line block ×7, first 2 shown]
.LBB74_58:
	s_and_not1_b32 vcc_lo, exec_lo, s4
	s_cbranch_vccnz .LBB74_131
; %bb.59:
	v_lshl_add_u32 v18, v35, 2, v18
	v_lshrrev_b32_e32 v19, 5, v40
	ds_store_2addr_b32 v18, v1, v2 offset1:1
	ds_store_2addr_b32 v18, v3, v4 offset0:2 offset1:3
	ds_store_2addr_b32 v18, v5, v6 offset0:4 offset1:5
	;; [unrolled: 1-line block ×7, first 2 shown]
	v_lshrrev_b32_e32 v2, 5, v48
	v_lshrrev_b32_e32 v1, 5, v49
	;; [unrolled: 1-line block ×4, first 2 shown]
	v_add_lshl_u32 v3, v34, v0, 2
	v_add_lshl_u32 v5, v2, v0, 2
	v_lshrrev_b32_e32 v2, 5, v47
	v_lshrrev_b32_e32 v6, 5, v45
	;; [unrolled: 1-line block ×3, first 2 shown]
	v_add_lshl_u32 v1, v1, v0, 2
	v_lshrrev_b32_e32 v15, 5, v42
	v_add_lshl_u32 v9, v2, v0, 2
	v_lshrrev_b32_e32 v18, 5, v41
	v_add_lshl_u32 v10, v4, v0, 2
	v_add_lshl_u32 v7, v7, v0, 2
	s_waitcnt lgkmcnt(0)
	s_waitcnt_vscnt null, 0x0
	s_barrier
	buffer_gl0_inv
	v_add_lshl_u32 v11, v6, v0, 2
	v_add_lshl_u32 v13, v8, v0, 2
	ds_load_b32 v4, v3
	ds_load_b32 v2, v1 offset:256
	ds_load_b32 v6, v5 offset:512
	;; [unrolled: 1-line block ×7, first 2 shown]
	v_lshrrev_b32_e32 v7, 5, v39
	v_lshrrev_b32_e32 v9, 5, v38
	v_add_lshl_u32 v1, v15, v0, 2
	v_lshrrev_b32_e32 v11, 5, v37
	v_lshrrev_b32_e32 v13, 5, v36
	;; [unrolled: 1-line block ×3, first 2 shown]
	v_add_lshl_u32 v3, v18, v0, 2
	v_add_lshl_u32 v5, v19, v0, 2
	;; [unrolled: 1-line block ×7, first 2 shown]
	ds_load_b32 v18, v1 offset:2048
	ds_load_b32 v20, v3 offset:2304
	;; [unrolled: 1-line block ×8, first 2 shown]
	v_add_co_u32 v34, s2, s2, v17
	v_mov_b32_e32 v1, 0
	v_add_co_ci_u32_e64 v35, null, s3, 0, s2
	s_mov_b32 s2, exec_lo
	v_cmpx_gt_u32_e64 s14, v0
	s_cbranch_execnz .LBB74_147
; %bb.60:
	s_or_b32 exec_lo, exec_lo, s2
	s_delay_alu instid0(SALU_CYCLE_1)
	s_mov_b32 s2, exec_lo
	v_cmpx_gt_u32_e64 s14, v49
	s_cbranch_execnz .LBB74_148
.LBB74_61:
	s_or_b32 exec_lo, exec_lo, s2
	s_delay_alu instid0(SALU_CYCLE_1)
	s_mov_b32 s2, exec_lo
	v_cmpx_gt_u32_e64 s14, v48
	s_cbranch_execnz .LBB74_149
.LBB74_62:
	s_or_b32 exec_lo, exec_lo, s2
	s_delay_alu instid0(SALU_CYCLE_1)
	s_mov_b32 s2, exec_lo
	v_cmpx_gt_u32_e64 s14, v47
	s_cbranch_execnz .LBB74_150
.LBB74_63:
	s_or_b32 exec_lo, exec_lo, s2
	s_delay_alu instid0(SALU_CYCLE_1)
	s_mov_b32 s2, exec_lo
	v_cmpx_gt_u32_e64 s14, v46
	s_cbranch_execnz .LBB74_151
.LBB74_64:
	s_or_b32 exec_lo, exec_lo, s2
	s_delay_alu instid0(SALU_CYCLE_1)
	s_mov_b32 s2, exec_lo
	v_cmpx_gt_u32_e64 s14, v45
	s_cbranch_execnz .LBB74_152
.LBB74_65:
	s_or_b32 exec_lo, exec_lo, s2
	s_delay_alu instid0(SALU_CYCLE_1)
	s_mov_b32 s2, exec_lo
	v_cmpx_gt_u32_e64 s14, v44
	s_cbranch_execnz .LBB74_153
.LBB74_66:
	s_or_b32 exec_lo, exec_lo, s2
	s_delay_alu instid0(SALU_CYCLE_1)
	s_mov_b32 s2, exec_lo
	v_cmpx_gt_u32_e64 s14, v43
	s_cbranch_execnz .LBB74_154
.LBB74_67:
	s_or_b32 exec_lo, exec_lo, s2
	s_delay_alu instid0(SALU_CYCLE_1)
	s_mov_b32 s2, exec_lo
	v_cmpx_gt_u32_e64 s14, v42
	s_cbranch_execnz .LBB74_155
.LBB74_68:
	s_or_b32 exec_lo, exec_lo, s2
	s_delay_alu instid0(SALU_CYCLE_1)
	s_mov_b32 s2, exec_lo
	v_cmpx_gt_u32_e64 s14, v41
	s_cbranch_execnz .LBB74_156
.LBB74_69:
	s_or_b32 exec_lo, exec_lo, s2
	s_delay_alu instid0(SALU_CYCLE_1)
	s_mov_b32 s2, exec_lo
	v_cmpx_gt_u32_e64 s14, v40
	s_cbranch_execnz .LBB74_157
.LBB74_70:
	s_or_b32 exec_lo, exec_lo, s2
	s_delay_alu instid0(SALU_CYCLE_1)
	s_mov_b32 s2, exec_lo
	v_cmpx_gt_u32_e64 s14, v39
	s_cbranch_execnz .LBB74_158
.LBB74_71:
	s_or_b32 exec_lo, exec_lo, s2
	s_delay_alu instid0(SALU_CYCLE_1)
	s_mov_b32 s2, exec_lo
	v_cmpx_gt_u32_e64 s14, v38
	s_cbranch_execnz .LBB74_159
.LBB74_72:
	s_or_b32 exec_lo, exec_lo, s2
	s_delay_alu instid0(SALU_CYCLE_1)
	s_mov_b32 s2, exec_lo
	v_cmpx_gt_u32_e64 s14, v37
	s_cbranch_execnz .LBB74_160
.LBB74_73:
	s_or_b32 exec_lo, exec_lo, s2
	s_delay_alu instid0(SALU_CYCLE_1)
	s_mov_b32 s2, exec_lo
	v_cmpx_gt_u32_e64 s14, v36
	s_cbranch_execnz .LBB74_161
.LBB74_74:
	s_or_b32 exec_lo, exec_lo, s2
	s_delay_alu instid0(SALU_CYCLE_1)
	s_mov_b32 s2, exec_lo
	v_cmpx_gt_u32_e64 s14, v33
	s_cbranch_execz .LBB74_76
.LBB74_75:
	v_add_co_u32 v34, vcc_lo, 0x1000, v34
	s_waitcnt lgkmcnt(0)
	v_ashrrev_i32_e32 v33, 31, v32
	v_add_co_ci_u32_e32 v35, vcc_lo, 0, v35, vcc_lo
	global_store_b64 v[34:35], v[32:33], off offset:3584
.LBB74_76:
	s_or_b32 exec_lo, exec_lo, s2
	s_load_b32 s0, s[0:1], 0x48
	s_waitcnt lgkmcnt(0)
	s_bfe_u32 s0, s0, 0x10008
	s_delay_alu instid0(SALU_CYCLE_1)
	s_cmp_eq_u32 s0, 0
	s_cbranch_scc1 .LBB74_131
; %bb.77:
	s_add_u32 s0, s14, -1
	s_addc_u32 s1, s33, -1
	s_delay_alu instid0(SALU_CYCLE_1)
	s_lshr_b64 s[2:3], s[0:1], 4
	s_mov_b32 s1, exec_lo
	v_cmpx_eq_u64_e64 s[2:3], v[0:1]
	s_cbranch_execz .LBB74_131
; %bb.78:
	s_and_b32 s0, s0, 15
	s_mov_b32 s1, 0
	s_delay_alu instid0(SALU_CYCLE_1) | instskip(NEXT) | instid1(VALU_DEP_1)
	v_cmp_lt_i64_e64 s2, s[0:1], 8
	s_and_b32 vcc_lo, exec_lo, s2
	s_mov_b32 s2, -1
	s_cbranch_vccnz .LBB74_105
; %bb.79:
	v_cmp_lt_i64_e64 s2, s[0:1], 12
	s_delay_alu instid0(VALU_DEP_1)
	s_and_b32 vcc_lo, exec_lo, s2
	s_mov_b32 s2, -1
	s_cbranch_vccnz .LBB74_92
; %bb.80:
	v_cmp_lt_i64_e64 s2, s[0:1], 14
	s_delay_alu instid0(VALU_DEP_1)
	s_and_b32 vcc_lo, exec_lo, s2
	s_mov_b32 s2, -1
	s_cbranch_vccnz .LBB74_86
; %bb.81:
	v_cmp_gt_i64_e64 s2, s[0:1], 14
	s_delay_alu instid0(VALU_DEP_1)
	s_and_b32 vcc_lo, exec_lo, s2
	s_mov_b32 s2, -1
	s_cbranch_vccz .LBB74_83
; %bb.82:
	v_mov_b32_e32 v0, 0
	s_mov_b32 s2, 0
	global_store_b32 v0, v32, s[10:11]
.LBB74_83:
	s_and_not1_b32 vcc_lo, exec_lo, s2
	s_cbranch_vccnz .LBB74_85
; %bb.84:
	v_mov_b32_e32 v0, 0
	global_store_b32 v0, v30, s[10:11]
.LBB74_85:
	s_mov_b32 s2, 0
.LBB74_86:
	s_delay_alu instid0(SALU_CYCLE_1)
	s_and_not1_b32 vcc_lo, exec_lo, s2
	s_cbranch_vccnz .LBB74_91
; %bb.87:
	v_cmp_gt_i64_e64 s2, s[0:1], 12
	s_delay_alu instid0(VALU_DEP_1)
	s_and_b32 vcc_lo, exec_lo, s2
	s_mov_b32 s2, -1
	s_cbranch_vccz .LBB74_89
; %bb.88:
	v_mov_b32_e32 v0, 0
	s_mov_b32 s2, 0
	global_store_b32 v0, v28, s[10:11]
.LBB74_89:
	s_and_not1_b32 vcc_lo, exec_lo, s2
	s_cbranch_vccnz .LBB74_91
; %bb.90:
	v_mov_b32_e32 v0, 0
	global_store_b32 v0, v26, s[10:11]
.LBB74_91:
	s_mov_b32 s2, 0
.LBB74_92:
	s_delay_alu instid0(SALU_CYCLE_1)
	s_and_not1_b32 vcc_lo, exec_lo, s2
	s_cbranch_vccnz .LBB74_104
; %bb.93:
	v_cmp_lt_i64_e64 s2, s[0:1], 10
	s_delay_alu instid0(VALU_DEP_1)
	s_and_b32 vcc_lo, exec_lo, s2
	s_mov_b32 s2, -1
	s_cbranch_vccnz .LBB74_99
; %bb.94:
	v_cmp_gt_i64_e64 s2, s[0:1], 10
	s_delay_alu instid0(VALU_DEP_1)
	s_and_b32 vcc_lo, exec_lo, s2
	s_mov_b32 s2, -1
	s_cbranch_vccz .LBB74_96
; %bb.95:
	v_mov_b32_e32 v0, 0
	s_mov_b32 s2, 0
	global_store_b32 v0, v24, s[10:11]
.LBB74_96:
	s_and_not1_b32 vcc_lo, exec_lo, s2
	s_cbranch_vccnz .LBB74_98
; %bb.97:
	v_mov_b32_e32 v0, 0
	global_store_b32 v0, v22, s[10:11]
.LBB74_98:
	s_mov_b32 s2, 0
.LBB74_99:
	s_delay_alu instid0(SALU_CYCLE_1)
	s_and_not1_b32 vcc_lo, exec_lo, s2
	s_cbranch_vccnz .LBB74_104
; %bb.100:
	v_cmp_gt_i64_e64 s2, s[0:1], 8
	s_delay_alu instid0(VALU_DEP_1)
	s_and_b32 vcc_lo, exec_lo, s2
	s_mov_b32 s2, -1
	s_cbranch_vccz .LBB74_102
; %bb.101:
	v_mov_b32_e32 v0, 0
	s_mov_b32 s2, 0
	global_store_b32 v0, v20, s[10:11]
.LBB74_102:
	s_and_not1_b32 vcc_lo, exec_lo, s2
	s_cbranch_vccnz .LBB74_104
; %bb.103:
	v_mov_b32_e32 v0, 0
	global_store_b32 v0, v18, s[10:11]
.LBB74_104:
	s_mov_b32 s2, 0
.LBB74_105:
	s_delay_alu instid0(SALU_CYCLE_1)
	s_and_not1_b32 vcc_lo, exec_lo, s2
	s_cbranch_vccnz .LBB74_131
; %bb.106:
	v_cmp_lt_i64_e64 s2, s[0:1], 4
	s_delay_alu instid0(VALU_DEP_1)
	s_and_b32 vcc_lo, exec_lo, s2
	s_mov_b32 s2, -1
	s_cbranch_vccnz .LBB74_119
; %bb.107:
	v_cmp_lt_i64_e64 s2, s[0:1], 6
	s_delay_alu instid0(VALU_DEP_1)
	s_and_b32 vcc_lo, exec_lo, s2
	s_mov_b32 s2, -1
	s_cbranch_vccnz .LBB74_113
; %bb.108:
	v_cmp_gt_i64_e64 s2, s[0:1], 6
	s_delay_alu instid0(VALU_DEP_1)
	s_and_b32 vcc_lo, exec_lo, s2
	s_mov_b32 s2, -1
	s_cbranch_vccz .LBB74_110
; %bb.109:
	v_mov_b32_e32 v0, 0
	s_mov_b32 s2, 0
	global_store_b32 v0, v16, s[10:11]
.LBB74_110:
	s_and_not1_b32 vcc_lo, exec_lo, s2
	s_cbranch_vccnz .LBB74_112
; %bb.111:
	v_mov_b32_e32 v0, 0
	global_store_b32 v0, v14, s[10:11]
.LBB74_112:
	s_mov_b32 s2, 0
.LBB74_113:
	s_delay_alu instid0(SALU_CYCLE_1)
	s_and_not1_b32 vcc_lo, exec_lo, s2
	s_cbranch_vccnz .LBB74_118
; %bb.114:
	v_cmp_gt_i64_e64 s2, s[0:1], 4
	s_delay_alu instid0(VALU_DEP_1)
	s_and_b32 vcc_lo, exec_lo, s2
	s_mov_b32 s2, -1
	s_cbranch_vccz .LBB74_116
; %bb.115:
	v_mov_b32_e32 v0, 0
	s_mov_b32 s2, 0
	global_store_b32 v0, v12, s[10:11]
.LBB74_116:
	s_and_not1_b32 vcc_lo, exec_lo, s2
	s_cbranch_vccnz .LBB74_118
; %bb.117:
	v_mov_b32_e32 v0, 0
	global_store_b32 v0, v10, s[10:11]
.LBB74_118:
	s_mov_b32 s2, 0
.LBB74_119:
	s_delay_alu instid0(SALU_CYCLE_1)
	s_and_not1_b32 vcc_lo, exec_lo, s2
	s_cbranch_vccnz .LBB74_131
; %bb.120:
	v_cmp_lt_i64_e64 s2, s[0:1], 2
	s_delay_alu instid0(VALU_DEP_1)
	s_and_b32 vcc_lo, exec_lo, s2
	s_mov_b32 s2, -1
	s_cbranch_vccnz .LBB74_126
; %bb.121:
	v_cmp_gt_i64_e64 s2, s[0:1], 2
	s_delay_alu instid0(VALU_DEP_1)
	s_and_b32 vcc_lo, exec_lo, s2
	s_mov_b32 s2, -1
	s_cbranch_vccz .LBB74_123
; %bb.122:
	v_mov_b32_e32 v0, 0
	s_mov_b32 s2, 0
	global_store_b32 v0, v8, s[10:11]
.LBB74_123:
	s_and_not1_b32 vcc_lo, exec_lo, s2
	s_cbranch_vccnz .LBB74_125
; %bb.124:
	v_mov_b32_e32 v0, 0
	global_store_b32 v0, v6, s[10:11]
.LBB74_125:
	s_mov_b32 s2, 0
.LBB74_126:
	s_delay_alu instid0(SALU_CYCLE_1)
	s_and_not1_b32 vcc_lo, exec_lo, s2
	s_cbranch_vccnz .LBB74_131
; %bb.127:
	s_cmp_eq_u64 s[0:1], 1
	s_mov_b32 s0, -1
	s_cbranch_scc1 .LBB74_129
; %bb.128:
	v_mov_b32_e32 v0, 0
	s_mov_b32 s0, 0
	global_store_b32 v0, v4, s[10:11]
.LBB74_129:
	s_and_not1_b32 vcc_lo, exec_lo, s0
	s_cbranch_vccnz .LBB74_131
; %bb.130:
	v_mov_b32_e32 v0, 0
	global_store_b32 v0, v2, s[10:11]
.LBB74_131:
	s_nop 0
	s_sendmsg sendmsg(MSG_DEALLOC_VGPRS)
	s_endpgm
.LBB74_132:
	global_load_b32 v21, v[17:18], off
	v_dual_mov_b32 v1, s16 :: v_dual_mov_b32 v2, s17
	v_dual_mov_b32 v3, s18 :: v_dual_mov_b32 v4, s19
	;; [unrolled: 1-line block ×8, first 2 shown]
                                        ; kill: def $vgpr1 killed $vgpr21 killed $exec
	s_or_b32 exec_lo, exec_lo, s3
	s_delay_alu instid0(SALU_CYCLE_1)
	s_mov_b32 s2, exec_lo
	v_cmpx_gt_u32_e64 s14, v49
	s_cbranch_execz .LBB74_5
.LBB74_133:
	global_load_b32 v2, v[17:18], off offset:256
	s_or_b32 exec_lo, exec_lo, s2
	s_delay_alu instid0(SALU_CYCLE_1)
	s_mov_b32 s2, exec_lo
	v_cmpx_gt_u32_e64 s14, v48
	s_cbranch_execz .LBB74_6
.LBB74_134:
	global_load_b32 v3, v[17:18], off offset:512
	s_or_b32 exec_lo, exec_lo, s2
	s_delay_alu instid0(SALU_CYCLE_1)
	s_mov_b32 s2, exec_lo
	v_cmpx_gt_u32_e64 s14, v47
	s_cbranch_execz .LBB74_7
.LBB74_135:
	global_load_b32 v4, v[17:18], off offset:768
	s_or_b32 exec_lo, exec_lo, s2
	s_delay_alu instid0(SALU_CYCLE_1)
	s_mov_b32 s2, exec_lo
	v_cmpx_gt_u32_e64 s14, v46
	s_cbranch_execz .LBB74_8
.LBB74_136:
	global_load_b32 v5, v[17:18], off offset:1024
	s_or_b32 exec_lo, exec_lo, s2
	s_delay_alu instid0(SALU_CYCLE_1)
	s_mov_b32 s2, exec_lo
	v_cmpx_gt_u32_e64 s14, v45
	s_cbranch_execz .LBB74_9
.LBB74_137:
	global_load_b32 v6, v[17:18], off offset:1280
	s_or_b32 exec_lo, exec_lo, s2
	s_delay_alu instid0(SALU_CYCLE_1)
	s_mov_b32 s2, exec_lo
	v_cmpx_gt_u32_e64 s14, v44
	s_cbranch_execz .LBB74_10
.LBB74_138:
	global_load_b32 v7, v[17:18], off offset:1536
	s_or_b32 exec_lo, exec_lo, s2
	s_delay_alu instid0(SALU_CYCLE_1)
	s_mov_b32 s2, exec_lo
	v_cmpx_gt_u32_e64 s14, v43
	s_cbranch_execz .LBB74_11
.LBB74_139:
	global_load_b32 v8, v[17:18], off offset:1792
	s_or_b32 exec_lo, exec_lo, s2
	s_delay_alu instid0(SALU_CYCLE_1)
	s_mov_b32 s2, exec_lo
	v_cmpx_gt_u32_e64 s14, v42
	s_cbranch_execz .LBB74_12
.LBB74_140:
	global_load_b32 v9, v[17:18], off offset:2048
	s_or_b32 exec_lo, exec_lo, s2
	s_delay_alu instid0(SALU_CYCLE_1)
	s_mov_b32 s2, exec_lo
	v_cmpx_gt_u32_e64 s14, v41
	s_cbranch_execz .LBB74_13
.LBB74_141:
	global_load_b32 v10, v[17:18], off offset:2304
	s_or_b32 exec_lo, exec_lo, s2
	s_delay_alu instid0(SALU_CYCLE_1)
	s_mov_b32 s2, exec_lo
	v_cmpx_gt_u32_e64 s14, v40
	s_cbranch_execz .LBB74_14
.LBB74_142:
	global_load_b32 v11, v[17:18], off offset:2560
	s_or_b32 exec_lo, exec_lo, s2
	s_delay_alu instid0(SALU_CYCLE_1)
	s_mov_b32 s2, exec_lo
	v_cmpx_gt_u32_e64 s14, v39
	s_cbranch_execz .LBB74_15
.LBB74_143:
	global_load_b32 v12, v[17:18], off offset:2816
	s_or_b32 exec_lo, exec_lo, s2
	s_delay_alu instid0(SALU_CYCLE_1)
	s_mov_b32 s2, exec_lo
	v_cmpx_gt_u32_e64 s14, v38
	s_cbranch_execz .LBB74_16
.LBB74_144:
	global_load_b32 v13, v[17:18], off offset:3072
	s_or_b32 exec_lo, exec_lo, s2
	s_delay_alu instid0(SALU_CYCLE_1)
	s_mov_b32 s2, exec_lo
	v_cmpx_gt_u32_e64 s14, v37
	s_cbranch_execz .LBB74_17
.LBB74_145:
	global_load_b32 v14, v[17:18], off offset:3328
	s_or_b32 exec_lo, exec_lo, s2
	s_delay_alu instid0(SALU_CYCLE_1)
	s_mov_b32 s2, exec_lo
	v_cmpx_gt_u32_e64 s14, v36
	s_cbranch_execz .LBB74_18
.LBB74_146:
	global_load_b32 v15, v[17:18], off offset:3584
	s_or_b32 exec_lo, exec_lo, s2
	s_delay_alu instid0(SALU_CYCLE_1)
	s_mov_b32 s2, exec_lo
	v_cmpx_gt_u32_e64 s14, v33
	s_cbranch_execnz .LBB74_19
	s_branch .LBB74_20
.LBB74_147:
	s_waitcnt lgkmcnt(15)
	v_ashrrev_i32_e32 v5, 31, v4
	global_store_b64 v[34:35], v[4:5], off
	s_or_b32 exec_lo, exec_lo, s2
	s_delay_alu instid0(SALU_CYCLE_1)
	s_mov_b32 s2, exec_lo
	v_cmpx_gt_u32_e64 s14, v49
	s_cbranch_execz .LBB74_61
.LBB74_148:
	s_waitcnt lgkmcnt(14)
	v_ashrrev_i32_e32 v3, 31, v2
	global_store_b64 v[34:35], v[2:3], off offset:512
	s_or_b32 exec_lo, exec_lo, s2
	s_delay_alu instid0(SALU_CYCLE_1)
	s_mov_b32 s2, exec_lo
	v_cmpx_gt_u32_e64 s14, v48
	s_cbranch_execz .LBB74_62
.LBB74_149:
	s_waitcnt lgkmcnt(13)
	v_ashrrev_i32_e32 v7, 31, v6
	global_store_b64 v[34:35], v[6:7], off offset:1024
	s_or_b32 exec_lo, exec_lo, s2
	s_delay_alu instid0(SALU_CYCLE_1)
	s_mov_b32 s2, exec_lo
	v_cmpx_gt_u32_e64 s14, v47
	s_cbranch_execz .LBB74_63
.LBB74_150:
	s_waitcnt lgkmcnt(12)
	v_ashrrev_i32_e32 v9, 31, v8
	global_store_b64 v[34:35], v[8:9], off offset:1536
	s_or_b32 exec_lo, exec_lo, s2
	s_delay_alu instid0(SALU_CYCLE_1)
	s_mov_b32 s2, exec_lo
	v_cmpx_gt_u32_e64 s14, v46
	s_cbranch_execz .LBB74_64
.LBB74_151:
	s_waitcnt lgkmcnt(11)
	v_ashrrev_i32_e32 v11, 31, v10
	global_store_b64 v[34:35], v[10:11], off offset:2048
	s_or_b32 exec_lo, exec_lo, s2
	s_delay_alu instid0(SALU_CYCLE_1)
	s_mov_b32 s2, exec_lo
	v_cmpx_gt_u32_e64 s14, v45
	s_cbranch_execz .LBB74_65
.LBB74_152:
	s_waitcnt lgkmcnt(10)
	v_ashrrev_i32_e32 v13, 31, v12
	global_store_b64 v[34:35], v[12:13], off offset:2560
	s_or_b32 exec_lo, exec_lo, s2
	s_delay_alu instid0(SALU_CYCLE_1)
	s_mov_b32 s2, exec_lo
	v_cmpx_gt_u32_e64 s14, v44
	s_cbranch_execz .LBB74_66
.LBB74_153:
	s_waitcnt lgkmcnt(9)
	v_ashrrev_i32_e32 v15, 31, v14
	global_store_b64 v[34:35], v[14:15], off offset:3072
	s_or_b32 exec_lo, exec_lo, s2
	s_delay_alu instid0(SALU_CYCLE_1)
	s_mov_b32 s2, exec_lo
	v_cmpx_gt_u32_e64 s14, v43
	s_cbranch_execz .LBB74_67
.LBB74_154:
	s_waitcnt lgkmcnt(8)
	v_ashrrev_i32_e32 v17, 31, v16
	global_store_b64 v[34:35], v[16:17], off offset:3584
	s_or_b32 exec_lo, exec_lo, s2
	s_delay_alu instid0(SALU_CYCLE_1)
	s_mov_b32 s2, exec_lo
	v_cmpx_gt_u32_e64 s14, v42
	s_cbranch_execz .LBB74_68
.LBB74_155:
	v_add_co_u32 v42, vcc_lo, 0x1000, v34
	s_waitcnt lgkmcnt(7)
	v_ashrrev_i32_e32 v19, 31, v18
	v_add_co_ci_u32_e32 v43, vcc_lo, 0, v35, vcc_lo
	global_store_b64 v[42:43], v[18:19], off
	s_or_b32 exec_lo, exec_lo, s2
	s_delay_alu instid0(SALU_CYCLE_1)
	s_mov_b32 s2, exec_lo
	v_cmpx_gt_u32_e64 s14, v41
	s_cbranch_execz .LBB74_69
.LBB74_156:
	v_add_co_u32 v41, vcc_lo, 0x1000, v34
	s_waitcnt lgkmcnt(6)
	v_ashrrev_i32_e32 v21, 31, v20
	v_add_co_ci_u32_e32 v42, vcc_lo, 0, v35, vcc_lo
	global_store_b64 v[41:42], v[20:21], off offset:512
	s_or_b32 exec_lo, exec_lo, s2
	s_delay_alu instid0(SALU_CYCLE_1)
	s_mov_b32 s2, exec_lo
	v_cmpx_gt_u32_e64 s14, v40
	s_cbranch_execz .LBB74_70
.LBB74_157:
	v_add_co_u32 v40, vcc_lo, 0x1000, v34
	s_waitcnt lgkmcnt(5)
	v_ashrrev_i32_e32 v23, 31, v22
	v_add_co_ci_u32_e32 v41, vcc_lo, 0, v35, vcc_lo
	global_store_b64 v[40:41], v[22:23], off offset:1024
	s_or_b32 exec_lo, exec_lo, s2
	s_delay_alu instid0(SALU_CYCLE_1)
	s_mov_b32 s2, exec_lo
	v_cmpx_gt_u32_e64 s14, v39
	s_cbranch_execz .LBB74_71
.LBB74_158:
	v_add_co_u32 v39, vcc_lo, 0x1000, v34
	s_waitcnt lgkmcnt(4)
	v_ashrrev_i32_e32 v25, 31, v24
	v_add_co_ci_u32_e32 v40, vcc_lo, 0, v35, vcc_lo
	global_store_b64 v[39:40], v[24:25], off offset:1536
	s_or_b32 exec_lo, exec_lo, s2
	s_delay_alu instid0(SALU_CYCLE_1)
	s_mov_b32 s2, exec_lo
	v_cmpx_gt_u32_e64 s14, v38
	s_cbranch_execz .LBB74_72
.LBB74_159:
	v_add_co_u32 v38, vcc_lo, 0x1000, v34
	s_waitcnt lgkmcnt(3)
	v_ashrrev_i32_e32 v27, 31, v26
	v_add_co_ci_u32_e32 v39, vcc_lo, 0, v35, vcc_lo
	global_store_b64 v[38:39], v[26:27], off offset:2048
	s_or_b32 exec_lo, exec_lo, s2
	s_delay_alu instid0(SALU_CYCLE_1)
	s_mov_b32 s2, exec_lo
	v_cmpx_gt_u32_e64 s14, v37
	s_cbranch_execz .LBB74_73
.LBB74_160:
	v_add_co_u32 v37, vcc_lo, 0x1000, v34
	s_waitcnt lgkmcnt(2)
	v_ashrrev_i32_e32 v29, 31, v28
	v_add_co_ci_u32_e32 v38, vcc_lo, 0, v35, vcc_lo
	global_store_b64 v[37:38], v[28:29], off offset:2560
	s_or_b32 exec_lo, exec_lo, s2
	s_delay_alu instid0(SALU_CYCLE_1)
	s_mov_b32 s2, exec_lo
	v_cmpx_gt_u32_e64 s14, v36
	s_cbranch_execz .LBB74_74
.LBB74_161:
	v_add_co_u32 v36, vcc_lo, 0x1000, v34
	s_waitcnt lgkmcnt(1)
	v_ashrrev_i32_e32 v31, 31, v30
	v_add_co_ci_u32_e32 v37, vcc_lo, 0, v35, vcc_lo
	global_store_b64 v[36:37], v[30:31], off offset:3072
	s_or_b32 exec_lo, exec_lo, s2
	s_delay_alu instid0(SALU_CYCLE_1)
	s_mov_b32 s2, exec_lo
	v_cmpx_gt_u32_e64 s14, v33
	s_cbranch_execnz .LBB74_75
	s_branch .LBB74_76
	.section	.rodata,"a",@progbits
	.p2align	6, 0x0
	.amdhsa_kernel _ZN7rocprim6detail20lookback_scan_kernelILNS0_25lookback_scan_determinismE0ELb1ENS0_19wrapped_scan_configINS_14default_configEiEEN6hipcub22TransformInputIteratorIiNS6_6CastOpIiEEPilEEPlNS6_3SumEiiNS0_19lookback_scan_stateIiLb0ELb1EEEEEvT2_T3_mT5_T4_T7_jPT6_SM_bb
		.amdhsa_group_segment_fixed_size 4224
		.amdhsa_private_segment_fixed_size 0
		.amdhsa_kernarg_size 76
		.amdhsa_user_sgpr_count 15
		.amdhsa_user_sgpr_dispatch_ptr 0
		.amdhsa_user_sgpr_queue_ptr 0
		.amdhsa_user_sgpr_kernarg_segment_ptr 1
		.amdhsa_user_sgpr_dispatch_id 0
		.amdhsa_user_sgpr_private_segment_size 0
		.amdhsa_wavefront_size32 1
		.amdhsa_uses_dynamic_stack 0
		.amdhsa_enable_private_segment 0
		.amdhsa_system_sgpr_workgroup_id_x 1
		.amdhsa_system_sgpr_workgroup_id_y 0
		.amdhsa_system_sgpr_workgroup_id_z 0
		.amdhsa_system_sgpr_workgroup_info 0
		.amdhsa_system_vgpr_workitem_id 0
		.amdhsa_next_free_vgpr 70
		.amdhsa_next_free_sgpr 37
		.amdhsa_reserve_vcc 1
		.amdhsa_float_round_mode_32 0
		.amdhsa_float_round_mode_16_64 0
		.amdhsa_float_denorm_mode_32 3
		.amdhsa_float_denorm_mode_16_64 3
		.amdhsa_dx10_clamp 1
		.amdhsa_ieee_mode 1
		.amdhsa_fp16_overflow 0
		.amdhsa_workgroup_processor_mode 1
		.amdhsa_memory_ordered 1
		.amdhsa_forward_progress 0
		.amdhsa_shared_vgpr_count 0
		.amdhsa_exception_fp_ieee_invalid_op 0
		.amdhsa_exception_fp_denorm_src 0
		.amdhsa_exception_fp_ieee_div_zero 0
		.amdhsa_exception_fp_ieee_overflow 0
		.amdhsa_exception_fp_ieee_underflow 0
		.amdhsa_exception_fp_ieee_inexact 0
		.amdhsa_exception_int_div_zero 0
	.end_amdhsa_kernel
	.section	.text._ZN7rocprim6detail20lookback_scan_kernelILNS0_25lookback_scan_determinismE0ELb1ENS0_19wrapped_scan_configINS_14default_configEiEEN6hipcub22TransformInputIteratorIiNS6_6CastOpIiEEPilEEPlNS6_3SumEiiNS0_19lookback_scan_stateIiLb0ELb1EEEEEvT2_T3_mT5_T4_T7_jPT6_SM_bb,"axG",@progbits,_ZN7rocprim6detail20lookback_scan_kernelILNS0_25lookback_scan_determinismE0ELb1ENS0_19wrapped_scan_configINS_14default_configEiEEN6hipcub22TransformInputIteratorIiNS6_6CastOpIiEEPilEEPlNS6_3SumEiiNS0_19lookback_scan_stateIiLb0ELb1EEEEEvT2_T3_mT5_T4_T7_jPT6_SM_bb,comdat
.Lfunc_end74:
	.size	_ZN7rocprim6detail20lookback_scan_kernelILNS0_25lookback_scan_determinismE0ELb1ENS0_19wrapped_scan_configINS_14default_configEiEEN6hipcub22TransformInputIteratorIiNS6_6CastOpIiEEPilEEPlNS6_3SumEiiNS0_19lookback_scan_stateIiLb0ELb1EEEEEvT2_T3_mT5_T4_T7_jPT6_SM_bb, .Lfunc_end74-_ZN7rocprim6detail20lookback_scan_kernelILNS0_25lookback_scan_determinismE0ELb1ENS0_19wrapped_scan_configINS_14default_configEiEEN6hipcub22TransformInputIteratorIiNS6_6CastOpIiEEPilEEPlNS6_3SumEiiNS0_19lookback_scan_stateIiLb0ELb1EEEEEvT2_T3_mT5_T4_T7_jPT6_SM_bb
                                        ; -- End function
	.section	.AMDGPU.csdata,"",@progbits
; Kernel info:
; codeLenInByte = 7748
; NumSgprs: 39
; NumVgprs: 70
; ScratchSize: 0
; MemoryBound: 0
; FloatMode: 240
; IeeeMode: 1
; LDSByteSize: 4224 bytes/workgroup (compile time only)
; SGPRBlocks: 4
; VGPRBlocks: 8
; NumSGPRsForWavesPerEU: 39
; NumVGPRsForWavesPerEU: 70
; Occupancy: 16
; WaveLimiterHint : 1
; COMPUTE_PGM_RSRC2:SCRATCH_EN: 0
; COMPUTE_PGM_RSRC2:USER_SGPR: 15
; COMPUTE_PGM_RSRC2:TRAP_HANDLER: 0
; COMPUTE_PGM_RSRC2:TGID_X_EN: 1
; COMPUTE_PGM_RSRC2:TGID_Y_EN: 0
; COMPUTE_PGM_RSRC2:TGID_Z_EN: 0
; COMPUTE_PGM_RSRC2:TIDIG_COMP_CNT: 0
	.section	.text._ZN7rocprim6detail18single_scan_kernelILb1ENS0_19wrapped_scan_configINS_14default_configEiEEN6hipcub22TransformInputIteratorIiNS5_6CastOpIiEEPilEEPlNS5_3SumEiiEEvT1_mT4_T2_T3_,"axG",@progbits,_ZN7rocprim6detail18single_scan_kernelILb1ENS0_19wrapped_scan_configINS_14default_configEiEEN6hipcub22TransformInputIteratorIiNS5_6CastOpIiEEPilEEPlNS5_3SumEiiEEvT1_mT4_T2_T3_,comdat
	.protected	_ZN7rocprim6detail18single_scan_kernelILb1ENS0_19wrapped_scan_configINS_14default_configEiEEN6hipcub22TransformInputIteratorIiNS5_6CastOpIiEEPilEEPlNS5_3SumEiiEEvT1_mT4_T2_T3_ ; -- Begin function _ZN7rocprim6detail18single_scan_kernelILb1ENS0_19wrapped_scan_configINS_14default_configEiEEN6hipcub22TransformInputIteratorIiNS5_6CastOpIiEEPilEEPlNS5_3SumEiiEEvT1_mT4_T2_T3_
	.globl	_ZN7rocprim6detail18single_scan_kernelILb1ENS0_19wrapped_scan_configINS_14default_configEiEEN6hipcub22TransformInputIteratorIiNS5_6CastOpIiEEPilEEPlNS5_3SumEiiEEvT1_mT4_T2_T3_
	.p2align	8
	.type	_ZN7rocprim6detail18single_scan_kernelILb1ENS0_19wrapped_scan_configINS_14default_configEiEEN6hipcub22TransformInputIteratorIiNS5_6CastOpIiEEPilEEPlNS5_3SumEiiEEvT1_mT4_T2_T3_,@function
_ZN7rocprim6detail18single_scan_kernelILb1ENS0_19wrapped_scan_configINS_14default_configEiEEN6hipcub22TransformInputIteratorIiNS5_6CastOpIiEEPilEEPlNS5_3SumEiiEEvT1_mT4_T2_T3_: ; @_ZN7rocprim6detail18single_scan_kernelILb1ENS0_19wrapped_scan_configINS_14default_configEiEEN6hipcub22TransformInputIteratorIiNS5_6CastOpIiEEPilEEPlNS5_3SumEiiEEvT1_mT4_T2_T3_
; %bb.0:
	s_clause 0x1
	s_load_b64 s[2:3], s[0:1], 0x0
	s_load_b32 s20, s[0:1], 0x10
	s_waitcnt lgkmcnt(0)
	s_load_b32 s4, s[2:3], 0x0
	v_cmp_gt_u32_e32 vcc_lo, s20, v0
	s_waitcnt lgkmcnt(0)
	s_mov_b32 s5, s4
	s_mov_b32 s6, s4
	;; [unrolled: 1-line block ×15, first 2 shown]
	v_lshlrev_b32_e32 v19, 2, v0
	v_dual_mov_b32 v1, s4 :: v_dual_mov_b32 v4, s7
	v_dual_mov_b32 v2, s5 :: v_dual_mov_b32 v3, s6
	v_mov_b32_e32 v6, s9
	s_delay_alu instid0(VALU_DEP_4) | instskip(NEXT) | instid1(VALU_DEP_1)
	v_add_co_u32 v17, s2, s2, v19
	v_add_co_ci_u32_e64 v18, null, s3, 0, s2
	v_dual_mov_b32 v5, s8 :: v_dual_mov_b32 v8, s11
	v_dual_mov_b32 v7, s10 :: v_dual_mov_b32 v10, s13
	;; [unrolled: 1-line block ×6, first 2 shown]
	s_and_saveexec_b32 s2, vcc_lo
	s_cbranch_execz .LBB75_2
; %bb.1:
	global_load_b32 v20, v[17:18], off
	v_dual_mov_b32 v1, s4 :: v_dual_mov_b32 v2, s5
	v_dual_mov_b32 v3, s6 :: v_dual_mov_b32 v4, s7
	;; [unrolled: 1-line block ×8, first 2 shown]
                                        ; kill: def $vgpr1 killed $vgpr20 killed $exec
.LBB75_2:
	s_or_b32 exec_lo, exec_lo, s2
	v_or_b32_e32 v1, 64, v0
	s_delay_alu instid0(VALU_DEP_1) | instskip(NEXT) | instid1(VALU_DEP_1)
	v_cmp_gt_u32_e64 s2, s20, v1
	s_and_saveexec_b32 s3, s2
	s_cbranch_execz .LBB75_4
; %bb.3:
	global_load_b32 v2, v[17:18], off offset:256
.LBB75_4:
	s_or_b32 exec_lo, exec_lo, s3
	v_or_b32_e32 v21, 0x80, v0
	s_delay_alu instid0(VALU_DEP_1) | instskip(NEXT) | instid1(VALU_DEP_1)
	v_cmp_gt_u32_e64 s3, s20, v21
	s_and_saveexec_b32 s4, s3
	s_cbranch_execz .LBB75_6
; %bb.5:
	global_load_b32 v3, v[17:18], off offset:512
.LBB75_6:
	;; [unrolled: 9-line block ×15, first 2 shown]
	s_or_b32 exec_lo, exec_lo, s17
	v_lshrrev_b32_e32 v17, 3, v0
	v_lshrrev_b32_e32 v1, 3, v1
	v_lshrrev_b32_e32 v22, 3, v22
	v_lshrrev_b32_e32 v18, 3, v21
	v_lshrrev_b32_e32 v24, 3, v24
	v_and_b32_e32 v17, 4, v17
	v_and_b32_e32 v1, 12, v1
	v_lshrrev_b32_e32 v23, 3, v23
	v_and_b32_e32 v18, 28, v18
	s_mov_b32 s18, exec_lo
	v_add_nc_u32_e32 v21, v17, v19
	v_add_nc_u32_e32 v17, v1, v19
	v_and_b32_e32 v1, 28, v22
	v_add_nc_u32_e32 v22, v18, v19
	v_and_b32_e32 v23, 60, v23
	s_waitcnt vmcnt(0)
	ds_store_b32 v21, v20
	ds_store_b32 v17, v2 offset:256
	v_and_b32_e32 v2, 60, v24
	v_add_nc_u32_e32 v20, v1, v19
	v_lshrrev_b32_e32 v1, 3, v25
	ds_store_b32 v22, v3 offset:512
	v_lshrrev_b32_e32 v3, 3, v27
	v_add_nc_u32_e32 v24, v2, v19
	v_lshrrev_b32_e32 v2, 3, v26
	v_and_b32_e32 v1, 60, v1
	v_add_nc_u32_e32 v23, v23, v19
	ds_store_b32 v20, v4 offset:768
	ds_store_b32 v23, v5 offset:1024
	v_add_nc_u32_e32 v25, v1, v19
	v_and_b32_e32 v1, 60, v2
	v_lshrrev_b32_e32 v2, 3, v29
	v_lshrrev_b32_e32 v4, 3, v28
	v_and_b32_e32 v3, 0x7c, v3
	ds_store_b32 v24, v6 offset:1280
	v_add_nc_u32_e32 v26, v1, v19
	v_and_b32_e32 v1, 0x7c, v2
	v_lshrrev_b32_e32 v2, 3, v30
	v_and_b32_e32 v4, 0x7c, v4
	v_add_nc_u32_e32 v27, v3, v19
	v_lshrrev_b32_e32 v3, 3, v32
	v_add_nc_u32_e32 v29, v1, v19
	v_and_b32_e32 v1, 0x7c, v2
	v_lshrrev_b32_e32 v2, 3, v31
	v_add_nc_u32_e32 v28, v4, v19
	v_lshrrev_b32_e32 v4, 3, v33
	v_and_b32_e32 v3, 0x7c, v3
	v_add_nc_u32_e32 v30, v1, v19
	v_and_b32_e32 v1, 0x7c, v2
	v_lshrrev_b32_e32 v2, 3, v34
	v_and_b32_e32 v4, 0x7c, v4
	v_add_nc_u32_e32 v32, v3, v19
	v_lshrrev_b32_e32 v3, 1, v0
	v_add_nc_u32_e32 v31, v1, v19
	v_and_b32_e32 v1, 0x7c, v2
	v_lshlrev_b32_e32 v2, 4, v0
	v_add_nc_u32_e32 v33, v4, v19
	ds_store_b32 v25, v7 offset:1536
	ds_store_b32 v26, v8 offset:1792
	v_add_nc_u32_e32 v19, v1, v19
	v_add_lshl_u32 v18, v3, v2, 2
	ds_store_b32 v27, v9 offset:2048
	ds_store_b32 v28, v10 offset:2304
	;; [unrolled: 1-line block ×8, first 2 shown]
	s_waitcnt lgkmcnt(0)
	s_barrier
	buffer_gl0_inv
	ds_load_2addr_b32 v[9:10], v18 offset1:1
	ds_load_2addr_b32 v[5:6], v18 offset0:2 offset1:3
	ds_load_2addr_b32 v[3:4], v18 offset0:4 offset1:5
	;; [unrolled: 1-line block ×5, first 2 shown]
	s_waitcnt lgkmcnt(5)
	v_add_nc_u32_e32 v7, v10, v9
	s_waitcnt lgkmcnt(4)
	s_delay_alu instid0(VALU_DEP_1) | instskip(SKIP_1) | instid1(VALU_DEP_1)
	v_add3_u32 v7, v7, v5, v6
	s_waitcnt lgkmcnt(3)
	v_add3_u32 v34, v7, v3, v4
	ds_load_2addr_b32 v[15:16], v18 offset0:12 offset1:13
	ds_load_2addr_b32 v[7:8], v18 offset0:14 offset1:15
	s_waitcnt lgkmcnt(0)
	s_barrier
	buffer_gl0_inv
	v_add3_u32 v34, v34, v1, v2
	s_delay_alu instid0(VALU_DEP_1) | instskip(NEXT) | instid1(VALU_DEP_1)
	v_add3_u32 v34, v34, v11, v12
	v_add3_u32 v34, v34, v13, v14
	s_delay_alu instid0(VALU_DEP_1) | instskip(NEXT) | instid1(VALU_DEP_1)
	v_add3_u32 v34, v34, v15, v16
	v_add3_u32 v8, v34, v7, v8
	ds_store_b32 v21, v8
	s_waitcnt lgkmcnt(0)
	s_barrier
	buffer_gl0_inv
	v_cmpx_gt_u32_e32 32, v0
	s_cbranch_execz .LBB75_34
; %bb.33:
	v_lshrrev_b32_e32 v34, 2, v0
	v_mbcnt_lo_u32_b32 v37, -1, 0
	s_delay_alu instid0(VALU_DEP_2) | instskip(NEXT) | instid1(VALU_DEP_2)
	v_and_b32_e32 v34, 12, v34
	v_and_b32_e32 v39, 15, v37
	v_add_nc_u32_e32 v41, -1, v37
	s_delay_alu instid0(VALU_DEP_3) | instskip(NEXT) | instid1(VALU_DEP_3)
	v_lshl_or_b32 v36, v0, 3, v34
	v_cmp_ne_u32_e64 s17, 0, v39
	ds_load_2addr_b32 v[34:35], v36 offset1:1
	s_waitcnt lgkmcnt(0)
	v_add_nc_u32_e32 v38, v35, v34
	s_delay_alu instid0(VALU_DEP_1) | instskip(NEXT) | instid1(VALU_DEP_1)
	v_mov_b32_dpp v40, v38 row_shr:1 row_mask:0xf bank_mask:0xf
	v_cndmask_b32_e64 v40, 0, v40, s17
	v_cmp_lt_u32_e64 s17, 1, v39
	s_delay_alu instid0(VALU_DEP_2) | instskip(NEXT) | instid1(VALU_DEP_1)
	v_add_nc_u32_e32 v38, v40, v38
	v_mov_b32_dpp v40, v38 row_shr:2 row_mask:0xf bank_mask:0xf
	s_delay_alu instid0(VALU_DEP_1) | instskip(SKIP_1) | instid1(VALU_DEP_2)
	v_cndmask_b32_e64 v40, 0, v40, s17
	v_cmp_lt_u32_e64 s17, 3, v39
	v_add_nc_u32_e32 v38, v38, v40
	s_delay_alu instid0(VALU_DEP_1) | instskip(NEXT) | instid1(VALU_DEP_1)
	v_mov_b32_dpp v40, v38 row_shr:4 row_mask:0xf bank_mask:0xf
	v_cndmask_b32_e64 v40, 0, v40, s17
	v_cmp_lt_u32_e64 s17, 7, v39
	s_delay_alu instid0(VALU_DEP_2) | instskip(NEXT) | instid1(VALU_DEP_1)
	v_add_nc_u32_e32 v38, v38, v40
	v_mov_b32_dpp v40, v38 row_shr:8 row_mask:0xf bank_mask:0xf
	s_delay_alu instid0(VALU_DEP_1) | instskip(SKIP_2) | instid1(VALU_DEP_3)
	v_cndmask_b32_e64 v39, 0, v40, s17
	v_bfe_i32 v40, v37, 4, 1
	v_cmp_gt_i32_e64 s17, 0, v41
	v_add_nc_u32_e32 v38, v38, v39
	s_delay_alu instid0(VALU_DEP_2)
	v_cndmask_b32_e64 v37, v41, v37, s17
	v_cmp_eq_u32_e64 s17, 0, v0
	ds_swizzle_b32 v39, v38 offset:swizzle(BROADCAST,32,15)
	v_lshlrev_b32_e32 v37, 2, v37
	s_waitcnt lgkmcnt(0)
	v_and_b32_e32 v39, v40, v39
	s_delay_alu instid0(VALU_DEP_1) | instskip(SKIP_3) | instid1(VALU_DEP_1)
	v_add_nc_u32_e32 v38, v38, v39
	ds_bpermute_b32 v37, v37, v38
	s_waitcnt lgkmcnt(0)
	v_add_nc_u32_e32 v34, v37, v34
	v_cndmask_b32_e64 v8, v34, v8, s17
	s_delay_alu instid0(VALU_DEP_1)
	v_add_nc_u32_e32 v34, v8, v35
	ds_store_2addr_b32 v36, v8, v34 offset1:1
.LBB75_34:
	s_or_b32 exec_lo, exec_lo, s18
	s_load_b32 s18, s[0:1], 0x18
	s_mov_b32 s19, exec_lo
	s_waitcnt lgkmcnt(0)
	s_barrier
	buffer_gl0_inv
	v_mov_b32_e32 v8, s18
	v_cmpx_ne_u32_e32 0, v0
	s_cbranch_execz .LBB75_36
; %bb.35:
	v_add_nc_u32_e32 v8, -1, v0
	s_delay_alu instid0(VALU_DEP_1) | instskip(NEXT) | instid1(VALU_DEP_1)
	v_lshrrev_b32_e32 v34, 5, v8
	v_add_lshl_u32 v8, v34, v8, 2
	ds_load_b32 v8, v8
	s_waitcnt lgkmcnt(0)
	v_add_nc_u32_e32 v8, s18, v8
.LBB75_36:
	s_or_b32 exec_lo, exec_lo, s19
	s_delay_alu instid0(VALU_DEP_1)
	v_add_nc_u32_e32 v9, v8, v9
	s_barrier
	buffer_gl0_inv
	s_load_b64 s[0:1], s[0:1], 0x20
	v_add_nc_u32_e32 v10, v9, v10
	v_lshlrev_b32_e32 v0, 3, v0
	s_delay_alu instid0(VALU_DEP_2) | instskip(NEXT) | instid1(VALU_DEP_1)
	v_add_nc_u32_e32 v5, v10, v5
	v_add_nc_u32_e32 v6, v5, v6
	s_delay_alu instid0(VALU_DEP_1) | instskip(NEXT) | instid1(VALU_DEP_1)
	v_add_nc_u32_e32 v3, v6, v3
	v_add_nc_u32_e32 v4, v3, v4
	s_delay_alu instid0(VALU_DEP_1) | instskip(NEXT) | instid1(VALU_DEP_1)
	v_add_nc_u32_e32 v1, v4, v1
	v_add_nc_u32_e32 v2, v1, v2
	s_delay_alu instid0(VALU_DEP_1) | instskip(NEXT) | instid1(VALU_DEP_1)
	v_add_nc_u32_e32 v11, v2, v11
	v_add_nc_u32_e32 v12, v11, v12
	s_delay_alu instid0(VALU_DEP_1) | instskip(NEXT) | instid1(VALU_DEP_1)
	v_add_nc_u32_e32 v13, v12, v13
	v_add_nc_u32_e32 v14, v13, v14
	s_delay_alu instid0(VALU_DEP_1) | instskip(NEXT) | instid1(VALU_DEP_1)
	v_add_nc_u32_e32 v15, v14, v15
	v_add_nc_u32_e32 v16, v15, v16
	s_delay_alu instid0(VALU_DEP_1)
	v_add_nc_u32_e32 v7, v16, v7
	ds_store_2addr_b32 v18, v8, v9 offset1:1
	ds_store_2addr_b32 v18, v10, v5 offset0:2 offset1:3
	ds_store_2addr_b32 v18, v6, v3 offset0:4 offset1:5
	;; [unrolled: 1-line block ×7, first 2 shown]
	s_waitcnt lgkmcnt(0)
	s_barrier
	buffer_gl0_inv
	ds_load_b32 v18, v17 offset:256
	ds_load_b32 v17, v22 offset:512
	;; [unrolled: 1-line block ×15, first 2 shown]
	v_add_co_u32 v3, s0, s0, v0
	s_delay_alu instid0(VALU_DEP_1)
	v_add_co_ci_u32_e64 v4, null, s1, 0, s0
	s_and_saveexec_b32 s0, vcc_lo
	s_cbranch_execnz .LBB75_53
; %bb.37:
	s_or_b32 exec_lo, exec_lo, s0
	s_and_saveexec_b32 s0, s2
	s_cbranch_execnz .LBB75_54
.LBB75_38:
	s_or_b32 exec_lo, exec_lo, s0
	s_and_saveexec_b32 s0, s3
	s_cbranch_execnz .LBB75_55
.LBB75_39:
	s_or_b32 exec_lo, exec_lo, s0
	s_and_saveexec_b32 s0, s4
	s_cbranch_execnz .LBB75_56
.LBB75_40:
	s_or_b32 exec_lo, exec_lo, s0
	s_and_saveexec_b32 s0, s5
	s_cbranch_execnz .LBB75_57
.LBB75_41:
	s_or_b32 exec_lo, exec_lo, s0
	s_and_saveexec_b32 s0, s6
	s_cbranch_execnz .LBB75_58
.LBB75_42:
	s_or_b32 exec_lo, exec_lo, s0
	s_and_saveexec_b32 s0, s7
	s_cbranch_execnz .LBB75_59
.LBB75_43:
	s_or_b32 exec_lo, exec_lo, s0
	s_and_saveexec_b32 s0, s8
	s_cbranch_execnz .LBB75_60
.LBB75_44:
	s_or_b32 exec_lo, exec_lo, s0
	s_and_saveexec_b32 s0, s9
	s_cbranch_execnz .LBB75_61
.LBB75_45:
	s_or_b32 exec_lo, exec_lo, s0
	s_and_saveexec_b32 s0, s10
	s_cbranch_execnz .LBB75_62
.LBB75_46:
	s_or_b32 exec_lo, exec_lo, s0
	s_and_saveexec_b32 s0, s11
	s_cbranch_execnz .LBB75_63
.LBB75_47:
	s_or_b32 exec_lo, exec_lo, s0
	s_and_saveexec_b32 s0, s12
	s_cbranch_execnz .LBB75_64
.LBB75_48:
	s_or_b32 exec_lo, exec_lo, s0
	s_and_saveexec_b32 s0, s13
	s_cbranch_execnz .LBB75_65
.LBB75_49:
	s_or_b32 exec_lo, exec_lo, s0
	s_and_saveexec_b32 s0, s14
	s_cbranch_execnz .LBB75_66
.LBB75_50:
	s_or_b32 exec_lo, exec_lo, s0
	s_and_saveexec_b32 s0, s15
	s_cbranch_execnz .LBB75_67
.LBB75_51:
	s_or_b32 exec_lo, exec_lo, s0
	s_and_saveexec_b32 s0, s16
	s_cbranch_execnz .LBB75_68
.LBB75_52:
	s_nop 0
	s_sendmsg sendmsg(MSG_DEALLOC_VGPRS)
	s_endpgm
.LBB75_53:
	ds_load_b32 v19, v21
	s_waitcnt lgkmcnt(0)
	v_ashrrev_i32_e32 v20, 31, v19
	global_store_b64 v[3:4], v[19:20], off
	s_or_b32 exec_lo, exec_lo, s0
	s_and_saveexec_b32 s0, s2
	s_cbranch_execz .LBB75_38
.LBB75_54:
	s_waitcnt lgkmcnt(14)
	v_ashrrev_i32_e32 v19, 31, v18
	global_store_b64 v[3:4], v[18:19], off offset:512
	s_or_b32 exec_lo, exec_lo, s0
	s_and_saveexec_b32 s0, s3
	s_cbranch_execz .LBB75_39
.LBB75_55:
	s_waitcnt lgkmcnt(13)
	v_ashrrev_i32_e32 v18, 31, v17
	global_store_b64 v[3:4], v[17:18], off offset:1024
	s_or_b32 exec_lo, exec_lo, s0
	s_and_saveexec_b32 s0, s4
	s_cbranch_execz .LBB75_40
.LBB75_56:
	s_waitcnt lgkmcnt(12)
	v_ashrrev_i32_e32 v17, 31, v16
	global_store_b64 v[3:4], v[16:17], off offset:1536
	s_or_b32 exec_lo, exec_lo, s0
	s_and_saveexec_b32 s0, s5
	s_cbranch_execz .LBB75_41
.LBB75_57:
	s_waitcnt lgkmcnt(11)
	v_ashrrev_i32_e32 v16, 31, v15
	global_store_b64 v[3:4], v[15:16], off offset:2048
	s_or_b32 exec_lo, exec_lo, s0
	s_and_saveexec_b32 s0, s6
	s_cbranch_execz .LBB75_42
.LBB75_58:
	s_waitcnt lgkmcnt(10)
	v_ashrrev_i32_e32 v15, 31, v14
	global_store_b64 v[3:4], v[14:15], off offset:2560
	s_or_b32 exec_lo, exec_lo, s0
	s_and_saveexec_b32 s0, s7
	s_cbranch_execz .LBB75_43
.LBB75_59:
	s_waitcnt lgkmcnt(9)
	v_ashrrev_i32_e32 v14, 31, v13
	global_store_b64 v[3:4], v[13:14], off offset:3072
	s_or_b32 exec_lo, exec_lo, s0
	s_and_saveexec_b32 s0, s8
	s_cbranch_execz .LBB75_44
.LBB75_60:
	s_waitcnt lgkmcnt(8)
	v_ashrrev_i32_e32 v13, 31, v12
	global_store_b64 v[3:4], v[12:13], off offset:3584
	s_or_b32 exec_lo, exec_lo, s0
	s_and_saveexec_b32 s0, s9
	s_cbranch_execz .LBB75_45
.LBB75_61:
	s_waitcnt lgkmcnt(9)
	v_add_co_u32 v13, vcc_lo, 0x1000, v3
	s_waitcnt lgkmcnt(7)
	v_ashrrev_i32_e32 v12, 31, v11
	v_add_co_ci_u32_e32 v14, vcc_lo, 0, v4, vcc_lo
	global_store_b64 v[13:14], v[11:12], off
	s_or_b32 exec_lo, exec_lo, s0
	s_and_saveexec_b32 s0, s10
	s_cbranch_execz .LBB75_46
.LBB75_62:
	s_waitcnt lgkmcnt(8)
	v_add_co_u32 v12, vcc_lo, 0x1000, v3
	s_waitcnt lgkmcnt(6)
	v_ashrrev_i32_e32 v11, 31, v10
	v_add_co_ci_u32_e32 v13, vcc_lo, 0, v4, vcc_lo
	global_store_b64 v[12:13], v[10:11], off offset:512
	s_or_b32 exec_lo, exec_lo, s0
	s_and_saveexec_b32 s0, s11
	s_cbranch_execz .LBB75_47
.LBB75_63:
	s_waitcnt lgkmcnt(7)
	v_add_co_u32 v11, vcc_lo, 0x1000, v3
	s_waitcnt lgkmcnt(5)
	v_ashrrev_i32_e32 v10, 31, v9
	v_add_co_ci_u32_e32 v12, vcc_lo, 0, v4, vcc_lo
	global_store_b64 v[11:12], v[9:10], off offset:1024
	s_or_b32 exec_lo, exec_lo, s0
	s_and_saveexec_b32 s0, s12
	s_cbranch_execz .LBB75_48
.LBB75_64:
	s_waitcnt lgkmcnt(6)
	v_add_co_u32 v10, vcc_lo, 0x1000, v3
	s_waitcnt lgkmcnt(4)
	v_ashrrev_i32_e32 v9, 31, v8
	v_add_co_ci_u32_e32 v11, vcc_lo, 0, v4, vcc_lo
	global_store_b64 v[10:11], v[8:9], off offset:1536
	s_or_b32 exec_lo, exec_lo, s0
	s_and_saveexec_b32 s0, s13
	s_cbranch_execz .LBB75_49
.LBB75_65:
	s_waitcnt lgkmcnt(5)
	v_add_co_u32 v9, vcc_lo, 0x1000, v3
	s_waitcnt lgkmcnt(3)
	v_ashrrev_i32_e32 v8, 31, v7
	v_add_co_ci_u32_e32 v10, vcc_lo, 0, v4, vcc_lo
	global_store_b64 v[9:10], v[7:8], off offset:2048
	s_or_b32 exec_lo, exec_lo, s0
	s_and_saveexec_b32 s0, s14
	s_cbranch_execz .LBB75_50
.LBB75_66:
	s_waitcnt lgkmcnt(4)
	v_add_co_u32 v8, vcc_lo, 0x1000, v3
	s_waitcnt lgkmcnt(2)
	v_ashrrev_i32_e32 v7, 31, v6
	v_add_co_ci_u32_e32 v9, vcc_lo, 0, v4, vcc_lo
	global_store_b64 v[8:9], v[6:7], off offset:2560
	s_or_b32 exec_lo, exec_lo, s0
	s_and_saveexec_b32 s0, s15
	s_cbranch_execz .LBB75_51
.LBB75_67:
	s_waitcnt lgkmcnt(3)
	v_add_co_u32 v7, vcc_lo, 0x1000, v3
	s_waitcnt lgkmcnt(1)
	v_ashrrev_i32_e32 v6, 31, v5
	v_add_co_ci_u32_e32 v8, vcc_lo, 0, v4, vcc_lo
	global_store_b64 v[7:8], v[5:6], off offset:3072
	s_or_b32 exec_lo, exec_lo, s0
	s_and_saveexec_b32 s0, s16
	s_cbranch_execz .LBB75_52
.LBB75_68:
	v_add_co_u32 v3, vcc_lo, 0x1000, v3
	s_waitcnt lgkmcnt(0)
	v_ashrrev_i32_e32 v2, 31, v1
	v_add_co_ci_u32_e32 v4, vcc_lo, 0, v4, vcc_lo
	global_store_b64 v[3:4], v[1:2], off offset:3584
	s_nop 0
	s_sendmsg sendmsg(MSG_DEALLOC_VGPRS)
	s_endpgm
	.section	.rodata,"a",@progbits
	.p2align	6, 0x0
	.amdhsa_kernel _ZN7rocprim6detail18single_scan_kernelILb1ENS0_19wrapped_scan_configINS_14default_configEiEEN6hipcub22TransformInputIteratorIiNS5_6CastOpIiEEPilEEPlNS5_3SumEiiEEvT1_mT4_T2_T3_
		.amdhsa_group_segment_fixed_size 4224
		.amdhsa_private_segment_fixed_size 0
		.amdhsa_kernarg_size 44
		.amdhsa_user_sgpr_count 15
		.amdhsa_user_sgpr_dispatch_ptr 0
		.amdhsa_user_sgpr_queue_ptr 0
		.amdhsa_user_sgpr_kernarg_segment_ptr 1
		.amdhsa_user_sgpr_dispatch_id 0
		.amdhsa_user_sgpr_private_segment_size 0
		.amdhsa_wavefront_size32 1
		.amdhsa_uses_dynamic_stack 0
		.amdhsa_enable_private_segment 0
		.amdhsa_system_sgpr_workgroup_id_x 1
		.amdhsa_system_sgpr_workgroup_id_y 0
		.amdhsa_system_sgpr_workgroup_id_z 0
		.amdhsa_system_sgpr_workgroup_info 0
		.amdhsa_system_vgpr_workitem_id 0
		.amdhsa_next_free_vgpr 42
		.amdhsa_next_free_sgpr 21
		.amdhsa_reserve_vcc 1
		.amdhsa_float_round_mode_32 0
		.amdhsa_float_round_mode_16_64 0
		.amdhsa_float_denorm_mode_32 3
		.amdhsa_float_denorm_mode_16_64 3
		.amdhsa_dx10_clamp 1
		.amdhsa_ieee_mode 1
		.amdhsa_fp16_overflow 0
		.amdhsa_workgroup_processor_mode 1
		.amdhsa_memory_ordered 1
		.amdhsa_forward_progress 0
		.amdhsa_shared_vgpr_count 0
		.amdhsa_exception_fp_ieee_invalid_op 0
		.amdhsa_exception_fp_denorm_src 0
		.amdhsa_exception_fp_ieee_div_zero 0
		.amdhsa_exception_fp_ieee_overflow 0
		.amdhsa_exception_fp_ieee_underflow 0
		.amdhsa_exception_fp_ieee_inexact 0
		.amdhsa_exception_int_div_zero 0
	.end_amdhsa_kernel
	.section	.text._ZN7rocprim6detail18single_scan_kernelILb1ENS0_19wrapped_scan_configINS_14default_configEiEEN6hipcub22TransformInputIteratorIiNS5_6CastOpIiEEPilEEPlNS5_3SumEiiEEvT1_mT4_T2_T3_,"axG",@progbits,_ZN7rocprim6detail18single_scan_kernelILb1ENS0_19wrapped_scan_configINS_14default_configEiEEN6hipcub22TransformInputIteratorIiNS5_6CastOpIiEEPilEEPlNS5_3SumEiiEEvT1_mT4_T2_T3_,comdat
.Lfunc_end75:
	.size	_ZN7rocprim6detail18single_scan_kernelILb1ENS0_19wrapped_scan_configINS_14default_configEiEEN6hipcub22TransformInputIteratorIiNS5_6CastOpIiEEPilEEPlNS5_3SumEiiEEvT1_mT4_T2_T3_, .Lfunc_end75-_ZN7rocprim6detail18single_scan_kernelILb1ENS0_19wrapped_scan_configINS_14default_configEiEEN6hipcub22TransformInputIteratorIiNS5_6CastOpIiEEPilEEPlNS5_3SumEiiEEvT1_mT4_T2_T3_
                                        ; -- End function
	.section	.AMDGPU.csdata,"",@progbits
; Kernel info:
; codeLenInByte = 2988
; NumSgprs: 23
; NumVgprs: 42
; ScratchSize: 0
; MemoryBound: 0
; FloatMode: 240
; IeeeMode: 1
; LDSByteSize: 4224 bytes/workgroup (compile time only)
; SGPRBlocks: 2
; VGPRBlocks: 5
; NumSGPRsForWavesPerEU: 23
; NumVGPRsForWavesPerEU: 42
; Occupancy: 16
; WaveLimiterHint : 0
; COMPUTE_PGM_RSRC2:SCRATCH_EN: 0
; COMPUTE_PGM_RSRC2:USER_SGPR: 15
; COMPUTE_PGM_RSRC2:TRAP_HANDLER: 0
; COMPUTE_PGM_RSRC2:TGID_X_EN: 1
; COMPUTE_PGM_RSRC2:TGID_Y_EN: 0
; COMPUTE_PGM_RSRC2:TGID_Z_EN: 0
; COMPUTE_PGM_RSRC2:TIDIG_COMP_CNT: 0
	.section	.text._ZN7rocprim6detail20lookback_scan_kernelILNS0_25lookback_scan_determinismE0ELb1ENS0_19wrapped_scan_configINS_14default_configE6__halfEEPS5_S7_N6hipcub3MaxES5_S5_NS0_19lookback_scan_stateIS5_Lb1ELb1EEEEEvT2_T3_mT5_T4_T7_jPT6_SI_bb,"axG",@progbits,_ZN7rocprim6detail20lookback_scan_kernelILNS0_25lookback_scan_determinismE0ELb1ENS0_19wrapped_scan_configINS_14default_configE6__halfEEPS5_S7_N6hipcub3MaxES5_S5_NS0_19lookback_scan_stateIS5_Lb1ELb1EEEEEvT2_T3_mT5_T4_T7_jPT6_SI_bb,comdat
	.protected	_ZN7rocprim6detail20lookback_scan_kernelILNS0_25lookback_scan_determinismE0ELb1ENS0_19wrapped_scan_configINS_14default_configE6__halfEEPS5_S7_N6hipcub3MaxES5_S5_NS0_19lookback_scan_stateIS5_Lb1ELb1EEEEEvT2_T3_mT5_T4_T7_jPT6_SI_bb ; -- Begin function _ZN7rocprim6detail20lookback_scan_kernelILNS0_25lookback_scan_determinismE0ELb1ENS0_19wrapped_scan_configINS_14default_configE6__halfEEPS5_S7_N6hipcub3MaxES5_S5_NS0_19lookback_scan_stateIS5_Lb1ELb1EEEEEvT2_T3_mT5_T4_T7_jPT6_SI_bb
	.globl	_ZN7rocprim6detail20lookback_scan_kernelILNS0_25lookback_scan_determinismE0ELb1ENS0_19wrapped_scan_configINS_14default_configE6__halfEEPS5_S7_N6hipcub3MaxES5_S5_NS0_19lookback_scan_stateIS5_Lb1ELb1EEEEEvT2_T3_mT5_T4_T7_jPT6_SI_bb
	.p2align	8
	.type	_ZN7rocprim6detail20lookback_scan_kernelILNS0_25lookback_scan_determinismE0ELb1ENS0_19wrapped_scan_configINS_14default_configE6__halfEEPS5_S7_N6hipcub3MaxES5_S5_NS0_19lookback_scan_stateIS5_Lb1ELb1EEEEEvT2_T3_mT5_T4_T7_jPT6_SI_bb,@function
_ZN7rocprim6detail20lookback_scan_kernelILNS0_25lookback_scan_determinismE0ELb1ENS0_19wrapped_scan_configINS_14default_configE6__halfEEPS5_S7_N6hipcub3MaxES5_S5_NS0_19lookback_scan_stateIS5_Lb1ELb1EEEEEvT2_T3_mT5_T4_T7_jPT6_SI_bb: ; @_ZN7rocprim6detail20lookback_scan_kernelILNS0_25lookback_scan_determinismE0ELb1ENS0_19wrapped_scan_configINS_14default_configE6__halfEEPS5_S7_N6hipcub3MaxES5_S5_NS0_19lookback_scan_stateIS5_Lb1ELb1EEEEEvT2_T3_mT5_T4_T7_jPT6_SI_bb
; %bb.0:
	s_endpgm
	.section	.rodata,"a",@progbits
	.p2align	6, 0x0
	.amdhsa_kernel _ZN7rocprim6detail20lookback_scan_kernelILNS0_25lookback_scan_determinismE0ELb1ENS0_19wrapped_scan_configINS_14default_configE6__halfEEPS5_S7_N6hipcub3MaxES5_S5_NS0_19lookback_scan_stateIS5_Lb1ELb1EEEEEvT2_T3_mT5_T4_T7_jPT6_SI_bb
		.amdhsa_group_segment_fixed_size 0
		.amdhsa_private_segment_fixed_size 0
		.amdhsa_kernarg_size 68
		.amdhsa_user_sgpr_count 15
		.amdhsa_user_sgpr_dispatch_ptr 0
		.amdhsa_user_sgpr_queue_ptr 0
		.amdhsa_user_sgpr_kernarg_segment_ptr 1
		.amdhsa_user_sgpr_dispatch_id 0
		.amdhsa_user_sgpr_private_segment_size 0
		.amdhsa_wavefront_size32 1
		.amdhsa_uses_dynamic_stack 0
		.amdhsa_enable_private_segment 0
		.amdhsa_system_sgpr_workgroup_id_x 1
		.amdhsa_system_sgpr_workgroup_id_y 0
		.amdhsa_system_sgpr_workgroup_id_z 0
		.amdhsa_system_sgpr_workgroup_info 0
		.amdhsa_system_vgpr_workitem_id 0
		.amdhsa_next_free_vgpr 1
		.amdhsa_next_free_sgpr 1
		.amdhsa_reserve_vcc 0
		.amdhsa_float_round_mode_32 0
		.amdhsa_float_round_mode_16_64 0
		.amdhsa_float_denorm_mode_32 3
		.amdhsa_float_denorm_mode_16_64 3
		.amdhsa_dx10_clamp 1
		.amdhsa_ieee_mode 1
		.amdhsa_fp16_overflow 0
		.amdhsa_workgroup_processor_mode 1
		.amdhsa_memory_ordered 1
		.amdhsa_forward_progress 0
		.amdhsa_shared_vgpr_count 0
		.amdhsa_exception_fp_ieee_invalid_op 0
		.amdhsa_exception_fp_denorm_src 0
		.amdhsa_exception_fp_ieee_div_zero 0
		.amdhsa_exception_fp_ieee_overflow 0
		.amdhsa_exception_fp_ieee_underflow 0
		.amdhsa_exception_fp_ieee_inexact 0
		.amdhsa_exception_int_div_zero 0
	.end_amdhsa_kernel
	.section	.text._ZN7rocprim6detail20lookback_scan_kernelILNS0_25lookback_scan_determinismE0ELb1ENS0_19wrapped_scan_configINS_14default_configE6__halfEEPS5_S7_N6hipcub3MaxES5_S5_NS0_19lookback_scan_stateIS5_Lb1ELb1EEEEEvT2_T3_mT5_T4_T7_jPT6_SI_bb,"axG",@progbits,_ZN7rocprim6detail20lookback_scan_kernelILNS0_25lookback_scan_determinismE0ELb1ENS0_19wrapped_scan_configINS_14default_configE6__halfEEPS5_S7_N6hipcub3MaxES5_S5_NS0_19lookback_scan_stateIS5_Lb1ELb1EEEEEvT2_T3_mT5_T4_T7_jPT6_SI_bb,comdat
.Lfunc_end76:
	.size	_ZN7rocprim6detail20lookback_scan_kernelILNS0_25lookback_scan_determinismE0ELb1ENS0_19wrapped_scan_configINS_14default_configE6__halfEEPS5_S7_N6hipcub3MaxES5_S5_NS0_19lookback_scan_stateIS5_Lb1ELb1EEEEEvT2_T3_mT5_T4_T7_jPT6_SI_bb, .Lfunc_end76-_ZN7rocprim6detail20lookback_scan_kernelILNS0_25lookback_scan_determinismE0ELb1ENS0_19wrapped_scan_configINS_14default_configE6__halfEEPS5_S7_N6hipcub3MaxES5_S5_NS0_19lookback_scan_stateIS5_Lb1ELb1EEEEEvT2_T3_mT5_T4_T7_jPT6_SI_bb
                                        ; -- End function
	.section	.AMDGPU.csdata,"",@progbits
; Kernel info:
; codeLenInByte = 4
; NumSgprs: 0
; NumVgprs: 0
; ScratchSize: 0
; MemoryBound: 0
; FloatMode: 240
; IeeeMode: 1
; LDSByteSize: 0 bytes/workgroup (compile time only)
; SGPRBlocks: 0
; VGPRBlocks: 0
; NumSGPRsForWavesPerEU: 1
; NumVGPRsForWavesPerEU: 1
; Occupancy: 16
; WaveLimiterHint : 0
; COMPUTE_PGM_RSRC2:SCRATCH_EN: 0
; COMPUTE_PGM_RSRC2:USER_SGPR: 15
; COMPUTE_PGM_RSRC2:TRAP_HANDLER: 0
; COMPUTE_PGM_RSRC2:TGID_X_EN: 1
; COMPUTE_PGM_RSRC2:TGID_Y_EN: 0
; COMPUTE_PGM_RSRC2:TGID_Z_EN: 0
; COMPUTE_PGM_RSRC2:TIDIG_COMP_CNT: 0
	.section	.text._ZN7rocprim6detail20lookback_scan_kernelILNS0_25lookback_scan_determinismE0ELb1ENS0_19wrapped_scan_configINS_14default_configE6__halfEEPS5_S7_N6hipcub3MaxES5_S5_NS0_19lookback_scan_stateIS5_Lb0ELb1EEEEEvT2_T3_mT5_T4_T7_jPT6_SI_bb,"axG",@progbits,_ZN7rocprim6detail20lookback_scan_kernelILNS0_25lookback_scan_determinismE0ELb1ENS0_19wrapped_scan_configINS_14default_configE6__halfEEPS5_S7_N6hipcub3MaxES5_S5_NS0_19lookback_scan_stateIS5_Lb0ELb1EEEEEvT2_T3_mT5_T4_T7_jPT6_SI_bb,comdat
	.protected	_ZN7rocprim6detail20lookback_scan_kernelILNS0_25lookback_scan_determinismE0ELb1ENS0_19wrapped_scan_configINS_14default_configE6__halfEEPS5_S7_N6hipcub3MaxES5_S5_NS0_19lookback_scan_stateIS5_Lb0ELb1EEEEEvT2_T3_mT5_T4_T7_jPT6_SI_bb ; -- Begin function _ZN7rocprim6detail20lookback_scan_kernelILNS0_25lookback_scan_determinismE0ELb1ENS0_19wrapped_scan_configINS_14default_configE6__halfEEPS5_S7_N6hipcub3MaxES5_S5_NS0_19lookback_scan_stateIS5_Lb0ELb1EEEEEvT2_T3_mT5_T4_T7_jPT6_SI_bb
	.globl	_ZN7rocprim6detail20lookback_scan_kernelILNS0_25lookback_scan_determinismE0ELb1ENS0_19wrapped_scan_configINS_14default_configE6__halfEEPS5_S7_N6hipcub3MaxES5_S5_NS0_19lookback_scan_stateIS5_Lb0ELb1EEEEEvT2_T3_mT5_T4_T7_jPT6_SI_bb
	.p2align	8
	.type	_ZN7rocprim6detail20lookback_scan_kernelILNS0_25lookback_scan_determinismE0ELb1ENS0_19wrapped_scan_configINS_14default_configE6__halfEEPS5_S7_N6hipcub3MaxES5_S5_NS0_19lookback_scan_stateIS5_Lb0ELb1EEEEEvT2_T3_mT5_T4_T7_jPT6_SI_bb,@function
_ZN7rocprim6detail20lookback_scan_kernelILNS0_25lookback_scan_determinismE0ELb1ENS0_19wrapped_scan_configINS_14default_configE6__halfEEPS5_S7_N6hipcub3MaxES5_S5_NS0_19lookback_scan_stateIS5_Lb0ELb1EEEEEvT2_T3_mT5_T4_T7_jPT6_SI_bb: ; @_ZN7rocprim6detail20lookback_scan_kernelILNS0_25lookback_scan_determinismE0ELb1ENS0_19wrapped_scan_configINS_14default_configE6__halfEEPS5_S7_N6hipcub3MaxES5_S5_NS0_19lookback_scan_stateIS5_Lb0ELb1EEEEEvT2_T3_mT5_T4_T7_jPT6_SI_bb
; %bb.0:
	s_clause 0x2
	s_load_b32 s4, s[0:1], 0x28
	s_load_b64 s[2:3], s[0:1], 0x10
	s_load_b128 s[16:19], s[0:1], 0x0
	s_mov_b32 s5, 0
	v_lshlrev_b32_e32 v15, 1, v0
	s_waitcnt lgkmcnt(0)
	s_add_i32 s4, s4, -1
	s_delay_alu instid0(SALU_CYCLE_1) | instskip(NEXT) | instid1(SALU_CYCLE_1)
	s_mul_i32 s6, s4, 0x580
	s_sub_u32 s14, s2, s6
	s_subb_u32 s20, s3, 0
	s_cmp_lg_u32 s15, s4
	s_mul_i32 s4, s15, 0x580
	s_cselect_b32 s21, -1, 0
	s_lshl_b64 s[10:11], s[4:5], 1
	s_mov_b32 s3, -1
	s_add_u32 s4, s16, s10
	s_addc_u32 s5, s17, s11
	s_and_b32 vcc_lo, exec_lo, s21
	s_cbranch_vccz .LBB77_2
; %bb.1:
	s_clause 0x15
	global_load_u16 v1, v15, s[4:5]
	global_load_u16 v2, v15, s[4:5] offset:128
	global_load_u16 v3, v15, s[4:5] offset:256
	;; [unrolled: 1-line block ×21, first 2 shown]
	s_mov_b32 s3, 0
	s_waitcnt vmcnt(21)
	ds_store_b16 v15, v1
	s_waitcnt vmcnt(20)
	ds_store_b16 v15, v2 offset:128
	s_waitcnt vmcnt(19)
	ds_store_b16 v15, v3 offset:256
	;; [unrolled: 2-line block ×21, first 2 shown]
	s_waitcnt lgkmcnt(0)
	s_barrier
.LBB77_2:
	v_cmp_gt_u32_e64 s2, s14, v0
	s_and_not1_b32 vcc_lo, exec_lo, s3
	s_cbranch_vccnz .LBB77_48
; %bb.3:
	v_mov_b32_e32 v1, 0
	global_load_u16 v3, v1, s[4:5]
	v_add_co_u32 v1, s3, s4, v15
	s_delay_alu instid0(VALU_DEP_1)
	v_add_co_ci_u32_e64 v2, null, s5, 0, s3
	s_waitcnt vmcnt(0)
	v_mov_b32_e32 v4, v3
	s_and_saveexec_b32 s3, s2
	s_cbranch_execz .LBB77_5
; %bb.4:
	global_load_u16 v4, v[1:2], off
.LBB77_5:
	s_or_b32 exec_lo, exec_lo, s3
	v_or_b32_e32 v5, 64, v0
	s_delay_alu instid0(VALU_DEP_1)
	v_cmp_gt_u32_e32 vcc_lo, s14, v5
	v_mov_b32_e32 v5, v3
	s_and_saveexec_b32 s2, vcc_lo
	s_cbranch_execz .LBB77_7
; %bb.6:
	global_load_u16 v5, v[1:2], off offset:128
.LBB77_7:
	s_or_b32 exec_lo, exec_lo, s2
	v_or_b32_e32 v6, 0x80, v0
	s_delay_alu instid0(VALU_DEP_1)
	v_cmp_gt_u32_e32 vcc_lo, s14, v6
	v_mov_b32_e32 v6, v3
	s_and_saveexec_b32 s2, vcc_lo
	s_cbranch_execz .LBB77_9
; %bb.8:
	global_load_u16 v6, v[1:2], off offset:256
.LBB77_9:
	;; [unrolled: 10-line block ×20, first 2 shown]
	s_or_b32 exec_lo, exec_lo, s2
	v_or_b32_e32 v26, 0x540, v0
	s_mov_b32 s2, exec_lo
	s_delay_alu instid0(VALU_DEP_1)
	v_cmpx_gt_u32_e64 s14, v26
	s_cbranch_execz .LBB77_47
; %bb.46:
	global_load_u16 v3, v[1:2], off offset:2688
.LBB77_47:
	s_or_b32 exec_lo, exec_lo, s2
	s_waitcnt vmcnt(0)
	ds_store_b16 v15, v4
	ds_store_b16 v15, v5 offset:128
	ds_store_b16 v15, v6 offset:256
	;; [unrolled: 1-line block ×21, first 2 shown]
	s_waitcnt lgkmcnt(0)
	s_barrier
.LBB77_48:
	v_mul_u32_u24_e32 v16, 22, v0
	buffer_gl0_inv
	s_load_b64 s[12:13], s[0:1], 0x20
	v_lshrrev_b32_e32 v29, 5, v0
	v_cmp_gt_u32_e32 vcc_lo, 32, v0
	v_lshlrev_b32_e32 v17, 1, v16
	s_cmp_lg_u32 s15, 0
	ds_load_2addr_b32 v[9:10], v17 offset1:1
	ds_load_2addr_b32 v[7:8], v17 offset0:2 offset1:3
	ds_load_2addr_b32 v[5:6], v17 offset0:4 offset1:5
	;; [unrolled: 1-line block ×4, first 2 shown]
	ds_load_b32 v18, v17 offset:40
	s_waitcnt lgkmcnt(0)
	s_barrier
	buffer_gl0_inv
	v_lshrrev_b32_e32 v28, 16, v9
	v_lshrrev_b32_e32 v27, 16, v10
	v_lshrrev_b32_e32 v26, 16, v7
	v_lshrrev_b32_e32 v25, 16, v8
	v_lshrrev_b32_e32 v24, 16, v5
	v_lshrrev_b32_e32 v23, 16, v6
	v_lshrrev_b32_e32 v22, 16, v3
	v_lshrrev_b32_e32 v21, 16, v4
	v_lshrrev_b32_e32 v20, 16, v1
	v_lshrrev_b32_e32 v19, 16, v2
	v_lshrrev_b32_e32 v30, 16, v18
	v_cmp_lt_f16_e64 s2, v9, v28
	s_cbranch_scc0 .LBB77_73
; %bb.49:
	s_delay_alu instid0(VALU_DEP_1) | instskip(SKIP_1) | instid1(VALU_DEP_2)
	v_cndmask_b32_e64 v11, v9, v28, s2
	v_add_lshl_u32 v12, v29, v0, 1
	v_cmp_lt_f16_e64 s2, v11, v10
	s_delay_alu instid0(VALU_DEP_1) | instskip(NEXT) | instid1(VALU_DEP_1)
	v_cndmask_b32_e64 v11, v11, v10, s2
	v_cmp_lt_f16_e64 s2, v11, v27
	s_delay_alu instid0(VALU_DEP_1) | instskip(NEXT) | instid1(VALU_DEP_1)
	v_cndmask_b32_e64 v11, v11, v27, s2
	;; [unrolled: 3-line block ×19, first 2 shown]
	v_cmp_lt_f16_e64 s2, v11, v30
	s_delay_alu instid0(VALU_DEP_1)
	v_cndmask_b32_e64 v31, v11, v30, s2
	ds_store_b16 v12, v31
	s_waitcnt lgkmcnt(0)
	s_barrier
	buffer_gl0_inv
	s_and_saveexec_b32 s5, vcc_lo
	s_cbranch_execz .LBB77_51
; %bb.50:
	v_lshrrev_b32_e32 v11, 3, v0
	v_mbcnt_lo_u32_b32 v32, -1, 0
	s_delay_alu instid0(VALU_DEP_2) | instskip(NEXT) | instid1(VALU_DEP_2)
	v_and_b32_e32 v11, 6, v11
	v_and_b32_e32 v34, 15, v32
	v_add_nc_u32_e32 v35, -1, v32
	s_delay_alu instid0(VALU_DEP_3)
	v_lshl_or_b32 v11, v0, 2, v11
	ds_load_u16 v12, v11
	ds_load_u16 v13, v11 offset:2
	v_cmp_gt_i32_e64 s4, 0, v35
	s_waitcnt lgkmcnt(0)
	v_cmp_lt_f16_e64 s2, v12, v13
	s_delay_alu instid0(VALU_DEP_1) | instskip(SKIP_1) | instid1(VALU_DEP_2)
	v_cndmask_b32_e64 v14, v12, v13, s2
	v_cmp_eq_u32_e64 s2, 0, v34
	v_and_b32_e32 v33, 0xffff, v14
	s_delay_alu instid0(VALU_DEP_1) | instskip(NEXT) | instid1(VALU_DEP_1)
	v_mov_b32_dpp v33, v33 row_shr:1 row_mask:0xf bank_mask:0xf
	v_cmp_gt_f16_e64 s3, v14, v33
	s_delay_alu instid0(VALU_DEP_1) | instskip(NEXT) | instid1(SALU_CYCLE_1)
	s_or_b32 s2, s2, s3
	v_cndmask_b32_e64 v14, v33, v14, s2
	s_delay_alu instid0(VALU_DEP_1) | instskip(NEXT) | instid1(VALU_DEP_1)
	v_and_b32_e32 v33, 0xffff, v14
	v_mov_b32_dpp v33, v33 row_shr:2 row_mask:0xf bank_mask:0xf
	s_delay_alu instid0(VALU_DEP_1) | instskip(NEXT) | instid1(VALU_DEP_1)
	v_cmp_gt_f16_e64 s2, v14, v33
	v_cndmask_b32_e64 v33, v33, v14, s2
	v_cmp_lt_u32_e64 s2, 1, v34
	s_delay_alu instid0(VALU_DEP_1) | instskip(NEXT) | instid1(VALU_DEP_1)
	v_cndmask_b32_e64 v14, v14, v33, s2
	v_and_b32_e32 v33, 0xffff, v14
	s_delay_alu instid0(VALU_DEP_1) | instskip(NEXT) | instid1(VALU_DEP_1)
	v_mov_b32_dpp v33, v33 row_shr:4 row_mask:0xf bank_mask:0xf
	v_cmp_gt_f16_e64 s2, v14, v33
	s_delay_alu instid0(VALU_DEP_1) | instskip(SKIP_1) | instid1(VALU_DEP_1)
	v_cndmask_b32_e64 v33, v33, v14, s2
	v_cmp_lt_u32_e64 s2, 3, v34
	v_cndmask_b32_e64 v14, v14, v33, s2
	s_delay_alu instid0(VALU_DEP_1) | instskip(NEXT) | instid1(VALU_DEP_1)
	v_and_b32_e32 v33, 0xffff, v14
	v_mov_b32_dpp v33, v33 row_shr:8 row_mask:0xf bank_mask:0xf
	s_delay_alu instid0(VALU_DEP_1) | instskip(NEXT) | instid1(VALU_DEP_1)
	v_cmp_gt_f16_e64 s2, v14, v33
	v_cndmask_b32_e64 v33, v33, v14, s2
	v_cmp_lt_u32_e64 s2, 7, v34
	v_and_b32_e32 v34, 16, v32
	v_cndmask_b32_e64 v32, v35, v32, s4
	s_delay_alu instid0(VALU_DEP_3) | instskip(NEXT) | instid1(VALU_DEP_3)
	v_cndmask_b32_e64 v14, v14, v33, s2
	v_cmp_eq_u32_e64 s2, 0, v34
	s_delay_alu instid0(VALU_DEP_3) | instskip(NEXT) | instid1(VALU_DEP_3)
	v_lshlrev_b32_e32 v32, 2, v32
	v_and_b32_e32 v33, 0xffff, v14
	ds_swizzle_b32 v33, v33 offset:swizzle(BROADCAST,32,15)
	s_waitcnt lgkmcnt(0)
	v_cmp_gt_f16_e64 s3, v14, v33
	s_delay_alu instid0(VALU_DEP_1) | instskip(NEXT) | instid1(SALU_CYCLE_1)
	s_or_b32 s2, s2, s3
	v_cndmask_b32_e64 v14, v33, v14, s2
	s_delay_alu instid0(VALU_DEP_1) | instskip(SKIP_3) | instid1(VALU_DEP_1)
	v_and_b32_e32 v14, 0xffff, v14
	ds_bpermute_b32 v14, v32, v14
	s_waitcnt lgkmcnt(0)
	v_cmp_gt_f16_e64 s2, v12, v14
	v_cndmask_b32_e64 v12, v14, v12, s2
	v_cmp_eq_u32_e64 s2, 0, v0
	s_delay_alu instid0(VALU_DEP_1) | instskip(NEXT) | instid1(VALU_DEP_1)
	v_cndmask_b32_e64 v12, v12, v31, s2
	v_cmp_gt_f16_e64 s2, v13, v12
	s_delay_alu instid0(VALU_DEP_1)
	v_cndmask_b32_e64 v13, v12, v13, s2
	ds_store_b16 v11, v12
	ds_store_b16 v11, v13 offset:2
.LBB77_51:
	s_or_b32 exec_lo, exec_lo, s5
	v_cmp_eq_u32_e64 s2, 0, v0
	s_mov_b32 s4, exec_lo
	s_waitcnt lgkmcnt(0)
	s_barrier
	buffer_gl0_inv
	v_cmpx_ne_u32_e32 0, v0
	s_cbranch_execz .LBB77_53
; %bb.52:
	v_add_nc_u32_e32 v11, -1, v0
	s_delay_alu instid0(VALU_DEP_1) | instskip(NEXT) | instid1(VALU_DEP_1)
	v_lshrrev_b32_e32 v12, 5, v11
	v_add_lshl_u32 v11, v12, v11, 1
	ds_load_u16 v31, v11
.LBB77_53:
	s_or_b32 exec_lo, exec_lo, s4
	s_and_saveexec_b32 s22, vcc_lo
	s_cbranch_execz .LBB77_72
; %bb.54:
	v_mov_b32_e32 v13, 0
	v_mbcnt_lo_u32_b32 v14, -1, 0
	s_mov_b32 s5, 0
	ds_load_u16 v32, v13 offset:128
	v_cmp_eq_u32_e64 s3, 0, v14
	s_delay_alu instid0(VALU_DEP_1)
	s_and_saveexec_b32 s6, s3
	s_cbranch_execz .LBB77_56
; %bb.55:
	s_waitcnt lgkmcnt(0)
	v_and_b32_e32 v11, 0xffff, v32
	s_add_i32 s4, s15, 32
	s_delay_alu instid0(SALU_CYCLE_1) | instskip(NEXT) | instid1(SALU_CYCLE_1)
	s_lshl_b64 s[4:5], s[4:5], 2
	s_add_u32 s4, s12, s4
	s_delay_alu instid0(VALU_DEP_1)
	v_or_b32_e32 v11, 0x10000, v11
	s_addc_u32 s5, s13, s5
	global_store_b32 v13, v11, s[4:5]
.LBB77_56:
	s_or_b32 exec_lo, exec_lo, s6
	v_xad_u32 v11, v14, -1, s15
	s_mov_b32 s4, exec_lo
	s_delay_alu instid0(VALU_DEP_1) | instskip(NEXT) | instid1(VALU_DEP_1)
	v_add_nc_u32_e32 v12, 32, v11
	v_lshlrev_b64 v[12:13], 2, v[12:13]
	s_delay_alu instid0(VALU_DEP_1) | instskip(NEXT) | instid1(VALU_DEP_2)
	v_add_co_u32 v12, vcc_lo, s12, v12
	v_add_co_ci_u32_e32 v13, vcc_lo, s13, v13, vcc_lo
	global_load_b32 v43, v[12:13], off glc
	s_waitcnt vmcnt(0)
	v_lshrrev_b32_e32 v33, 16, v43
	s_delay_alu instid0(VALU_DEP_1) | instskip(NEXT) | instid1(VALU_DEP_1)
	v_and_b32_e32 v34, 0xff, v33
	v_cmpx_eq_u16_e32 0, v34
	s_cbranch_execz .LBB77_60
; %bb.57:
	s_mov_b32 s5, 0
.LBB77_58:                              ; =>This Inner Loop Header: Depth=1
	global_load_b32 v43, v[12:13], off glc
	s_waitcnt vmcnt(0)
	v_lshrrev_b32_e32 v33, 16, v43
	s_delay_alu instid0(VALU_DEP_1) | instskip(NEXT) | instid1(VALU_DEP_1)
	v_and_b32_e32 v34, 0xff, v33
	v_cmp_ne_u16_e32 vcc_lo, 0, v34
	s_or_b32 s5, vcc_lo, s5
	s_delay_alu instid0(SALU_CYCLE_1)
	s_and_not1_b32 exec_lo, exec_lo, s5
	s_cbranch_execnz .LBB77_58
; %bb.59:
	s_or_b32 exec_lo, exec_lo, s5
.LBB77_60:
	s_delay_alu instid0(SALU_CYCLE_1)
	s_or_b32 exec_lo, exec_lo, s4
	v_cmp_ne_u32_e32 vcc_lo, 31, v14
	v_and_b32_e32 v13, 0xffff, v43
	v_and_b32_e32 v36, 0xff, v33
	v_lshlrev_b32_e64 v35, v14, -1
	v_cmp_gt_u32_e64 s4, 30, v14
	v_add_co_ci_u32_e32 v12, vcc_lo, 0, v14, vcc_lo
	s_delay_alu instid0(VALU_DEP_4) | instskip(SKIP_1) | instid1(VALU_DEP_4)
	v_cmp_eq_u16_e32 vcc_lo, 2, v36
	v_add_nc_u32_e32 v36, 1, v14
	v_cndmask_b32_e64 v37, 0, 1, s4
	s_delay_alu instid0(VALU_DEP_4)
	v_lshlrev_b32_e32 v34, 2, v12
	v_cmp_gt_u32_e64 s4, 28, v14
	v_and_or_b32 v38, vcc_lo, v35, 0x80000000
	v_cmp_gt_u32_e64 s5, 24, v14
	v_cmp_gt_u32_e64 s6, 16, v14
	ds_bpermute_b32 v12, v34, v13
	v_cndmask_b32_e64 v39, 0, 1, s4
	v_ctz_i32_b32_e32 v46, v38
	v_lshlrev_b32_e32 v37, 1, v37
	s_delay_alu instid0(VALU_DEP_3) | instskip(NEXT) | instid1(VALU_DEP_2)
	v_lshlrev_b32_e32 v39, 2, v39
	v_add_lshl_u32 v37, v37, v14, 2
	s_delay_alu instid0(VALU_DEP_2) | instskip(SKIP_4) | instid1(VALU_DEP_2)
	v_add_lshl_u32 v39, v39, v14, 2
	s_waitcnt lgkmcnt(0)
	v_cmp_gt_f16_e32 vcc_lo, v43, v12
	v_cndmask_b32_e32 v12, v12, v43, vcc_lo
	v_cmp_le_u32_e32 vcc_lo, v36, v46
	v_and_b32_e32 v38, 0xffff, v12
	s_delay_alu instid0(VALU_DEP_1) | instskip(SKIP_3) | instid1(VALU_DEP_1)
	v_dual_cndmask_b32 v12, v43, v12 :: v_dual_cndmask_b32 v13, v13, v38
	ds_bpermute_b32 v38, v37, v13
	s_waitcnt lgkmcnt(0)
	v_cmp_gt_f16_e64 s4, v12, v38
	v_cndmask_b32_e64 v40, v38, v12, s4
	v_add_nc_u32_e32 v38, 2, v14
	s_delay_alu instid0(VALU_DEP_2) | instskip(NEXT) | instid1(VALU_DEP_2)
	v_and_b32_e32 v41, 0xffff, v40
	v_cmp_le_u32_e64 s4, v38, v46
	s_delay_alu instid0(VALU_DEP_1)
	v_cndmask_b32_e64 v13, v13, v41, s4
	v_cndmask_b32_e64 v12, v12, v40, s4
	;; [unrolled: 1-line block ×3, first 2 shown]
	ds_bpermute_b32 v41, v39, v13
	s_waitcnt lgkmcnt(0)
	v_cmp_gt_f16_e64 s5, v12, v41
	s_delay_alu instid0(VALU_DEP_1) | instskip(SKIP_2) | instid1(VALU_DEP_3)
	v_cndmask_b32_e64 v42, v41, v12, s5
	v_lshlrev_b32_e32 v41, 3, v40
	v_add_nc_u32_e32 v40, 4, v14
	v_and_b32_e32 v44, 0xffff, v42
	s_delay_alu instid0(VALU_DEP_3) | instskip(NEXT) | instid1(VALU_DEP_3)
	v_add_lshl_u32 v41, v41, v14, 2
	v_cmp_le_u32_e64 s5, v40, v46
	s_delay_alu instid0(VALU_DEP_1)
	v_cndmask_b32_e64 v13, v13, v44, s5
	v_cndmask_b32_e64 v12, v12, v42, s5
	;; [unrolled: 1-line block ×3, first 2 shown]
	ds_bpermute_b32 v44, v41, v13
	s_waitcnt lgkmcnt(0)
	v_cmp_gt_f16_e64 s6, v12, v44
	s_delay_alu instid0(VALU_DEP_1) | instskip(SKIP_2) | instid1(VALU_DEP_3)
	v_cndmask_b32_e64 v47, v44, v12, s6
	v_lshlrev_b32_e32 v44, 4, v42
	v_add_nc_u32_e32 v42, 8, v14
	v_and_b32_e32 v45, 0xffff, v47
	s_delay_alu instid0(VALU_DEP_3) | instskip(NEXT) | instid1(VALU_DEP_3)
	v_add_lshl_u32 v44, v44, v14, 2
	v_cmp_le_u32_e64 s6, v42, v46
	s_delay_alu instid0(VALU_DEP_1)
	v_cndmask_b32_e64 v13, v13, v45, s6
	v_add_nc_u32_e32 v45, 16, v14
	v_cndmask_b32_e64 v12, v12, v47, s6
	ds_bpermute_b32 v13, v44, v13
	v_cmp_le_u32_e64 s7, v45, v46
	v_cmp_gt_u32_e64 s8, v45, v46
	s_delay_alu instid0(VALU_DEP_2) | instskip(NEXT) | instid1(SALU_CYCLE_1)
	s_or_b32 s4, s4, s7
	s_or_b32 s4, vcc_lo, s4
	s_delay_alu instid0(SALU_CYCLE_1) | instskip(SKIP_2) | instid1(VALU_DEP_1)
	s_or_b32 s4, s5, s4
	s_waitcnt lgkmcnt(0)
	v_cmp_gt_f16_e64 s9, v12, v13
	s_or_b32 vcc_lo, s8, s9
	v_cndmask_b32_e32 v12, v13, v12, vcc_lo
	s_or_b32 vcc_lo, s6, s4
	s_delay_alu instid0(VALU_DEP_1)
	v_dual_cndmask_b32 v13, v43, v12 :: v_dual_mov_b32 v12, 0
	s_branch .LBB77_62
.LBB77_61:                              ;   in Loop: Header=BB77_62 Depth=1
	s_or_b32 exec_lo, exec_lo, s4
	v_and_b32_e32 v13, 0xffff, v46
	v_subrev_nc_u32_e32 v11, 32, v11
	ds_bpermute_b32 v14, v34, v13
	v_and_b32_e32 v47, 0xff, v33
	s_delay_alu instid0(VALU_DEP_1) | instskip(SKIP_1) | instid1(VALU_DEP_1)
	v_cmp_eq_u16_e32 vcc_lo, 2, v47
	v_and_or_b32 v47, vcc_lo, v35, 0x80000000
	v_ctz_i32_b32_e32 v47, v47
	s_waitcnt lgkmcnt(0)
	v_cmp_gt_f16_e32 vcc_lo, v46, v14
	s_delay_alu instid0(VALU_DEP_2) | instskip(SKIP_3) | instid1(VALU_DEP_2)
	v_cmp_le_u32_e64 s7, v45, v47
	v_cmp_gt_u32_e64 s8, v45, v47
	v_cndmask_b32_e32 v14, v14, v46, vcc_lo
	v_cmp_le_u32_e32 vcc_lo, v36, v47
	v_and_b32_e32 v48, 0xffff, v14
	s_delay_alu instid0(VALU_DEP_1) | instskip(SKIP_3) | instid1(VALU_DEP_1)
	v_dual_cndmask_b32 v14, v46, v14 :: v_dual_cndmask_b32 v13, v13, v48
	ds_bpermute_b32 v48, v37, v13
	s_waitcnt lgkmcnt(0)
	v_cmp_gt_f16_e64 s4, v14, v48
	v_cndmask_b32_e64 v48, v48, v14, s4
	v_cmp_le_u32_e64 s4, v38, v47
	s_delay_alu instid0(VALU_DEP_2) | instskip(NEXT) | instid1(VALU_DEP_2)
	v_and_b32_e32 v49, 0xffff, v48
	v_cndmask_b32_e64 v14, v14, v48, s4
	s_delay_alu instid0(VALU_DEP_2) | instskip(SKIP_1) | instid1(SALU_CYCLE_1)
	v_cndmask_b32_e64 v13, v13, v49, s4
	s_or_b32 s4, s4, s7
	s_or_b32 s4, vcc_lo, s4
	ds_bpermute_b32 v49, v39, v13
	s_waitcnt lgkmcnt(0)
	v_cmp_gt_f16_e64 s5, v14, v49
	s_delay_alu instid0(VALU_DEP_1) | instskip(SKIP_1) | instid1(VALU_DEP_2)
	v_cndmask_b32_e64 v48, v49, v14, s5
	v_cmp_le_u32_e64 s5, v40, v47
	v_and_b32_e32 v49, 0xffff, v48
	s_delay_alu instid0(VALU_DEP_2) | instskip(SKIP_1) | instid1(VALU_DEP_2)
	v_cndmask_b32_e64 v14, v14, v48, s5
	s_or_b32 s4, s5, s4
	v_cndmask_b32_e64 v13, v13, v49, s5
	ds_bpermute_b32 v49, v41, v13
	s_waitcnt lgkmcnt(0)
	v_cmp_gt_f16_e64 s6, v14, v49
	s_delay_alu instid0(VALU_DEP_1) | instskip(SKIP_1) | instid1(VALU_DEP_2)
	v_cndmask_b32_e64 v48, v49, v14, s6
	v_cmp_le_u32_e64 s6, v42, v47
	v_and_b32_e32 v49, 0xffff, v48
	s_delay_alu instid0(VALU_DEP_2) | instskip(NEXT) | instid1(VALU_DEP_2)
	v_cndmask_b32_e64 v14, v14, v48, s6
	v_cndmask_b32_e64 v13, v13, v49, s6
	ds_bpermute_b32 v13, v44, v13
	s_waitcnt lgkmcnt(0)
	v_cmp_gt_f16_e64 s9, v14, v13
	s_delay_alu instid0(VALU_DEP_1) | instskip(SKIP_2) | instid1(VALU_DEP_1)
	s_or_b32 vcc_lo, s8, s9
	v_cndmask_b32_e32 v13, v13, v14, vcc_lo
	s_or_b32 vcc_lo, s6, s4
	v_cndmask_b32_e32 v13, v46, v13, vcc_lo
	s_delay_alu instid0(VALU_DEP_1)
	v_cmp_lt_f16_e32 vcc_lo, v13, v43
	v_cndmask_b32_e32 v13, v13, v43, vcc_lo
.LBB77_62:                              ; =>This Loop Header: Depth=1
                                        ;     Child Loop BB77_65 Depth 2
	s_delay_alu instid0(VALU_DEP_1) | instskip(NEXT) | instid1(VALU_DEP_1)
	v_dual_mov_b32 v43, v13 :: v_dual_and_b32 v14, 0xff, v33
	v_cmp_ne_u16_e32 vcc_lo, 2, v14
	v_cndmask_b32_e64 v14, 0, 1, vcc_lo
	;;#ASMSTART
	;;#ASMEND
	s_delay_alu instid0(VALU_DEP_1)
	v_cmp_ne_u32_e32 vcc_lo, 0, v14
	s_cmp_lg_u32 vcc_lo, exec_lo
	s_cbranch_scc1 .LBB77_67
; %bb.63:                               ;   in Loop: Header=BB77_62 Depth=1
	v_lshlrev_b64 v[13:14], 2, v[11:12]
	s_mov_b32 s4, exec_lo
	s_delay_alu instid0(VALU_DEP_1) | instskip(NEXT) | instid1(VALU_DEP_2)
	v_add_co_u32 v13, vcc_lo, s12, v13
	v_add_co_ci_u32_e32 v14, vcc_lo, s13, v14, vcc_lo
	global_load_b32 v46, v[13:14], off glc
	s_waitcnt vmcnt(0)
	v_lshrrev_b32_e32 v33, 16, v46
	s_delay_alu instid0(VALU_DEP_1) | instskip(NEXT) | instid1(VALU_DEP_1)
	v_and_b32_e32 v47, 0xff, v33
	v_cmpx_eq_u16_e32 0, v47
	s_cbranch_execz .LBB77_61
; %bb.64:                               ;   in Loop: Header=BB77_62 Depth=1
	s_mov_b32 s5, 0
.LBB77_65:                              ;   Parent Loop BB77_62 Depth=1
                                        ; =>  This Inner Loop Header: Depth=2
	global_load_b32 v46, v[13:14], off glc
	s_waitcnt vmcnt(0)
	v_lshrrev_b32_e32 v33, 16, v46
	s_delay_alu instid0(VALU_DEP_1) | instskip(NEXT) | instid1(VALU_DEP_1)
	v_and_b32_e32 v47, 0xff, v33
	v_cmp_ne_u16_e32 vcc_lo, 0, v47
	s_or_b32 s5, vcc_lo, s5
	s_delay_alu instid0(SALU_CYCLE_1)
	s_and_not1_b32 exec_lo, exec_lo, s5
	s_cbranch_execnz .LBB77_65
; %bb.66:                               ;   in Loop: Header=BB77_62 Depth=1
	s_or_b32 exec_lo, exec_lo, s5
	s_branch .LBB77_61
.LBB77_67:                              ;   in Loop: Header=BB77_62 Depth=1
                                        ; implicit-def: $vgpr13
                                        ; implicit-def: $vgpr33
	s_cbranch_execz .LBB77_62
; %bb.68:
	s_and_saveexec_b32 s4, s3
	s_cbranch_execz .LBB77_70
; %bb.69:
	v_cmp_lt_f16_e32 vcc_lo, v43, v32
	s_add_i32 s6, s15, 32
	s_mov_b32 s7, 0
	v_mov_b32_e32 v12, 0
	s_lshl_b64 s[6:7], s[6:7], 2
	v_cndmask_b32_e32 v11, v43, v32, vcc_lo
	s_add_u32 s6, s12, s6
	s_addc_u32 s7, s13, s7
	s_delay_alu instid0(VALU_DEP_1) | instskip(NEXT) | instid1(VALU_DEP_1)
	v_and_b32_e32 v11, 0xffff, v11
	v_or_b32_e32 v11, 0x20000, v11
	global_store_b32 v12, v11, s[6:7]
.LBB77_70:
	s_or_b32 exec_lo, exec_lo, s4
	s_delay_alu instid0(SALU_CYCLE_1)
	s_and_b32 exec_lo, exec_lo, s2
	s_cbranch_execz .LBB77_72
; %bb.71:
	v_mov_b32_e32 v11, 0
	ds_store_b16 v11, v43
.LBB77_72:
	s_or_b32 exec_lo, exec_lo, s22
	v_mov_b32_e32 v11, 0
	s_waitcnt lgkmcnt(0)
	s_waitcnt_vscnt null, 0x0
	s_barrier
	buffer_gl0_inv
	ds_load_u16 v11, v11
	s_waitcnt lgkmcnt(0)
	v_cmp_lt_f16_e32 vcc_lo, v11, v31
	v_cndmask_b32_e32 v12, v11, v31, vcc_lo
	s_delay_alu instid0(VALU_DEP_1) | instskip(NEXT) | instid1(VALU_DEP_1)
	v_cndmask_b32_e64 v11, v12, v11, s2
	v_cmp_lt_f16_e32 vcc_lo, v11, v9
	v_cndmask_b32_e32 v12, v11, v9, vcc_lo
	s_delay_alu instid0(VALU_DEP_1) | instskip(SKIP_1) | instid1(VALU_DEP_1)
	v_cmp_lt_f16_e32 vcc_lo, v12, v28
	v_cndmask_b32_e32 v13, v12, v28, vcc_lo
	v_cmp_lt_f16_e32 vcc_lo, v13, v10
	v_cndmask_b32_e32 v14, v13, v10, vcc_lo
	s_delay_alu instid0(VALU_DEP_1) | instskip(SKIP_1) | instid1(VALU_DEP_1)
	v_cmp_lt_f16_e32 vcc_lo, v14, v27
	v_cndmask_b32_e32 v31, v14, v27, vcc_lo
	;; [unrolled: 5-line block ×10, first 2 shown]
	v_cmp_lt_f16_e32 vcc_lo, v48, v18
	v_cndmask_b32_e32 v38, v48, v18, vcc_lo
	s_load_b128 s[4:7], s[0:1], 0x30
	s_branch .LBB77_83
.LBB77_73:
                                        ; implicit-def: $vgpr11
                                        ; implicit-def: $vgpr12
                                        ; implicit-def: $vgpr13
                                        ; implicit-def: $vgpr14
                                        ; implicit-def: $vgpr31
                                        ; implicit-def: $vgpr32
                                        ; implicit-def: $vgpr33
                                        ; implicit-def: $vgpr34
                                        ; implicit-def: $vgpr35
                                        ; implicit-def: $vgpr36
                                        ; implicit-def: $vgpr37
                                        ; implicit-def: $vgpr39
                                        ; implicit-def: $vgpr40
                                        ; implicit-def: $vgpr41
                                        ; implicit-def: $vgpr42
                                        ; implicit-def: $vgpr43
                                        ; implicit-def: $vgpr44
                                        ; implicit-def: $vgpr45
                                        ; implicit-def: $vgpr46
                                        ; implicit-def: $vgpr47
                                        ; implicit-def: $vgpr48
                                        ; implicit-def: $vgpr38
	s_load_b128 s[4:7], s[0:1], 0x30
	s_cbranch_execz .LBB77_83
; %bb.74:
	s_clause 0x1
	s_load_b32 s2, s[0:1], 0x18
	s_load_b32 s3, s[0:1], 0x40
	s_waitcnt lgkmcnt(0)
	v_mov_b32_e32 v38, s2
	s_bitcmp0_b32 s3, 0
	s_cbranch_scc1 .LBB77_76
; %bb.75:
	v_mov_b32_e32 v11, 0
	s_clause 0x1
	global_load_u16 v12, v11, s[16:17] offset:-2
	global_load_u16 v11, v11, s[4:5]
	s_waitcnt vmcnt(0)
	v_cmp_lt_f16_e32 vcc_lo, v11, v12
	v_cndmask_b32_e32 v38, v11, v12, vcc_lo
.LBB77_76:
	v_cmp_lt_f16_e32 vcc_lo, v9, v28
	v_add_lshl_u32 v12, v29, v0, 1
	s_mov_b32 s4, exec_lo
	v_cndmask_b32_e32 v11, v9, v28, vcc_lo
	s_delay_alu instid0(VALU_DEP_1) | instskip(SKIP_1) | instid1(VALU_DEP_1)
	v_cmp_lt_f16_e32 vcc_lo, v11, v10
	v_cndmask_b32_e32 v11, v11, v10, vcc_lo
	v_cmp_lt_f16_e32 vcc_lo, v11, v27
	v_cndmask_b32_e32 v11, v11, v27, vcc_lo
	s_delay_alu instid0(VALU_DEP_1) | instskip(SKIP_1) | instid1(VALU_DEP_1)
	v_cmp_lt_f16_e32 vcc_lo, v11, v7
	v_cndmask_b32_e32 v11, v11, v7, vcc_lo
	v_cmp_lt_f16_e32 vcc_lo, v11, v26
	;; [unrolled: 5-line block ×10, first 2 shown]
	v_cndmask_b32_e32 v11, v11, v30, vcc_lo
	ds_store_b16 v12, v11
	s_waitcnt lgkmcnt(0)
	s_barrier
	buffer_gl0_inv
	v_cmpx_gt_u32_e32 32, v0
	s_cbranch_execz .LBB77_78
; %bb.77:
	v_lshrrev_b32_e32 v12, 3, v0
	v_mbcnt_lo_u32_b32 v30, -1, 0
	s_delay_alu instid0(VALU_DEP_2) | instskip(NEXT) | instid1(VALU_DEP_2)
	v_and_b32_e32 v12, 6, v12
	v_add_nc_u32_e32 v33, -1, v30
	s_delay_alu instid0(VALU_DEP_2) | instskip(NEXT) | instid1(VALU_DEP_2)
	v_lshl_or_b32 v12, v0, 2, v12
	v_cmp_gt_i32_e64 s3, 0, v33
	ds_load_u16 v13, v12
	ds_load_u16 v14, v12 offset:2
	s_waitcnt lgkmcnt(0)
	v_cmp_lt_f16_e32 vcc_lo, v13, v14
	v_cndmask_b32_e32 v29, v13, v14, vcc_lo
	s_delay_alu instid0(VALU_DEP_1) | instskip(NEXT) | instid1(VALU_DEP_1)
	v_and_b32_e32 v31, 0xffff, v29
	v_mov_b32_dpp v31, v31 row_shr:1 row_mask:0xf bank_mask:0xf
	v_and_b32_e32 v32, 15, v30
	s_delay_alu instid0(VALU_DEP_2) | instskip(NEXT) | instid1(VALU_DEP_2)
	v_cmp_gt_f16_e64 s2, v29, v31
	v_cmp_eq_u32_e32 vcc_lo, 0, v32
	s_delay_alu instid0(VALU_DEP_2) | instskip(SKIP_1) | instid1(VALU_DEP_1)
	s_or_b32 vcc_lo, vcc_lo, s2
	v_cndmask_b32_e32 v29, v31, v29, vcc_lo
	v_and_b32_e32 v31, 0xffff, v29
	s_delay_alu instid0(VALU_DEP_1) | instskip(NEXT) | instid1(VALU_DEP_1)
	v_mov_b32_dpp v31, v31 row_shr:2 row_mask:0xf bank_mask:0xf
	v_cmp_gt_f16_e32 vcc_lo, v29, v31
	v_cndmask_b32_e32 v31, v31, v29, vcc_lo
	v_cmp_lt_u32_e32 vcc_lo, 1, v32
	s_delay_alu instid0(VALU_DEP_2) | instskip(NEXT) | instid1(VALU_DEP_1)
	v_cndmask_b32_e32 v29, v29, v31, vcc_lo
	v_and_b32_e32 v31, 0xffff, v29
	s_delay_alu instid0(VALU_DEP_1) | instskip(NEXT) | instid1(VALU_DEP_1)
	v_mov_b32_dpp v31, v31 row_shr:4 row_mask:0xf bank_mask:0xf
	v_cmp_gt_f16_e32 vcc_lo, v29, v31
	v_cndmask_b32_e32 v31, v31, v29, vcc_lo
	v_cmp_lt_u32_e32 vcc_lo, 3, v32
	s_delay_alu instid0(VALU_DEP_2) | instskip(NEXT) | instid1(VALU_DEP_1)
	v_cndmask_b32_e32 v29, v29, v31, vcc_lo
	v_and_b32_e32 v31, 0xffff, v29
	s_delay_alu instid0(VALU_DEP_1) | instskip(NEXT) | instid1(VALU_DEP_1)
	v_mov_b32_dpp v31, v31 row_shr:8 row_mask:0xf bank_mask:0xf
	v_cmp_gt_f16_e32 vcc_lo, v29, v31
	v_cndmask_b32_e32 v31, v31, v29, vcc_lo
	v_cmp_lt_u32_e32 vcc_lo, 7, v32
	v_and_b32_e32 v32, 16, v30
	v_cndmask_b32_e64 v30, v33, v30, s3
	s_delay_alu instid0(VALU_DEP_4) | instskip(NEXT) | instid1(VALU_DEP_3)
	v_cndmask_b32_e32 v29, v29, v31, vcc_lo
	v_cmp_eq_u32_e32 vcc_lo, 0, v32
	s_delay_alu instid0(VALU_DEP_3) | instskip(NEXT) | instid1(VALU_DEP_3)
	v_lshlrev_b32_e32 v30, 2, v30
	v_and_b32_e32 v31, 0xffff, v29
	ds_swizzle_b32 v31, v31 offset:swizzle(BROADCAST,32,15)
	s_waitcnt lgkmcnt(0)
	v_cmp_gt_f16_e64 s2, v29, v31
	s_delay_alu instid0(VALU_DEP_1) | instskip(SKIP_1) | instid1(VALU_DEP_1)
	s_or_b32 vcc_lo, vcc_lo, s2
	v_cndmask_b32_e32 v29, v31, v29, vcc_lo
	v_and_b32_e32 v29, 0xffff, v29
	ds_bpermute_b32 v29, v30, v29
	s_waitcnt lgkmcnt(0)
	v_cmp_gt_f16_e32 vcc_lo, v13, v29
	v_cndmask_b32_e32 v13, v29, v13, vcc_lo
	v_cmp_eq_u32_e32 vcc_lo, 0, v0
	s_delay_alu instid0(VALU_DEP_2) | instskip(NEXT) | instid1(VALU_DEP_1)
	v_cndmask_b32_e32 v11, v13, v11, vcc_lo
	v_cmp_gt_f16_e32 vcc_lo, v14, v11
	v_cndmask_b32_e32 v13, v11, v14, vcc_lo
	ds_store_b16 v12, v11
	ds_store_b16 v12, v13 offset:2
.LBB77_78:
	s_or_b32 exec_lo, exec_lo, s4
	v_cmp_eq_u32_e32 vcc_lo, 0, v0
	v_mov_b32_e32 v11, v38
	s_mov_b32 s3, exec_lo
	s_waitcnt lgkmcnt(0)
	s_barrier
	buffer_gl0_inv
	v_cmpx_ne_u32_e32 0, v0
	s_cbranch_execz .LBB77_80
; %bb.79:
	v_add_nc_u32_e32 v11, -1, v0
	s_delay_alu instid0(VALU_DEP_1) | instskip(NEXT) | instid1(VALU_DEP_1)
	v_lshrrev_b32_e32 v12, 5, v11
	v_add_lshl_u32 v11, v12, v11, 1
	ds_load_u16 v11, v11
	s_waitcnt lgkmcnt(0)
	v_cmp_gt_f16_e64 s2, v11, v38
	s_delay_alu instid0(VALU_DEP_1)
	v_cndmask_b32_e64 v11, v38, v11, s2
.LBB77_80:
	s_or_b32 exec_lo, exec_lo, s3
	s_delay_alu instid0(VALU_DEP_1) | instskip(NEXT) | instid1(VALU_DEP_1)
	v_cmp_lt_f16_e64 s2, v11, v9
	v_cndmask_b32_e64 v12, v11, v9, s2
	s_delay_alu instid0(VALU_DEP_1) | instskip(NEXT) | instid1(VALU_DEP_1)
	v_cmp_lt_f16_e64 s2, v12, v28
	v_cndmask_b32_e64 v13, v12, v28, s2
	s_delay_alu instid0(VALU_DEP_1) | instskip(NEXT) | instid1(VALU_DEP_1)
	v_cmp_lt_f16_e64 s2, v13, v10
	v_cndmask_b32_e64 v14, v13, v10, s2
	s_delay_alu instid0(VALU_DEP_1) | instskip(NEXT) | instid1(VALU_DEP_1)
	v_cmp_lt_f16_e64 s2, v14, v27
	v_cndmask_b32_e64 v31, v14, v27, s2
	s_delay_alu instid0(VALU_DEP_1) | instskip(NEXT) | instid1(VALU_DEP_1)
	v_cmp_lt_f16_e64 s2, v31, v7
	v_cndmask_b32_e64 v32, v31, v7, s2
	s_delay_alu instid0(VALU_DEP_1) | instskip(NEXT) | instid1(VALU_DEP_1)
	v_cmp_lt_f16_e64 s2, v32, v26
	v_cndmask_b32_e64 v33, v32, v26, s2
	s_delay_alu instid0(VALU_DEP_1) | instskip(NEXT) | instid1(VALU_DEP_1)
	v_cmp_lt_f16_e64 s2, v33, v8
	v_cndmask_b32_e64 v34, v33, v8, s2
	s_delay_alu instid0(VALU_DEP_1) | instskip(NEXT) | instid1(VALU_DEP_1)
	v_cmp_lt_f16_e64 s2, v34, v25
	v_cndmask_b32_e64 v35, v34, v25, s2
	s_delay_alu instid0(VALU_DEP_1) | instskip(NEXT) | instid1(VALU_DEP_1)
	v_cmp_lt_f16_e64 s2, v35, v5
	v_cndmask_b32_e64 v36, v35, v5, s2
	s_delay_alu instid0(VALU_DEP_1) | instskip(NEXT) | instid1(VALU_DEP_1)
	v_cmp_lt_f16_e64 s2, v36, v24
	v_cndmask_b32_e64 v37, v36, v24, s2
	s_delay_alu instid0(VALU_DEP_1) | instskip(NEXT) | instid1(VALU_DEP_1)
	v_cmp_lt_f16_e64 s2, v37, v6
	v_cndmask_b32_e64 v39, v37, v6, s2
	s_delay_alu instid0(VALU_DEP_1) | instskip(NEXT) | instid1(VALU_DEP_1)
	v_cmp_lt_f16_e64 s2, v39, v23
	v_cndmask_b32_e64 v40, v39, v23, s2
	s_delay_alu instid0(VALU_DEP_1) | instskip(NEXT) | instid1(VALU_DEP_1)
	v_cmp_lt_f16_e64 s2, v40, v3
	v_cndmask_b32_e64 v41, v40, v3, s2
	s_delay_alu instid0(VALU_DEP_1) | instskip(NEXT) | instid1(VALU_DEP_1)
	v_cmp_lt_f16_e64 s2, v41, v22
	v_cndmask_b32_e64 v42, v41, v22, s2
	s_delay_alu instid0(VALU_DEP_1) | instskip(NEXT) | instid1(VALU_DEP_1)
	v_cmp_lt_f16_e64 s2, v42, v4
	v_cndmask_b32_e64 v43, v42, v4, s2
	s_delay_alu instid0(VALU_DEP_1) | instskip(NEXT) | instid1(VALU_DEP_1)
	v_cmp_lt_f16_e64 s2, v43, v21
	v_cndmask_b32_e64 v44, v43, v21, s2
	s_delay_alu instid0(VALU_DEP_1) | instskip(NEXT) | instid1(VALU_DEP_1)
	v_cmp_lt_f16_e64 s2, v44, v1
	v_cndmask_b32_e64 v45, v44, v1, s2
	s_delay_alu instid0(VALU_DEP_1) | instskip(NEXT) | instid1(VALU_DEP_1)
	v_cmp_lt_f16_e64 s2, v45, v20
	v_cndmask_b32_e64 v46, v45, v20, s2
	s_delay_alu instid0(VALU_DEP_1) | instskip(NEXT) | instid1(VALU_DEP_1)
	v_cmp_lt_f16_e64 s2, v46, v2
	v_cndmask_b32_e64 v47, v46, v2, s2
	s_delay_alu instid0(VALU_DEP_1) | instskip(NEXT) | instid1(VALU_DEP_1)
	v_cmp_lt_f16_e64 s2, v47, v19
	v_cndmask_b32_e64 v48, v47, v19, s2
	s_delay_alu instid0(VALU_DEP_1)
	v_cmp_lt_f16_e64 s2, v48, v18
	s_and_saveexec_b32 s3, vcc_lo
	s_cbranch_execz .LBB77_82
; %bb.81:
	v_mov_b32_e32 v1, 0
	ds_load_u16 v2, v1 offset:128
	s_waitcnt lgkmcnt(0)
	v_cmp_gt_f16_e32 vcc_lo, v2, v38
	v_cndmask_b32_e32 v2, v38, v2, vcc_lo
	s_delay_alu instid0(VALU_DEP_1) | instskip(NEXT) | instid1(VALU_DEP_1)
	v_and_b32_e32 v2, 0xffff, v2
	v_or_b32_e32 v2, 0x20000, v2
	global_store_b32 v1, v2, s[12:13] offset:128
.LBB77_82:
	s_or_b32 exec_lo, exec_lo, s3
	s_delay_alu instid0(VALU_DEP_1)
	v_cndmask_b32_e64 v38, v48, v18, s2
.LBB77_83:
	v_perm_b32 v4, v14, v13, 0x5040100
	v_perm_b32 v5, v12, v11, 0x5040100
	;; [unrolled: 1-line block ×11, first 2 shown]
	s_add_u32 s2, s18, s10
	s_addc_u32 s3, s19, s11
	s_and_b32 vcc_lo, exec_lo, s21
	s_waitcnt lgkmcnt(0)
	s_mov_b32 s4, -1
	s_waitcnt_vscnt null, 0x0
	s_barrier
	buffer_gl0_inv
	s_cbranch_vccz .LBB77_85
; %bb.84:
	ds_store_2addr_b32 v17, v5, v4 offset1:1
	ds_store_2addr_b32 v17, v7, v6 offset0:2 offset1:3
	ds_store_2addr_b32 v17, v9, v8 offset0:4 offset1:5
	ds_store_2addr_b32 v17, v11, v10 offset0:6 offset1:7
	ds_store_2addr_b32 v17, v2, v1 offset0:8 offset1:9
	ds_store_b32 v17, v3 offset:40
	s_waitcnt lgkmcnt(0)
	s_barrier
	buffer_gl0_inv
	ds_load_u16 v12, v15
	ds_load_u16 v13, v15 offset:128
	ds_load_u16 v14, v15 offset:256
	;; [unrolled: 1-line block ×21, first 2 shown]
	s_mov_b32 s4, 0
	s_waitcnt lgkmcnt(21)
	global_store_b16 v15, v12, s[2:3]
	s_waitcnt lgkmcnt(20)
	global_store_b16 v15, v13, s[2:3] offset:128
	s_waitcnt lgkmcnt(19)
	global_store_b16 v15, v14, s[2:3] offset:256
	;; [unrolled: 2-line block ×21, first 2 shown]
.LBB77_85:
	s_and_not1_b32 vcc_lo, exec_lo, s4
	s_cbranch_vccnz .LBB77_212
; %bb.86:
	v_mad_i32_i24 v27, 0xffffffd6, v0, v17
	ds_store_2addr_b32 v17, v5, v4 offset1:1
	ds_store_2addr_b32 v17, v7, v6 offset0:2 offset1:3
	ds_store_2addr_b32 v17, v9, v8 offset0:4 offset1:5
	;; [unrolled: 1-line block ×4, first 2 shown]
	ds_store_b32 v17, v3 offset:40
	s_waitcnt lgkmcnt(0)
	s_waitcnt_vscnt null, 0x0
	s_barrier
	buffer_gl0_inv
	ds_load_u16 v5, v27
	ds_load_u16 v4, v27 offset:128
	ds_load_u16 v7, v27 offset:256
	;; [unrolled: 1-line block ×21, first 2 shown]
	v_add_co_u32 v2, s2, s2, v15
	v_mov_b32_e32 v1, 0
	v_add_co_ci_u32_e64 v3, null, s3, 0, s2
	s_mov_b32 s2, exec_lo
	v_cmpx_gt_u32_e64 s14, v0
	s_cbranch_execz .LBB77_88
; %bb.87:
	s_waitcnt lgkmcnt(21)
	global_store_b16 v[2:3], v5, off
.LBB77_88:
	s_or_b32 exec_lo, exec_lo, s2
	v_or_b32_e32 v15, 64, v0
	s_mov_b32 s2, exec_lo
	s_delay_alu instid0(VALU_DEP_1)
	v_cmpx_gt_u32_e64 s14, v15
	s_cbranch_execz .LBB77_90
; %bb.89:
	s_waitcnt lgkmcnt(20)
	global_store_b16 v[2:3], v4, off offset:128
.LBB77_90:
	s_or_b32 exec_lo, exec_lo, s2
	v_or_b32_e32 v15, 0x80, v0
	s_mov_b32 s2, exec_lo
	s_delay_alu instid0(VALU_DEP_1)
	v_cmpx_gt_u32_e64 s14, v15
	s_cbranch_execz .LBB77_92
; %bb.91:
	s_waitcnt lgkmcnt(19)
	global_store_b16 v[2:3], v7, off offset:256
.LBB77_92:
	;; [unrolled: 10-line block ×21, first 2 shown]
	s_or_b32 exec_lo, exec_lo, s2
	s_load_b32 s0, s[0:1], 0x40
	s_waitcnt lgkmcnt(0)
	s_bfe_u32 s0, s0, 0x10008
	s_delay_alu instid0(SALU_CYCLE_1)
	s_cmp_eq_u32 s0, 0
	s_cbranch_scc1 .LBB77_212
; %bb.131:
	s_add_u32 s0, s14, -1
	s_addc_u32 s1, s20, -1
	s_add_u32 s2, 0, 0x2e8b0a00
	s_addc_u32 s3, 0, 42
	s_mul_hi_u32 s5, s2, 0xffffffea
	s_add_i32 s3, s3, 0xba2e890
	s_sub_i32 s5, s5, s2
	s_mul_i32 s8, s3, 0xffffffea
	s_mul_i32 s4, s2, 0xffffffea
	s_add_i32 s5, s5, s8
	s_mul_hi_u32 s9, s3, s4
	s_mul_i32 s8, s3, s4
	s_mul_i32 s10, s2, s5
	s_mul_hi_u32 s4, s2, s4
	s_mul_hi_u32 s11, s2, s5
	s_add_u32 s4, s4, s10
	s_addc_u32 s10, 0, s11
	s_mul_hi_u32 s11, s3, s5
	s_add_u32 s4, s4, s8
	s_addc_u32 s4, s10, s9
	s_mul_i32 s5, s3, s5
	s_addc_u32 s8, s11, 0
	s_add_u32 s4, s4, s5
	s_delay_alu instid0(SALU_CYCLE_1) | instskip(SKIP_2) | instid1(VALU_DEP_1)
	v_add_co_u32 v2, s2, s2, s4
	s_addc_u32 s4, 0, s8
	s_cmp_lg_u32 s2, 0
	v_readfirstlane_b32 s2, v2
	s_addc_u32 s3, s3, s4
	s_delay_alu instid0(SALU_CYCLE_1) | instskip(SKIP_1) | instid1(VALU_DEP_1)
	s_mul_i32 s4, s0, s3
	s_mul_hi_u32 s8, s0, s3
	s_mul_hi_u32 s5, s0, s2
	s_mul_i32 s9, s1, s2
	s_add_u32 s4, s5, s4
	s_addc_u32 s5, 0, s8
	s_mul_hi_u32 s2, s1, s2
	s_mul_hi_u32 s8, s1, s3
	s_add_u32 s4, s4, s9
	s_addc_u32 s2, s5, s2
	s_mul_i32 s3, s1, s3
	s_addc_u32 s4, s8, 0
	s_add_u32 s2, s2, s3
	s_addc_u32 s3, 0, s4
	s_mul_i32 s5, s2, 22
	s_add_u32 s4, s2, 1
	v_sub_co_u32 v2, s5, s0, s5
	s_addc_u32 s8, s3, 0
	s_mul_i32 s10, s3, 22
	s_mul_hi_u32 s12, s2, 22
	s_delay_alu instid0(VALU_DEP_1)
	v_sub_co_u32 v3, s11, v2, 22
	s_add_u32 s9, s2, 2
	s_addc_u32 s13, s3, 0
	s_add_i32 s12, s12, s10
	s_cmp_lg_u32 s5, 0
	v_readfirstlane_b32 s5, v3
	s_subb_u32 s10, s1, s12
	s_cmp_lg_u32 s11, 0
	s_subb_u32 s11, s10, 0
	s_delay_alu instid0(VALU_DEP_1) | instskip(SKIP_4) | instid1(SALU_CYCLE_1)
	s_cmp_gt_u32 s5, 21
	s_cselect_b32 s5, -1, 0
	s_cmp_eq_u32 s11, 0
	v_readfirstlane_b32 s11, v2
	s_cselect_b32 s5, s5, -1
	s_cmp_lg_u32 s5, 0
	s_cselect_b32 s4, s9, s4
	s_cselect_b32 s5, s13, s8
	s_cmp_gt_u32 s11, 21
	s_cselect_b32 s8, -1, 0
	s_cmp_eq_u32 s10, 0
	s_cselect_b32 s8, s8, -1
	s_delay_alu instid0(SALU_CYCLE_1) | instskip(SKIP_2) | instid1(SALU_CYCLE_1)
	s_cmp_lg_u32 s8, 0
	s_cselect_b32 s3, s5, s3
	s_cselect_b32 s2, s4, s2
	v_cmp_eq_u64_e32 vcc_lo, s[2:3], v[0:1]
	s_and_saveexec_b32 s2, vcc_lo
	s_cbranch_execz .LBB77_212
; %bb.132:
	v_mul_hi_u32_u24_e32 v1, 22, v0
	v_sub_co_u32 v0, vcc_lo, s0, v16
	s_mov_b32 s0, 0
	s_mov_b32 s2, 0
	s_delay_alu instid0(VALU_DEP_2) | instskip(SKIP_1) | instid1(VALU_DEP_1)
	v_sub_co_ci_u32_e32 v1, vcc_lo, s1, v1, vcc_lo
	s_mov_b32 s1, exec_lo
	v_cmpx_lt_i64_e32 10, v[0:1]
	s_xor_b32 s1, exec_lo, s1
	s_cbranch_execnz .LBB77_136
; %bb.133:
	s_or_saveexec_b32 s1, s1
	s_mov_b32 s3, 0
	s_xor_b32 exec_lo, exec_lo, s1
	s_cbranch_execnz .LBB77_177
.LBB77_134:
	s_or_b32 exec_lo, exec_lo, s1
	s_and_saveexec_b32 s1, s2
	s_cbranch_execnz .LBB77_188
.LBB77_135:
	s_or_b32 exec_lo, exec_lo, s1
	s_and_saveexec_b32 s1, s0
	s_cbranch_execnz .LBB77_189
	s_branch .LBB77_193
.LBB77_136:
	s_mov_b32 s3, 0
	s_mov_b32 s2, exec_lo
	v_cmpx_lt_i64_e32 15, v[0:1]
	s_xor_b32 s2, exec_lo, s2
	s_cbranch_execz .LBB77_158
; %bb.137:
	s_mov_b32 s4, exec_lo
                                        ; implicit-def: $vgpr12
	v_cmpx_lt_i64_e32 18, v[0:1]
	s_xor_b32 s4, exec_lo, s4
	s_cbranch_execz .LBB77_147
; %bb.138:
	s_mov_b32 s5, 0
	s_mov_b32 s3, exec_lo
                                        ; implicit-def: $vgpr12
	v_cmpx_lt_i64_e32 19, v[0:1]
	s_xor_b32 s3, exec_lo, s3
	s_cbranch_execz .LBB77_144
; %bb.139:
	s_mov_b32 s5, exec_lo
	v_cmpx_lt_i64_e32 20, v[0:1]
	s_xor_b32 s5, exec_lo, s5
	s_cbranch_execz .LBB77_141
; %bb.140:
	v_mov_b32_e32 v2, 0
                                        ; implicit-def: $vgpr21
	global_store_b16 v2, v27, s[6:7]
.LBB77_141:
	s_or_saveexec_b32 s5, s5
	s_mov_b32 s8, 0
	s_xor_b32 exec_lo, exec_lo, s5
; %bb.142:
	s_delay_alu instid0(SALU_CYCLE_1)
	s_mov_b32 s8, exec_lo
; %bb.143:
	s_or_b32 exec_lo, exec_lo, s5
	v_mov_b32_e32 v12, v21
	s_and_b32 s5, s8, exec_lo
                                        ; implicit-def: $vgpr26
.LBB77_144:
	s_and_not1_saveexec_b32 s3, s3
	s_cbranch_execz .LBB77_146
; %bb.145:
	v_mov_b32_e32 v2, 0
                                        ; implicit-def: $vgpr12
	global_store_b16 v2, v26, s[6:7]
.LBB77_146:
	s_or_b32 exec_lo, exec_lo, s3
	s_delay_alu instid0(SALU_CYCLE_1)
	s_and_b32 s3, s5, exec_lo
                                        ; implicit-def: $vgpr23
                                        ; implicit-def: $vgpr20
                                        ; implicit-def: $vgpr25
.LBB77_147:
	s_and_not1_saveexec_b32 s4, s4
	s_cbranch_execz .LBB77_157
; %bb.148:
	s_mov_b32 s5, exec_lo
	v_cmpx_lt_i64_e32 16, v[0:1]
	s_xor_b32 s5, exec_lo, s5
	s_cbranch_execz .LBB77_154
; %bb.149:
	s_mov_b32 s8, exec_lo
	v_cmpx_lt_i64_e32 17, v[0:1]
	s_xor_b32 s8, exec_lo, s8
	s_cbranch_execz .LBB77_151
; %bb.150:
	v_mov_b32_e32 v2, 0
                                        ; implicit-def: $vgpr20
	global_store_b16 v2, v25, s[6:7]
.LBB77_151:
	s_and_not1_saveexec_b32 s8, s8
	s_cbranch_execz .LBB77_153
; %bb.152:
	v_mov_b32_e32 v2, 0
	global_store_b16 v2, v20, s[6:7]
.LBB77_153:
	s_or_b32 exec_lo, exec_lo, s8
                                        ; implicit-def: $vgpr23
.LBB77_154:
	s_and_not1_saveexec_b32 s5, s5
	s_cbranch_execz .LBB77_156
; %bb.155:
	v_mov_b32_e32 v2, 0
	global_store_b16 v2, v23, s[6:7]
.LBB77_156:
	s_or_b32 exec_lo, exec_lo, s5
                                        ; implicit-def: $vgpr12
.LBB77_157:
	s_delay_alu instid0(SALU_CYCLE_1) | instskip(NEXT) | instid1(SALU_CYCLE_1)
	s_or_b32 exec_lo, exec_lo, s4
	s_and_b32 s3, s3, exec_lo
                                        ; implicit-def: $vgpr22
                                        ; implicit-def: $vgpr19
                                        ; implicit-def: $vgpr18
                                        ; implicit-def: $vgpr24
.LBB77_158:
	s_and_not1_saveexec_b32 s2, s2
	s_cbranch_execz .LBB77_176
; %bb.159:
	s_mov_b32 s4, exec_lo
	v_cmpx_lt_i64_e32 12, v[0:1]
	s_xor_b32 s4, exec_lo, s4
	s_cbranch_execz .LBB77_169
; %bb.160:
	s_mov_b32 s5, exec_lo
	v_cmpx_lt_i64_e32 13, v[0:1]
	s_xor_b32 s5, exec_lo, s5
	;; [unrolled: 5-line block ×3, first 2 shown]
	s_cbranch_execz .LBB77_163
; %bb.162:
	v_mov_b32_e32 v2, 0
                                        ; implicit-def: $vgpr18
	global_store_b16 v2, v24, s[6:7]
.LBB77_163:
	s_and_not1_saveexec_b32 s8, s8
	s_cbranch_execz .LBB77_165
; %bb.164:
	v_mov_b32_e32 v2, 0
	global_store_b16 v2, v18, s[6:7]
.LBB77_165:
	s_or_b32 exec_lo, exec_lo, s8
                                        ; implicit-def: $vgpr22
.LBB77_166:
	s_and_not1_saveexec_b32 s5, s5
	s_cbranch_execz .LBB77_168
; %bb.167:
	v_mov_b32_e32 v2, 0
	global_store_b16 v2, v22, s[6:7]
.LBB77_168:
	s_or_b32 exec_lo, exec_lo, s5
                                        ; implicit-def: $vgpr12
                                        ; implicit-def: $vgpr19
.LBB77_169:
	s_or_saveexec_b32 s4, s4
	s_mov_b32 s5, s3
	s_xor_b32 exec_lo, exec_lo, s4
	s_cbranch_execz .LBB77_175
; %bb.170:
	s_mov_b32 s5, exec_lo
	v_cmpx_lt_i64_e32 11, v[0:1]
	s_xor_b32 s5, exec_lo, s5
	s_cbranch_execz .LBB77_172
; %bb.171:
	v_mov_b32_e32 v2, 0
                                        ; implicit-def: $vgpr12
	global_store_b16 v2, v19, s[6:7]
.LBB77_172:
	s_or_saveexec_b32 s5, s5
	s_mov_b32 s8, s3
	s_xor_b32 exec_lo, exec_lo, s5
; %bb.173:
	s_delay_alu instid0(SALU_CYCLE_1)
	s_or_b32 s8, s3, exec_lo
; %bb.174:
	s_or_b32 exec_lo, exec_lo, s5
	s_delay_alu instid0(SALU_CYCLE_1) | instskip(SKIP_1) | instid1(SALU_CYCLE_1)
	s_and_not1_b32 s5, s3, exec_lo
	s_and_b32 s8, s8, exec_lo
	s_or_b32 s5, s5, s8
.LBB77_175:
	s_or_b32 exec_lo, exec_lo, s4
	s_delay_alu instid0(SALU_CYCLE_1) | instskip(SKIP_1) | instid1(SALU_CYCLE_1)
	s_and_not1_b32 s3, s3, exec_lo
	s_and_b32 s4, s5, exec_lo
	s_or_b32 s3, s3, s4
.LBB77_176:
	s_or_b32 exec_lo, exec_lo, s2
	s_delay_alu instid0(SALU_CYCLE_1)
	s_and_b32 s2, s3, exec_lo
                                        ; implicit-def: $vgpr14
                                        ; implicit-def: $vgpr17
                                        ; implicit-def: $vgpr13
	s_or_saveexec_b32 s1, s1
	s_mov_b32 s3, 0
	s_xor_b32 exec_lo, exec_lo, s1
	s_cbranch_execz .LBB77_134
.LBB77_177:
	s_mov_b32 s4, 0
	s_mov_b32 s3, -1
	s_mov_b32 s5, s2
	s_mov_b32 s0, exec_lo
                                        ; implicit-def: $vgpr12
	v_cmpx_lt_i64_e32 5, v[0:1]
	s_cbranch_execz .LBB77_187
; %bb.178:
	s_mov_b32 s4, -1
	s_mov_b32 s5, s2
	s_mov_b32 s3, exec_lo
	v_cmpx_lt_i64_e32 7, v[0:1]
	s_cbranch_execz .LBB77_186
; %bb.179:
	s_mov_b32 s4, exec_lo
	v_cmpx_lt_i64_e32 8, v[0:1]
	s_cbranch_execz .LBB77_185
; %bb.180:
	s_mov_b32 s5, exec_lo
	v_cmpx_lt_i64_e32 9, v[0:1]
	s_xor_b32 s5, exec_lo, s5
; %bb.181:
                                        ; implicit-def: $vgpr17
; %bb.182:
	s_delay_alu instid0(SALU_CYCLE_1)
	s_and_not1_saveexec_b32 s5, s5
; %bb.183:
	v_mov_b32_e32 v13, v17
; %bb.184:
	s_or_b32 exec_lo, exec_lo, s5
	s_delay_alu instid0(VALU_DEP_1)
	v_mov_b32_e32 v14, v13
.LBB77_185:
	s_or_b32 exec_lo, exec_lo, s4
	s_delay_alu instid0(SALU_CYCLE_1)
	s_xor_b32 s4, exec_lo, -1
	s_or_b32 s5, s2, exec_lo
.LBB77_186:
	s_or_b32 exec_lo, exec_lo, s3
	v_mov_b32_e32 v12, v14
	s_and_not1_b32 s8, s2, exec_lo
	s_and_b32 s5, s5, exec_lo
	s_xor_b32 s3, exec_lo, -1
	s_and_b32 s4, s4, exec_lo
	s_or_b32 s5, s8, s5
.LBB77_187:
	s_or_b32 exec_lo, exec_lo, s0
	s_delay_alu instid0(SALU_CYCLE_1)
	s_and_not1_b32 s2, s2, exec_lo
	s_and_b32 s5, s5, exec_lo
	s_and_b32 s3, s3, exec_lo
	;; [unrolled: 1-line block ×3, first 2 shown]
	s_or_b32 s2, s2, s5
	s_or_b32 exec_lo, exec_lo, s1
	s_and_saveexec_b32 s1, s2
	s_cbranch_execz .LBB77_135
.LBB77_188:
	v_mov_b32_e32 v2, 0
	global_store_b16 v2, v12, s[6:7]
	s_or_b32 exec_lo, exec_lo, s1
	s_and_saveexec_b32 s1, s0
	s_cbranch_execz .LBB77_193
.LBB77_189:
	s_mov_b32 s0, exec_lo
	v_cmpx_lt_i64_e32 6, v[0:1]
	s_xor_b32 s0, exec_lo, s0
	s_cbranch_execz .LBB77_191
; %bb.190:
	v_mov_b32_e32 v2, 0
                                        ; implicit-def: $vgpr10
	global_store_b16 v2, v11, s[6:7]
.LBB77_191:
	s_and_not1_saveexec_b32 s0, s0
	s_cbranch_execz .LBB77_193
; %bb.192:
	v_mov_b32_e32 v2, 0
	global_store_b16 v2, v10, s[6:7]
.LBB77_193:
	s_or_b32 exec_lo, exec_lo, s1
	s_delay_alu instid0(SALU_CYCLE_1)
	s_and_b32 exec_lo, exec_lo, s3
	s_cbranch_execz .LBB77_212
; %bb.194:
	s_mov_b32 s0, exec_lo
	v_cmpx_lt_i64_e32 2, v[0:1]
	s_xor_b32 s0, exec_lo, s0
	s_cbranch_execz .LBB77_204
; %bb.195:
	s_mov_b32 s1, exec_lo
	v_cmpx_lt_i64_e32 3, v[0:1]
	s_xor_b32 s1, exec_lo, s1
	;; [unrolled: 5-line block ×3, first 2 shown]
	s_cbranch_execz .LBB77_198
; %bb.197:
	v_mov_b32_e32 v0, 0
                                        ; implicit-def: $vgpr6
	global_store_b16 v0, v9, s[6:7]
.LBB77_198:
	s_and_not1_saveexec_b32 s2, s2
	s_cbranch_execz .LBB77_200
; %bb.199:
	v_mov_b32_e32 v0, 0
	global_store_b16 v0, v6, s[6:7]
.LBB77_200:
	s_or_b32 exec_lo, exec_lo, s2
                                        ; implicit-def: $vgpr8
.LBB77_201:
	s_and_not1_saveexec_b32 s1, s1
	s_cbranch_execz .LBB77_203
; %bb.202:
	v_mov_b32_e32 v0, 0
	global_store_b16 v0, v8, s[6:7]
.LBB77_203:
	s_or_b32 exec_lo, exec_lo, s1
                                        ; implicit-def: $vgpr0_vgpr1
                                        ; implicit-def: $vgpr7
                                        ; implicit-def: $vgpr4
                                        ; implicit-def: $vgpr5
.LBB77_204:
	s_and_not1_saveexec_b32 s0, s0
	s_cbranch_execz .LBB77_212
; %bb.205:
	s_mov_b32 s0, exec_lo
	v_cmpx_lt_i64_e32 1, v[0:1]
	s_xor_b32 s0, exec_lo, s0
	s_cbranch_execz .LBB77_207
; %bb.206:
	v_mov_b32_e32 v0, 0
                                        ; implicit-def: $vgpr4
                                        ; implicit-def: $vgpr5
	global_store_b16 v0, v7, s[6:7]
                                        ; implicit-def: $vgpr0_vgpr1
.LBB77_207:
	s_and_not1_saveexec_b32 s0, s0
	s_cbranch_execz .LBB77_212
; %bb.208:
	s_mov_b32 s0, exec_lo
	v_cmpx_ne_u64_e32 1, v[0:1]
	s_xor_b32 s0, exec_lo, s0
	s_cbranch_execz .LBB77_210
; %bb.209:
	v_mov_b32_e32 v0, 0
                                        ; implicit-def: $vgpr4
	global_store_b16 v0, v5, s[6:7]
.LBB77_210:
	s_and_not1_saveexec_b32 s0, s0
	s_cbranch_execz .LBB77_212
; %bb.211:
	v_mov_b32_e32 v0, 0
	global_store_b16 v0, v4, s[6:7]
.LBB77_212:
	s_nop 0
	s_sendmsg sendmsg(MSG_DEALLOC_VGPRS)
	s_endpgm
	.section	.rodata,"a",@progbits
	.p2align	6, 0x0
	.amdhsa_kernel _ZN7rocprim6detail20lookback_scan_kernelILNS0_25lookback_scan_determinismE0ELb1ENS0_19wrapped_scan_configINS_14default_configE6__halfEEPS5_S7_N6hipcub3MaxES5_S5_NS0_19lookback_scan_stateIS5_Lb0ELb1EEEEEvT2_T3_mT5_T4_T7_jPT6_SI_bb
		.amdhsa_group_segment_fixed_size 2816
		.amdhsa_private_segment_fixed_size 0
		.amdhsa_kernarg_size 68
		.amdhsa_user_sgpr_count 15
		.amdhsa_user_sgpr_dispatch_ptr 0
		.amdhsa_user_sgpr_queue_ptr 0
		.amdhsa_user_sgpr_kernarg_segment_ptr 1
		.amdhsa_user_sgpr_dispatch_id 0
		.amdhsa_user_sgpr_private_segment_size 0
		.amdhsa_wavefront_size32 1
		.amdhsa_uses_dynamic_stack 0
		.amdhsa_enable_private_segment 0
		.amdhsa_system_sgpr_workgroup_id_x 1
		.amdhsa_system_sgpr_workgroup_id_y 0
		.amdhsa_system_sgpr_workgroup_id_z 0
		.amdhsa_system_sgpr_workgroup_info 0
		.amdhsa_system_vgpr_workitem_id 0
		.amdhsa_next_free_vgpr 50
		.amdhsa_next_free_sgpr 23
		.amdhsa_reserve_vcc 1
		.amdhsa_float_round_mode_32 0
		.amdhsa_float_round_mode_16_64 0
		.amdhsa_float_denorm_mode_32 3
		.amdhsa_float_denorm_mode_16_64 3
		.amdhsa_dx10_clamp 1
		.amdhsa_ieee_mode 1
		.amdhsa_fp16_overflow 0
		.amdhsa_workgroup_processor_mode 1
		.amdhsa_memory_ordered 1
		.amdhsa_forward_progress 0
		.amdhsa_shared_vgpr_count 0
		.amdhsa_exception_fp_ieee_invalid_op 0
		.amdhsa_exception_fp_denorm_src 0
		.amdhsa_exception_fp_ieee_div_zero 0
		.amdhsa_exception_fp_ieee_overflow 0
		.amdhsa_exception_fp_ieee_underflow 0
		.amdhsa_exception_fp_ieee_inexact 0
		.amdhsa_exception_int_div_zero 0
	.end_amdhsa_kernel
	.section	.text._ZN7rocprim6detail20lookback_scan_kernelILNS0_25lookback_scan_determinismE0ELb1ENS0_19wrapped_scan_configINS_14default_configE6__halfEEPS5_S7_N6hipcub3MaxES5_S5_NS0_19lookback_scan_stateIS5_Lb0ELb1EEEEEvT2_T3_mT5_T4_T7_jPT6_SI_bb,"axG",@progbits,_ZN7rocprim6detail20lookback_scan_kernelILNS0_25lookback_scan_determinismE0ELb1ENS0_19wrapped_scan_configINS_14default_configE6__halfEEPS5_S7_N6hipcub3MaxES5_S5_NS0_19lookback_scan_stateIS5_Lb0ELb1EEEEEvT2_T3_mT5_T4_T7_jPT6_SI_bb,comdat
.Lfunc_end77:
	.size	_ZN7rocprim6detail20lookback_scan_kernelILNS0_25lookback_scan_determinismE0ELb1ENS0_19wrapped_scan_configINS_14default_configE6__halfEEPS5_S7_N6hipcub3MaxES5_S5_NS0_19lookback_scan_stateIS5_Lb0ELb1EEEEEvT2_T3_mT5_T4_T7_jPT6_SI_bb, .Lfunc_end77-_ZN7rocprim6detail20lookback_scan_kernelILNS0_25lookback_scan_determinismE0ELb1ENS0_19wrapped_scan_configINS_14default_configE6__halfEEPS5_S7_N6hipcub3MaxES5_S5_NS0_19lookback_scan_stateIS5_Lb0ELb1EEEEEvT2_T3_mT5_T4_T7_jPT6_SI_bb
                                        ; -- End function
	.section	.AMDGPU.csdata,"",@progbits
; Kernel info:
; codeLenInByte = 9212
; NumSgprs: 25
; NumVgprs: 50
; ScratchSize: 0
; MemoryBound: 0
; FloatMode: 240
; IeeeMode: 1
; LDSByteSize: 2816 bytes/workgroup (compile time only)
; SGPRBlocks: 3
; VGPRBlocks: 6
; NumSGPRsForWavesPerEU: 25
; NumVGPRsForWavesPerEU: 50
; Occupancy: 16
; WaveLimiterHint : 1
; COMPUTE_PGM_RSRC2:SCRATCH_EN: 0
; COMPUTE_PGM_RSRC2:USER_SGPR: 15
; COMPUTE_PGM_RSRC2:TRAP_HANDLER: 0
; COMPUTE_PGM_RSRC2:TGID_X_EN: 1
; COMPUTE_PGM_RSRC2:TGID_Y_EN: 0
; COMPUTE_PGM_RSRC2:TGID_Z_EN: 0
; COMPUTE_PGM_RSRC2:TIDIG_COMP_CNT: 0
	.section	.text._ZN7rocprim6detail18single_scan_kernelILb1ENS0_19wrapped_scan_configINS_14default_configE6__halfEEPS4_S6_N6hipcub3MaxES4_S4_EEvT1_mT4_T2_T3_,"axG",@progbits,_ZN7rocprim6detail18single_scan_kernelILb1ENS0_19wrapped_scan_configINS_14default_configE6__halfEEPS4_S6_N6hipcub3MaxES4_S4_EEvT1_mT4_T2_T3_,comdat
	.protected	_ZN7rocprim6detail18single_scan_kernelILb1ENS0_19wrapped_scan_configINS_14default_configE6__halfEEPS4_S6_N6hipcub3MaxES4_S4_EEvT1_mT4_T2_T3_ ; -- Begin function _ZN7rocprim6detail18single_scan_kernelILb1ENS0_19wrapped_scan_configINS_14default_configE6__halfEEPS4_S6_N6hipcub3MaxES4_S4_EEvT1_mT4_T2_T3_
	.globl	_ZN7rocprim6detail18single_scan_kernelILb1ENS0_19wrapped_scan_configINS_14default_configE6__halfEEPS4_S6_N6hipcub3MaxES4_S4_EEvT1_mT4_T2_T3_
	.p2align	8
	.type	_ZN7rocprim6detail18single_scan_kernelILb1ENS0_19wrapped_scan_configINS_14default_configE6__halfEEPS4_S6_N6hipcub3MaxES4_S4_EEvT1_mT4_T2_T3_,@function
_ZN7rocprim6detail18single_scan_kernelILb1ENS0_19wrapped_scan_configINS_14default_configE6__halfEEPS4_S6_N6hipcub3MaxES4_S4_EEvT1_mT4_T2_T3_: ; @_ZN7rocprim6detail18single_scan_kernelILb1ENS0_19wrapped_scan_configINS_14default_configE6__halfEEPS4_S6_N6hipcub3MaxES4_S4_EEvT1_mT4_T2_T3_
; %bb.0:
	s_load_b128 s[20:23], s[0:1], 0x0
	v_mov_b32_e32 v1, 0
	v_lshlrev_b32_e32 v11, 1, v0
	s_waitcnt lgkmcnt(0)
	global_load_u16 v3, v1, s[20:21]
	v_add_co_u32 v1, s2, s20, v11
	s_delay_alu instid0(VALU_DEP_1)
	v_add_co_ci_u32_e64 v2, null, s21, 0, s2
	v_cmp_gt_u32_e32 vcc_lo, s22, v0
	s_waitcnt vmcnt(0)
	v_mov_b32_e32 v4, v3
	s_and_saveexec_b32 s2, vcc_lo
	s_cbranch_execz .LBB78_2
; %bb.1:
	global_load_u16 v4, v[1:2], off
.LBB78_2:
	s_or_b32 exec_lo, exec_lo, s2
	v_or_b32_e32 v5, 64, v0
	s_delay_alu instid0(VALU_DEP_1) | instskip(SKIP_1) | instid1(VALU_DEP_2)
	v_cmp_gt_u32_e64 s2, s22, v5
	v_mov_b32_e32 v5, v3
	s_and_saveexec_b32 s3, s2
	s_cbranch_execz .LBB78_4
; %bb.3:
	global_load_u16 v5, v[1:2], off offset:128
.LBB78_4:
	s_or_b32 exec_lo, exec_lo, s3
	v_or_b32_e32 v6, 0x80, v0
	s_delay_alu instid0(VALU_DEP_1) | instskip(SKIP_1) | instid1(VALU_DEP_2)
	v_cmp_gt_u32_e64 s3, s22, v6
	v_mov_b32_e32 v6, v3
	s_and_saveexec_b32 s4, s3
	s_cbranch_execz .LBB78_6
; %bb.5:
	global_load_u16 v6, v[1:2], off offset:256
.LBB78_6:
	;; [unrolled: 10-line block ×20, first 2 shown]
	s_or_b32 exec_lo, exec_lo, s23
	s_load_b32 s26, s[0:1], 0x10
	v_or_b32_e32 v26, 0x540, v0
	s_delay_alu instid0(VALU_DEP_1) | instskip(NEXT) | instid1(VALU_DEP_1)
	v_cmp_gt_u32_e64 s22, s22, v26
	s_and_saveexec_b32 s23, s22
	s_cbranch_execz .LBB78_44
; %bb.43:
	global_load_u16 v3, v[1:2], off offset:2688
.LBB78_44:
	s_or_b32 exec_lo, exec_lo, s23
	s_waitcnt vmcnt(0)
	ds_store_b16 v11, v4
	ds_store_b16 v11, v5 offset:128
	ds_store_b16 v11, v6 offset:256
	;; [unrolled: 1-line block ×15, first 2 shown]
	v_mad_u32_u24 v12, v0, 42, v11
	ds_store_b16 v11, v21 offset:2048
	ds_store_b16 v11, v22 offset:2176
	;; [unrolled: 1-line block ×6, first 2 shown]
	s_waitcnt lgkmcnt(0)
	s_barrier
	buffer_gl0_inv
	ds_load_2addr_b32 v[7:8], v12 offset1:1
	ds_load_2addr_b32 v[5:6], v12 offset0:2 offset1:3
	ds_load_2addr_b32 v[3:4], v12 offset0:4 offset1:5
	;; [unrolled: 1-line block ×3, first 2 shown]
	v_lshrrev_b32_e32 v25, 4, v0
	s_mov_b32 s27, exec_lo
	s_delay_alu instid0(VALU_DEP_1) | instskip(NEXT) | instid1(VALU_DEP_1)
	v_and_b32_e32 v25, 2, v25
	v_add_nc_u32_e32 v25, v11, v25
	s_waitcnt lgkmcnt(3)
	v_lshrrev_b32_e32 v15, 16, v7
	v_lshrrev_b32_e32 v16, 16, v8
	s_waitcnt lgkmcnt(2)
	v_lshrrev_b32_e32 v17, 16, v5
	v_lshrrev_b32_e32 v18, 16, v6
	s_waitcnt lgkmcnt(1)
	v_lshrrev_b32_e32 v19, 16, v3
	v_cmp_lt_f16_e64 s23, v7, v15
	v_lshrrev_b32_e32 v20, 16, v4
	s_waitcnt lgkmcnt(0)
	v_lshrrev_b32_e32 v21, 16, v1
	v_lshrrev_b32_e32 v22, 16, v2
	v_cndmask_b32_e64 v9, v7, v15, s23
	s_delay_alu instid0(VALU_DEP_1) | instskip(NEXT) | instid1(VALU_DEP_1)
	v_cmp_lt_f16_e64 s23, v9, v8
	v_cndmask_b32_e64 v9, v9, v8, s23
	s_delay_alu instid0(VALU_DEP_1) | instskip(NEXT) | instid1(VALU_DEP_1)
	v_cmp_lt_f16_e64 s23, v9, v16
	;; [unrolled: 3-line block ×11, first 2 shown]
	v_cndmask_b32_e64 v13, v9, v1, s23
	ds_load_2addr_b32 v[9:10], v12 offset0:8 offset1:9
	v_cmp_lt_f16_e64 s23, v13, v21
	s_delay_alu instid0(VALU_DEP_1) | instskip(NEXT) | instid1(VALU_DEP_1)
	v_cndmask_b32_e64 v13, v13, v21, s23
	v_cmp_lt_f16_e64 s23, v13, v2
	s_delay_alu instid0(VALU_DEP_1) | instskip(NEXT) | instid1(VALU_DEP_1)
	v_cndmask_b32_e64 v13, v13, v2, s23
	v_cmp_lt_f16_e64 s23, v13, v22
	s_delay_alu instid0(VALU_DEP_1)
	v_cndmask_b32_e64 v14, v13, v22, s23
	ds_load_b32 v13, v12 offset:40
	s_waitcnt lgkmcnt(1)
	v_lshrrev_b32_e32 v23, 16, v9
	s_waitcnt lgkmcnt(0)
	s_barrier
	v_cmp_lt_f16_e64 s23, v14, v9
	buffer_gl0_inv
	v_cndmask_b32_e64 v14, v14, v9, s23
	s_delay_alu instid0(VALU_DEP_1) | instskip(NEXT) | instid1(VALU_DEP_1)
	v_cmp_lt_f16_e64 s23, v14, v23
	v_cndmask_b32_e64 v24, v14, v23, s23
	v_lshrrev_b32_e32 v14, 16, v10
	v_lshrrev_b32_e32 v26, 16, v13
	s_delay_alu instid0(VALU_DEP_3) | instskip(NEXT) | instid1(VALU_DEP_1)
	v_cmp_lt_f16_e64 s23, v24, v10
	v_cndmask_b32_e64 v24, v24, v10, s23
	s_delay_alu instid0(VALU_DEP_1) | instskip(NEXT) | instid1(VALU_DEP_1)
	v_cmp_lt_f16_e64 s23, v24, v14
	v_cndmask_b32_e64 v24, v24, v14, s23
	s_delay_alu instid0(VALU_DEP_1) | instskip(NEXT) | instid1(VALU_DEP_1)
	;; [unrolled: 3-line block ×3, first 2 shown]
	v_cmp_lt_f16_e64 s23, v24, v26
	v_cndmask_b32_e64 v24, v24, v26, s23
	ds_store_b16 v25, v24
	s_waitcnt lgkmcnt(0)
	s_barrier
	buffer_gl0_inv
	v_cmpx_gt_u32_e32 32, v0
	s_cbranch_execz .LBB78_46
; %bb.45:
	v_lshrrev_b32_e32 v25, 3, v0
	v_mbcnt_lo_u32_b32 v29, -1, 0
	s_delay_alu instid0(VALU_DEP_2) | instskip(NEXT) | instid1(VALU_DEP_2)
	v_and_b32_e32 v25, 6, v25
	v_and_b32_e32 v31, 15, v29
	v_add_nc_u32_e32 v32, -1, v29
	s_delay_alu instid0(VALU_DEP_3)
	v_lshl_or_b32 v25, v0, 2, v25
	ds_load_u16 v26, v25
	ds_load_u16 v27, v25 offset:2
	v_cmp_gt_i32_e64 s25, 0, v32
	s_waitcnt lgkmcnt(0)
	v_cmp_lt_f16_e64 s23, v26, v27
	s_delay_alu instid0(VALU_DEP_1) | instskip(SKIP_1) | instid1(VALU_DEP_2)
	v_cndmask_b32_e64 v28, v26, v27, s23
	v_cmp_eq_u32_e64 s23, 0, v31
	v_and_b32_e32 v30, 0xffff, v28
	s_delay_alu instid0(VALU_DEP_1) | instskip(NEXT) | instid1(VALU_DEP_1)
	v_mov_b32_dpp v30, v30 row_shr:1 row_mask:0xf bank_mask:0xf
	v_cmp_gt_f16_e64 s24, v28, v30
	s_delay_alu instid0(VALU_DEP_1) | instskip(NEXT) | instid1(SALU_CYCLE_1)
	s_or_b32 s23, s23, s24
	v_cndmask_b32_e64 v28, v30, v28, s23
	s_delay_alu instid0(VALU_DEP_1) | instskip(NEXT) | instid1(VALU_DEP_1)
	v_and_b32_e32 v30, 0xffff, v28
	v_mov_b32_dpp v30, v30 row_shr:2 row_mask:0xf bank_mask:0xf
	s_delay_alu instid0(VALU_DEP_1) | instskip(NEXT) | instid1(VALU_DEP_1)
	v_cmp_gt_f16_e64 s23, v28, v30
	v_cndmask_b32_e64 v30, v30, v28, s23
	v_cmp_lt_u32_e64 s23, 1, v31
	s_delay_alu instid0(VALU_DEP_1) | instskip(NEXT) | instid1(VALU_DEP_1)
	v_cndmask_b32_e64 v28, v28, v30, s23
	v_and_b32_e32 v30, 0xffff, v28
	s_delay_alu instid0(VALU_DEP_1) | instskip(NEXT) | instid1(VALU_DEP_1)
	v_mov_b32_dpp v30, v30 row_shr:4 row_mask:0xf bank_mask:0xf
	v_cmp_gt_f16_e64 s23, v28, v30
	s_delay_alu instid0(VALU_DEP_1) | instskip(SKIP_1) | instid1(VALU_DEP_1)
	v_cndmask_b32_e64 v30, v30, v28, s23
	v_cmp_lt_u32_e64 s23, 3, v31
	v_cndmask_b32_e64 v28, v28, v30, s23
	s_delay_alu instid0(VALU_DEP_1) | instskip(NEXT) | instid1(VALU_DEP_1)
	v_and_b32_e32 v30, 0xffff, v28
	v_mov_b32_dpp v30, v30 row_shr:8 row_mask:0xf bank_mask:0xf
	s_delay_alu instid0(VALU_DEP_1) | instskip(NEXT) | instid1(VALU_DEP_1)
	v_cmp_gt_f16_e64 s23, v28, v30
	v_cndmask_b32_e64 v30, v30, v28, s23
	v_cmp_lt_u32_e64 s23, 7, v31
	v_and_b32_e32 v31, 16, v29
	v_cndmask_b32_e64 v29, v32, v29, s25
	s_delay_alu instid0(VALU_DEP_3) | instskip(NEXT) | instid1(VALU_DEP_3)
	v_cndmask_b32_e64 v28, v28, v30, s23
	v_cmp_eq_u32_e64 s23, 0, v31
	s_delay_alu instid0(VALU_DEP_3) | instskip(NEXT) | instid1(VALU_DEP_3)
	v_lshlrev_b32_e32 v29, 2, v29
	v_and_b32_e32 v30, 0xffff, v28
	ds_swizzle_b32 v30, v30 offset:swizzle(BROADCAST,32,15)
	s_waitcnt lgkmcnt(0)
	v_cmp_gt_f16_e64 s24, v28, v30
	s_delay_alu instid0(VALU_DEP_1) | instskip(NEXT) | instid1(SALU_CYCLE_1)
	s_or_b32 s23, s23, s24
	v_cndmask_b32_e64 v28, v30, v28, s23
	s_delay_alu instid0(VALU_DEP_1) | instskip(SKIP_3) | instid1(VALU_DEP_1)
	v_and_b32_e32 v28, 0xffff, v28
	ds_bpermute_b32 v28, v29, v28
	s_waitcnt lgkmcnt(0)
	v_cmp_gt_f16_e64 s23, v26, v28
	v_cndmask_b32_e64 v26, v28, v26, s23
	v_cmp_eq_u32_e64 s23, 0, v0
	s_delay_alu instid0(VALU_DEP_1) | instskip(NEXT) | instid1(VALU_DEP_1)
	v_cndmask_b32_e64 v24, v26, v24, s23
	v_cmp_gt_f16_e64 s23, v27, v24
	s_delay_alu instid0(VALU_DEP_1)
	v_cndmask_b32_e64 v26, v24, v27, s23
	ds_store_b16 v25, v24
	ds_store_b16 v25, v26 offset:2
.LBB78_46:
	s_or_b32 exec_lo, exec_lo, s27
	v_mov_b32_e32 v24, s26
	s_mov_b32 s24, exec_lo
	s_waitcnt lgkmcnt(0)
	s_barrier
	buffer_gl0_inv
	v_cmpx_ne_u32_e32 0, v0
	s_cbranch_execz .LBB78_48
; %bb.47:
	v_add_nc_u32_e32 v24, -1, v0
	s_delay_alu instid0(VALU_DEP_1) | instskip(NEXT) | instid1(VALU_DEP_1)
	v_lshrrev_b32_e32 v25, 5, v24
	v_add_lshl_u32 v24, v25, v24, 1
	ds_load_u16 v24, v24
	s_waitcnt lgkmcnt(0)
	v_cmp_lt_f16_e64 s23, s26, v24
	s_delay_alu instid0(VALU_DEP_1)
	v_cndmask_b32_e64 v24, s26, v24, s23
.LBB78_48:
	s_or_b32 exec_lo, exec_lo, s24
	s_delay_alu instid0(VALU_DEP_1)
	v_cmp_lt_f16_e64 s23, v24, v7
	s_load_b64 s[24:25], s[0:1], 0x18
	v_mad_i32_i24 v0, 0xffffffd6, v0, v12
	s_waitcnt lgkmcnt(0)
	s_barrier
	v_cndmask_b32_e64 v7, v24, v7, s23
	buffer_gl0_inv
	v_cmp_lt_f16_e64 s23, v7, v15
	s_delay_alu instid0(VALU_DEP_1) | instskip(SKIP_1) | instid1(VALU_DEP_2)
	v_cndmask_b32_e64 v15, v7, v15, s23
	v_perm_b32 v7, v7, v24, 0x5040100
	v_cmp_lt_f16_e64 s23, v15, v8
	s_delay_alu instid0(VALU_DEP_1) | instskip(NEXT) | instid1(VALU_DEP_1)
	v_cndmask_b32_e64 v8, v15, v8, s23
	v_cmp_lt_f16_e64 s23, v8, v16
	s_delay_alu instid0(VALU_DEP_1) | instskip(SKIP_1) | instid1(VALU_DEP_2)
	v_cndmask_b32_e64 v16, v8, v16, s23
	v_perm_b32 v8, v8, v15, 0x5040100
	v_cmp_lt_f16_e64 s23, v16, v5
	s_delay_alu instid0(VALU_DEP_1) | instskip(NEXT) | instid1(VALU_DEP_1)
	v_cndmask_b32_e64 v5, v16, v5, s23
	;; [unrolled: 7-line block ×10, first 2 shown]
	v_perm_b32 v13, v13, v14, 0x5040100
	ds_store_2addr_b32 v12, v7, v8 offset1:1
	ds_store_2addr_b32 v12, v5, v6 offset0:2 offset1:3
	ds_store_2addr_b32 v12, v3, v4 offset0:4 offset1:5
	;; [unrolled: 1-line block ×4, first 2 shown]
	ds_store_b32 v12, v13 offset:40
	s_waitcnt lgkmcnt(0)
	s_barrier
	buffer_gl0_inv
	ds_load_u16 v22, v0 offset:256
	ds_load_u16 v21, v0 offset:384
	;; [unrolled: 1-line block ×21, first 2 shown]
	v_add_co_u32 v0, s0, s24, v11
	s_delay_alu instid0(VALU_DEP_1)
	v_add_co_ci_u32_e64 v1, null, s25, 0, s0
	s_and_saveexec_b32 s0, vcc_lo
	s_cbranch_execnz .LBB78_71
; %bb.49:
	s_or_b32 exec_lo, exec_lo, s0
	s_and_saveexec_b32 s0, s2
	s_cbranch_execnz .LBB78_72
.LBB78_50:
	s_or_b32 exec_lo, exec_lo, s0
	s_and_saveexec_b32 s0, s3
	s_cbranch_execnz .LBB78_73
.LBB78_51:
	s_or_b32 exec_lo, exec_lo, s0
	s_and_saveexec_b32 s0, s4
	s_cbranch_execnz .LBB78_74
.LBB78_52:
	s_or_b32 exec_lo, exec_lo, s0
	s_and_saveexec_b32 s0, s5
	s_cbranch_execnz .LBB78_75
.LBB78_53:
	s_or_b32 exec_lo, exec_lo, s0
	s_and_saveexec_b32 s0, s6
	s_cbranch_execnz .LBB78_76
.LBB78_54:
	s_or_b32 exec_lo, exec_lo, s0
	s_and_saveexec_b32 s0, s7
	s_cbranch_execnz .LBB78_77
.LBB78_55:
	s_or_b32 exec_lo, exec_lo, s0
	s_and_saveexec_b32 s0, s8
	s_cbranch_execnz .LBB78_78
.LBB78_56:
	s_or_b32 exec_lo, exec_lo, s0
	s_and_saveexec_b32 s0, s9
	s_cbranch_execnz .LBB78_79
.LBB78_57:
	s_or_b32 exec_lo, exec_lo, s0
	s_and_saveexec_b32 s0, s10
	s_cbranch_execnz .LBB78_80
.LBB78_58:
	s_or_b32 exec_lo, exec_lo, s0
	s_and_saveexec_b32 s0, s11
	s_cbranch_execnz .LBB78_81
.LBB78_59:
	s_or_b32 exec_lo, exec_lo, s0
	s_and_saveexec_b32 s0, s12
	s_cbranch_execnz .LBB78_82
.LBB78_60:
	s_or_b32 exec_lo, exec_lo, s0
	s_and_saveexec_b32 s0, s13
	s_cbranch_execnz .LBB78_83
.LBB78_61:
	s_or_b32 exec_lo, exec_lo, s0
	s_and_saveexec_b32 s0, s14
	s_cbranch_execnz .LBB78_84
.LBB78_62:
	s_or_b32 exec_lo, exec_lo, s0
	s_and_saveexec_b32 s0, s15
	s_cbranch_execnz .LBB78_85
.LBB78_63:
	s_or_b32 exec_lo, exec_lo, s0
	s_and_saveexec_b32 s0, s16
	s_cbranch_execnz .LBB78_86
.LBB78_64:
	s_or_b32 exec_lo, exec_lo, s0
	s_and_saveexec_b32 s0, s17
	s_cbranch_execnz .LBB78_87
.LBB78_65:
	s_or_b32 exec_lo, exec_lo, s0
	s_and_saveexec_b32 s0, s18
	s_cbranch_execnz .LBB78_88
.LBB78_66:
	s_or_b32 exec_lo, exec_lo, s0
	s_and_saveexec_b32 s0, s19
	s_cbranch_execnz .LBB78_89
.LBB78_67:
	s_or_b32 exec_lo, exec_lo, s0
	s_and_saveexec_b32 s0, s20
	s_cbranch_execnz .LBB78_90
.LBB78_68:
	s_or_b32 exec_lo, exec_lo, s0
	s_and_saveexec_b32 s0, s21
	s_cbranch_execnz .LBB78_91
.LBB78_69:
	s_or_b32 exec_lo, exec_lo, s0
	s_and_saveexec_b32 s0, s22
	s_cbranch_execnz .LBB78_92
.LBB78_70:
	s_nop 0
	s_sendmsg sendmsg(MSG_DEALLOC_VGPRS)
	s_endpgm
.LBB78_71:
	ds_load_u16 v11, v11
	s_waitcnt lgkmcnt(0)
	global_store_b16 v[0:1], v11, off
	s_or_b32 exec_lo, exec_lo, s0
	s_and_saveexec_b32 s0, s2
	s_cbranch_execz .LBB78_50
.LBB78_72:
	s_waitcnt lgkmcnt(6)
	global_store_b16 v[0:1], v23, off offset:128
	s_or_b32 exec_lo, exec_lo, s0
	s_and_saveexec_b32 s0, s3
	s_cbranch_execz .LBB78_51
.LBB78_73:
	s_waitcnt lgkmcnt(20)
	global_store_b16 v[0:1], v22, off offset:256
	s_or_b32 exec_lo, exec_lo, s0
	s_and_saveexec_b32 s0, s4
	s_cbranch_execz .LBB78_52
.LBB78_74:
	s_waitcnt lgkmcnt(19)
	global_store_b16 v[0:1], v21, off offset:384
	s_or_b32 exec_lo, exec_lo, s0
	s_and_saveexec_b32 s0, s5
	s_cbranch_execz .LBB78_53
.LBB78_75:
	s_waitcnt lgkmcnt(18)
	global_store_b16 v[0:1], v20, off offset:512
	s_or_b32 exec_lo, exec_lo, s0
	s_and_saveexec_b32 s0, s6
	s_cbranch_execz .LBB78_54
.LBB78_76:
	s_waitcnt lgkmcnt(17)
	global_store_b16 v[0:1], v19, off offset:640
	s_or_b32 exec_lo, exec_lo, s0
	s_and_saveexec_b32 s0, s7
	s_cbranch_execz .LBB78_55
.LBB78_77:
	s_waitcnt lgkmcnt(16)
	global_store_b16 v[0:1], v18, off offset:768
	s_or_b32 exec_lo, exec_lo, s0
	s_and_saveexec_b32 s0, s8
	s_cbranch_execz .LBB78_56
.LBB78_78:
	s_waitcnt lgkmcnt(15)
	global_store_b16 v[0:1], v17, off offset:896
	s_or_b32 exec_lo, exec_lo, s0
	s_and_saveexec_b32 s0, s9
	s_cbranch_execz .LBB78_57
.LBB78_79:
	s_waitcnt lgkmcnt(14)
	global_store_b16 v[0:1], v16, off offset:1024
	s_or_b32 exec_lo, exec_lo, s0
	s_and_saveexec_b32 s0, s10
	s_cbranch_execz .LBB78_58
.LBB78_80:
	s_waitcnt lgkmcnt(13)
	global_store_b16 v[0:1], v15, off offset:1152
	s_or_b32 exec_lo, exec_lo, s0
	s_and_saveexec_b32 s0, s11
	s_cbranch_execz .LBB78_59
.LBB78_81:
	s_waitcnt lgkmcnt(12)
	global_store_b16 v[0:1], v14, off offset:1280
	s_or_b32 exec_lo, exec_lo, s0
	s_and_saveexec_b32 s0, s12
	s_cbranch_execz .LBB78_60
.LBB78_82:
	s_waitcnt lgkmcnt(11)
	global_store_b16 v[0:1], v13, off offset:1408
	s_or_b32 exec_lo, exec_lo, s0
	s_and_saveexec_b32 s0, s13
	s_cbranch_execz .LBB78_61
.LBB78_83:
	s_waitcnt lgkmcnt(10)
	global_store_b16 v[0:1], v12, off offset:1536
	s_or_b32 exec_lo, exec_lo, s0
	s_and_saveexec_b32 s0, s14
	s_cbranch_execz .LBB78_62
.LBB78_84:
	s_waitcnt lgkmcnt(9)
	global_store_b16 v[0:1], v10, off offset:1664
	s_or_b32 exec_lo, exec_lo, s0
	s_and_saveexec_b32 s0, s15
	s_cbranch_execz .LBB78_63
.LBB78_85:
	s_waitcnt lgkmcnt(8)
	global_store_b16 v[0:1], v9, off offset:1792
	s_or_b32 exec_lo, exec_lo, s0
	s_and_saveexec_b32 s0, s16
	s_cbranch_execz .LBB78_64
.LBB78_86:
	s_waitcnt lgkmcnt(7)
	global_store_b16 v[0:1], v8, off offset:1920
	s_or_b32 exec_lo, exec_lo, s0
	s_and_saveexec_b32 s0, s17
	s_cbranch_execz .LBB78_65
.LBB78_87:
	s_waitcnt lgkmcnt(5)
	global_store_b16 v[0:1], v7, off offset:2048
	s_or_b32 exec_lo, exec_lo, s0
	s_and_saveexec_b32 s0, s18
	s_cbranch_execz .LBB78_66
.LBB78_88:
	s_waitcnt lgkmcnt(4)
	global_store_b16 v[0:1], v6, off offset:2176
	s_or_b32 exec_lo, exec_lo, s0
	s_and_saveexec_b32 s0, s19
	s_cbranch_execz .LBB78_67
.LBB78_89:
	s_waitcnt lgkmcnt(3)
	global_store_b16 v[0:1], v5, off offset:2304
	s_or_b32 exec_lo, exec_lo, s0
	s_and_saveexec_b32 s0, s20
	s_cbranch_execz .LBB78_68
.LBB78_90:
	s_waitcnt lgkmcnt(2)
	global_store_b16 v[0:1], v4, off offset:2432
	s_or_b32 exec_lo, exec_lo, s0
	s_and_saveexec_b32 s0, s21
	s_cbranch_execz .LBB78_69
.LBB78_91:
	s_waitcnt lgkmcnt(1)
	global_store_b16 v[0:1], v3, off offset:2560
	s_or_b32 exec_lo, exec_lo, s0
	s_and_saveexec_b32 s0, s22
	s_cbranch_execz .LBB78_70
.LBB78_92:
	s_waitcnt lgkmcnt(0)
	global_store_b16 v[0:1], v2, off offset:2688
	s_nop 0
	s_sendmsg sendmsg(MSG_DEALLOC_VGPRS)
	s_endpgm
	.section	.rodata,"a",@progbits
	.p2align	6, 0x0
	.amdhsa_kernel _ZN7rocprim6detail18single_scan_kernelILb1ENS0_19wrapped_scan_configINS_14default_configE6__halfEEPS4_S6_N6hipcub3MaxES4_S4_EEvT1_mT4_T2_T3_
		.amdhsa_group_segment_fixed_size 2816
		.amdhsa_private_segment_fixed_size 0
		.amdhsa_kernarg_size 36
		.amdhsa_user_sgpr_count 15
		.amdhsa_user_sgpr_dispatch_ptr 0
		.amdhsa_user_sgpr_queue_ptr 0
		.amdhsa_user_sgpr_kernarg_segment_ptr 1
		.amdhsa_user_sgpr_dispatch_id 0
		.amdhsa_user_sgpr_private_segment_size 0
		.amdhsa_wavefront_size32 1
		.amdhsa_uses_dynamic_stack 0
		.amdhsa_enable_private_segment 0
		.amdhsa_system_sgpr_workgroup_id_x 1
		.amdhsa_system_sgpr_workgroup_id_y 0
		.amdhsa_system_sgpr_workgroup_id_z 0
		.amdhsa_system_sgpr_workgroup_info 0
		.amdhsa_system_vgpr_workitem_id 0
		.amdhsa_next_free_vgpr 33
		.amdhsa_next_free_sgpr 28
		.amdhsa_reserve_vcc 1
		.amdhsa_float_round_mode_32 0
		.amdhsa_float_round_mode_16_64 0
		.amdhsa_float_denorm_mode_32 3
		.amdhsa_float_denorm_mode_16_64 3
		.amdhsa_dx10_clamp 1
		.amdhsa_ieee_mode 1
		.amdhsa_fp16_overflow 0
		.amdhsa_workgroup_processor_mode 1
		.amdhsa_memory_ordered 1
		.amdhsa_forward_progress 0
		.amdhsa_shared_vgpr_count 0
		.amdhsa_exception_fp_ieee_invalid_op 0
		.amdhsa_exception_fp_denorm_src 0
		.amdhsa_exception_fp_ieee_div_zero 0
		.amdhsa_exception_fp_ieee_overflow 0
		.amdhsa_exception_fp_ieee_underflow 0
		.amdhsa_exception_fp_ieee_inexact 0
		.amdhsa_exception_int_div_zero 0
	.end_amdhsa_kernel
	.section	.text._ZN7rocprim6detail18single_scan_kernelILb1ENS0_19wrapped_scan_configINS_14default_configE6__halfEEPS4_S6_N6hipcub3MaxES4_S4_EEvT1_mT4_T2_T3_,"axG",@progbits,_ZN7rocprim6detail18single_scan_kernelILb1ENS0_19wrapped_scan_configINS_14default_configE6__halfEEPS4_S6_N6hipcub3MaxES4_S4_EEvT1_mT4_T2_T3_,comdat
.Lfunc_end78:
	.size	_ZN7rocprim6detail18single_scan_kernelILb1ENS0_19wrapped_scan_configINS_14default_configE6__halfEEPS4_S6_N6hipcub3MaxES4_S4_EEvT1_mT4_T2_T3_, .Lfunc_end78-_ZN7rocprim6detail18single_scan_kernelILb1ENS0_19wrapped_scan_configINS_14default_configE6__halfEEPS4_S6_N6hipcub3MaxES4_S4_EEvT1_mT4_T2_T3_
                                        ; -- End function
	.section	.AMDGPU.csdata,"",@progbits
; Kernel info:
; codeLenInByte = 4024
; NumSgprs: 30
; NumVgprs: 33
; ScratchSize: 0
; MemoryBound: 0
; FloatMode: 240
; IeeeMode: 1
; LDSByteSize: 2816 bytes/workgroup (compile time only)
; SGPRBlocks: 3
; VGPRBlocks: 4
; NumSGPRsForWavesPerEU: 30
; NumVGPRsForWavesPerEU: 33
; Occupancy: 16
; WaveLimiterHint : 0
; COMPUTE_PGM_RSRC2:SCRATCH_EN: 0
; COMPUTE_PGM_RSRC2:USER_SGPR: 15
; COMPUTE_PGM_RSRC2:TRAP_HANDLER: 0
; COMPUTE_PGM_RSRC2:TGID_X_EN: 1
; COMPUTE_PGM_RSRC2:TGID_Y_EN: 0
; COMPUTE_PGM_RSRC2:TGID_Z_EN: 0
; COMPUTE_PGM_RSRC2:TIDIG_COMP_CNT: 0
	.section	.text._ZN7rocprim6detail20lookback_scan_kernelILNS0_25lookback_scan_determinismE0ELb1ENS0_19wrapped_scan_configINS_14default_configE12hip_bfloat16EEPS5_S7_N6hipcub3MaxES5_S5_NS0_19lookback_scan_stateIS5_Lb1ELb1EEEEEvT2_T3_mT5_T4_T7_jPT6_SI_bb,"axG",@progbits,_ZN7rocprim6detail20lookback_scan_kernelILNS0_25lookback_scan_determinismE0ELb1ENS0_19wrapped_scan_configINS_14default_configE12hip_bfloat16EEPS5_S7_N6hipcub3MaxES5_S5_NS0_19lookback_scan_stateIS5_Lb1ELb1EEEEEvT2_T3_mT5_T4_T7_jPT6_SI_bb,comdat
	.protected	_ZN7rocprim6detail20lookback_scan_kernelILNS0_25lookback_scan_determinismE0ELb1ENS0_19wrapped_scan_configINS_14default_configE12hip_bfloat16EEPS5_S7_N6hipcub3MaxES5_S5_NS0_19lookback_scan_stateIS5_Lb1ELb1EEEEEvT2_T3_mT5_T4_T7_jPT6_SI_bb ; -- Begin function _ZN7rocprim6detail20lookback_scan_kernelILNS0_25lookback_scan_determinismE0ELb1ENS0_19wrapped_scan_configINS_14default_configE12hip_bfloat16EEPS5_S7_N6hipcub3MaxES5_S5_NS0_19lookback_scan_stateIS5_Lb1ELb1EEEEEvT2_T3_mT5_T4_T7_jPT6_SI_bb
	.globl	_ZN7rocprim6detail20lookback_scan_kernelILNS0_25lookback_scan_determinismE0ELb1ENS0_19wrapped_scan_configINS_14default_configE12hip_bfloat16EEPS5_S7_N6hipcub3MaxES5_S5_NS0_19lookback_scan_stateIS5_Lb1ELb1EEEEEvT2_T3_mT5_T4_T7_jPT6_SI_bb
	.p2align	8
	.type	_ZN7rocprim6detail20lookback_scan_kernelILNS0_25lookback_scan_determinismE0ELb1ENS0_19wrapped_scan_configINS_14default_configE12hip_bfloat16EEPS5_S7_N6hipcub3MaxES5_S5_NS0_19lookback_scan_stateIS5_Lb1ELb1EEEEEvT2_T3_mT5_T4_T7_jPT6_SI_bb,@function
_ZN7rocprim6detail20lookback_scan_kernelILNS0_25lookback_scan_determinismE0ELb1ENS0_19wrapped_scan_configINS_14default_configE12hip_bfloat16EEPS5_S7_N6hipcub3MaxES5_S5_NS0_19lookback_scan_stateIS5_Lb1ELb1EEEEEvT2_T3_mT5_T4_T7_jPT6_SI_bb: ; @_ZN7rocprim6detail20lookback_scan_kernelILNS0_25lookback_scan_determinismE0ELb1ENS0_19wrapped_scan_configINS_14default_configE12hip_bfloat16EEPS5_S7_N6hipcub3MaxES5_S5_NS0_19lookback_scan_stateIS5_Lb1ELb1EEEEEvT2_T3_mT5_T4_T7_jPT6_SI_bb
; %bb.0:
	s_endpgm
	.section	.rodata,"a",@progbits
	.p2align	6, 0x0
	.amdhsa_kernel _ZN7rocprim6detail20lookback_scan_kernelILNS0_25lookback_scan_determinismE0ELb1ENS0_19wrapped_scan_configINS_14default_configE12hip_bfloat16EEPS5_S7_N6hipcub3MaxES5_S5_NS0_19lookback_scan_stateIS5_Lb1ELb1EEEEEvT2_T3_mT5_T4_T7_jPT6_SI_bb
		.amdhsa_group_segment_fixed_size 0
		.amdhsa_private_segment_fixed_size 0
		.amdhsa_kernarg_size 68
		.amdhsa_user_sgpr_count 15
		.amdhsa_user_sgpr_dispatch_ptr 0
		.amdhsa_user_sgpr_queue_ptr 0
		.amdhsa_user_sgpr_kernarg_segment_ptr 1
		.amdhsa_user_sgpr_dispatch_id 0
		.amdhsa_user_sgpr_private_segment_size 0
		.amdhsa_wavefront_size32 1
		.amdhsa_uses_dynamic_stack 0
		.amdhsa_enable_private_segment 0
		.amdhsa_system_sgpr_workgroup_id_x 1
		.amdhsa_system_sgpr_workgroup_id_y 0
		.amdhsa_system_sgpr_workgroup_id_z 0
		.amdhsa_system_sgpr_workgroup_info 0
		.amdhsa_system_vgpr_workitem_id 0
		.amdhsa_next_free_vgpr 1
		.amdhsa_next_free_sgpr 1
		.amdhsa_reserve_vcc 0
		.amdhsa_float_round_mode_32 0
		.amdhsa_float_round_mode_16_64 0
		.amdhsa_float_denorm_mode_32 3
		.amdhsa_float_denorm_mode_16_64 3
		.amdhsa_dx10_clamp 1
		.amdhsa_ieee_mode 1
		.amdhsa_fp16_overflow 0
		.amdhsa_workgroup_processor_mode 1
		.amdhsa_memory_ordered 1
		.amdhsa_forward_progress 0
		.amdhsa_shared_vgpr_count 0
		.amdhsa_exception_fp_ieee_invalid_op 0
		.amdhsa_exception_fp_denorm_src 0
		.amdhsa_exception_fp_ieee_div_zero 0
		.amdhsa_exception_fp_ieee_overflow 0
		.amdhsa_exception_fp_ieee_underflow 0
		.amdhsa_exception_fp_ieee_inexact 0
		.amdhsa_exception_int_div_zero 0
	.end_amdhsa_kernel
	.section	.text._ZN7rocprim6detail20lookback_scan_kernelILNS0_25lookback_scan_determinismE0ELb1ENS0_19wrapped_scan_configINS_14default_configE12hip_bfloat16EEPS5_S7_N6hipcub3MaxES5_S5_NS0_19lookback_scan_stateIS5_Lb1ELb1EEEEEvT2_T3_mT5_T4_T7_jPT6_SI_bb,"axG",@progbits,_ZN7rocprim6detail20lookback_scan_kernelILNS0_25lookback_scan_determinismE0ELb1ENS0_19wrapped_scan_configINS_14default_configE12hip_bfloat16EEPS5_S7_N6hipcub3MaxES5_S5_NS0_19lookback_scan_stateIS5_Lb1ELb1EEEEEvT2_T3_mT5_T4_T7_jPT6_SI_bb,comdat
.Lfunc_end79:
	.size	_ZN7rocprim6detail20lookback_scan_kernelILNS0_25lookback_scan_determinismE0ELb1ENS0_19wrapped_scan_configINS_14default_configE12hip_bfloat16EEPS5_S7_N6hipcub3MaxES5_S5_NS0_19lookback_scan_stateIS5_Lb1ELb1EEEEEvT2_T3_mT5_T4_T7_jPT6_SI_bb, .Lfunc_end79-_ZN7rocprim6detail20lookback_scan_kernelILNS0_25lookback_scan_determinismE0ELb1ENS0_19wrapped_scan_configINS_14default_configE12hip_bfloat16EEPS5_S7_N6hipcub3MaxES5_S5_NS0_19lookback_scan_stateIS5_Lb1ELb1EEEEEvT2_T3_mT5_T4_T7_jPT6_SI_bb
                                        ; -- End function
	.section	.AMDGPU.csdata,"",@progbits
; Kernel info:
; codeLenInByte = 4
; NumSgprs: 0
; NumVgprs: 0
; ScratchSize: 0
; MemoryBound: 0
; FloatMode: 240
; IeeeMode: 1
; LDSByteSize: 0 bytes/workgroup (compile time only)
; SGPRBlocks: 0
; VGPRBlocks: 0
; NumSGPRsForWavesPerEU: 1
; NumVGPRsForWavesPerEU: 1
; Occupancy: 16
; WaveLimiterHint : 0
; COMPUTE_PGM_RSRC2:SCRATCH_EN: 0
; COMPUTE_PGM_RSRC2:USER_SGPR: 15
; COMPUTE_PGM_RSRC2:TRAP_HANDLER: 0
; COMPUTE_PGM_RSRC2:TGID_X_EN: 1
; COMPUTE_PGM_RSRC2:TGID_Y_EN: 0
; COMPUTE_PGM_RSRC2:TGID_Z_EN: 0
; COMPUTE_PGM_RSRC2:TIDIG_COMP_CNT: 0
	.section	.text._ZN7rocprim6detail20lookback_scan_kernelILNS0_25lookback_scan_determinismE0ELb1ENS0_19wrapped_scan_configINS_14default_configE12hip_bfloat16EEPS5_S7_N6hipcub3MaxES5_S5_NS0_19lookback_scan_stateIS5_Lb0ELb1EEEEEvT2_T3_mT5_T4_T7_jPT6_SI_bb,"axG",@progbits,_ZN7rocprim6detail20lookback_scan_kernelILNS0_25lookback_scan_determinismE0ELb1ENS0_19wrapped_scan_configINS_14default_configE12hip_bfloat16EEPS5_S7_N6hipcub3MaxES5_S5_NS0_19lookback_scan_stateIS5_Lb0ELb1EEEEEvT2_T3_mT5_T4_T7_jPT6_SI_bb,comdat
	.protected	_ZN7rocprim6detail20lookback_scan_kernelILNS0_25lookback_scan_determinismE0ELb1ENS0_19wrapped_scan_configINS_14default_configE12hip_bfloat16EEPS5_S7_N6hipcub3MaxES5_S5_NS0_19lookback_scan_stateIS5_Lb0ELb1EEEEEvT2_T3_mT5_T4_T7_jPT6_SI_bb ; -- Begin function _ZN7rocprim6detail20lookback_scan_kernelILNS0_25lookback_scan_determinismE0ELb1ENS0_19wrapped_scan_configINS_14default_configE12hip_bfloat16EEPS5_S7_N6hipcub3MaxES5_S5_NS0_19lookback_scan_stateIS5_Lb0ELb1EEEEEvT2_T3_mT5_T4_T7_jPT6_SI_bb
	.globl	_ZN7rocprim6detail20lookback_scan_kernelILNS0_25lookback_scan_determinismE0ELb1ENS0_19wrapped_scan_configINS_14default_configE12hip_bfloat16EEPS5_S7_N6hipcub3MaxES5_S5_NS0_19lookback_scan_stateIS5_Lb0ELb1EEEEEvT2_T3_mT5_T4_T7_jPT6_SI_bb
	.p2align	8
	.type	_ZN7rocprim6detail20lookback_scan_kernelILNS0_25lookback_scan_determinismE0ELb1ENS0_19wrapped_scan_configINS_14default_configE12hip_bfloat16EEPS5_S7_N6hipcub3MaxES5_S5_NS0_19lookback_scan_stateIS5_Lb0ELb1EEEEEvT2_T3_mT5_T4_T7_jPT6_SI_bb,@function
_ZN7rocprim6detail20lookback_scan_kernelILNS0_25lookback_scan_determinismE0ELb1ENS0_19wrapped_scan_configINS_14default_configE12hip_bfloat16EEPS5_S7_N6hipcub3MaxES5_S5_NS0_19lookback_scan_stateIS5_Lb0ELb1EEEEEvT2_T3_mT5_T4_T7_jPT6_SI_bb: ; @_ZN7rocprim6detail20lookback_scan_kernelILNS0_25lookback_scan_determinismE0ELb1ENS0_19wrapped_scan_configINS_14default_configE12hip_bfloat16EEPS5_S7_N6hipcub3MaxES5_S5_NS0_19lookback_scan_stateIS5_Lb0ELb1EEEEEvT2_T3_mT5_T4_T7_jPT6_SI_bb
; %bb.0:
	s_clause 0x2
	s_load_b32 s4, s[0:1], 0x28
	s_load_b64 s[2:3], s[0:1], 0x10
	s_load_b128 s[8:11], s[0:1], 0x0
	s_mov_b32 s5, 0
	v_lshlrev_b32_e32 v5, 1, v0
	s_waitcnt lgkmcnt(0)
	s_add_i32 s4, s4, -1
	s_delay_alu instid0(SALU_CYCLE_1) | instskip(NEXT) | instid1(SALU_CYCLE_1)
	s_mul_i32 s6, s4, 0x580
	s_sub_u32 s14, s2, s6
	s_subb_u32 s18, s3, 0
	s_cmp_lg_u32 s15, s4
	s_mul_i32 s4, s15, 0x580
	s_cselect_b32 s19, -1, 0
	s_lshl_b64 s[12:13], s[4:5], 1
	s_mov_b32 s3, -1
	s_add_u32 s4, s8, s12
	s_addc_u32 s5, s9, s13
	s_and_b32 vcc_lo, exec_lo, s19
	s_cbranch_vccz .LBB80_2
; %bb.1:
	s_clause 0x15
	global_load_u16 v1, v5, s[4:5]
	global_load_u16 v2, v5, s[4:5] offset:128
	global_load_u16 v3, v5, s[4:5] offset:256
	;; [unrolled: 1-line block ×21, first 2 shown]
	s_mov_b32 s3, 0
	s_waitcnt vmcnt(21)
	ds_store_b16 v5, v1
	s_waitcnt vmcnt(20)
	ds_store_b16 v5, v2 offset:128
	s_waitcnt vmcnt(19)
	ds_store_b16 v5, v3 offset:256
	;; [unrolled: 2-line block ×21, first 2 shown]
	s_waitcnt lgkmcnt(0)
	s_barrier
.LBB80_2:
	v_cmp_gt_u32_e64 s2, s14, v0
	s_and_not1_b32 vcc_lo, exec_lo, s3
	s_cbranch_vccnz .LBB80_48
; %bb.3:
	v_mov_b32_e32 v1, 0
	global_load_u16 v3, v1, s[4:5]
	v_add_co_u32 v1, s3, s4, v5
	s_delay_alu instid0(VALU_DEP_1)
	v_add_co_ci_u32_e64 v2, null, s5, 0, s3
	s_waitcnt vmcnt(0)
	v_mov_b32_e32 v4, v3
	s_and_saveexec_b32 s3, s2
	s_cbranch_execz .LBB80_5
; %bb.4:
	global_load_u16 v4, v[1:2], off
.LBB80_5:
	s_or_b32 exec_lo, exec_lo, s3
	v_or_b32_e32 v6, 64, v0
	s_delay_alu instid0(VALU_DEP_1)
	v_cmp_gt_u32_e32 vcc_lo, s14, v6
	v_mov_b32_e32 v6, v3
	s_and_saveexec_b32 s2, vcc_lo
	s_cbranch_execz .LBB80_7
; %bb.6:
	global_load_u16 v6, v[1:2], off offset:128
.LBB80_7:
	s_or_b32 exec_lo, exec_lo, s2
	v_or_b32_e32 v7, 0x80, v0
	s_delay_alu instid0(VALU_DEP_1)
	v_cmp_gt_u32_e32 vcc_lo, s14, v7
	v_mov_b32_e32 v7, v3
	s_and_saveexec_b32 s2, vcc_lo
	s_cbranch_execz .LBB80_9
; %bb.8:
	global_load_u16 v7, v[1:2], off offset:256
.LBB80_9:
	s_or_b32 exec_lo, exec_lo, s2
	v_or_b32_e32 v8, 0xc0, v0
	s_delay_alu instid0(VALU_DEP_1)
	v_cmp_gt_u32_e32 vcc_lo, s14, v8
	v_mov_b32_e32 v8, v3
	s_and_saveexec_b32 s2, vcc_lo
	s_cbranch_execz .LBB80_11
; %bb.10:
	global_load_u16 v8, v[1:2], off offset:384
.LBB80_11:
	s_or_b32 exec_lo, exec_lo, s2
	v_or_b32_e32 v9, 0x100, v0
	s_delay_alu instid0(VALU_DEP_1)
	v_cmp_gt_u32_e32 vcc_lo, s14, v9
	v_mov_b32_e32 v9, v3
	s_and_saveexec_b32 s2, vcc_lo
	s_cbranch_execz .LBB80_13
; %bb.12:
	global_load_u16 v9, v[1:2], off offset:512
.LBB80_13:
	s_or_b32 exec_lo, exec_lo, s2
	v_or_b32_e32 v10, 0x140, v0
	s_delay_alu instid0(VALU_DEP_1)
	v_cmp_gt_u32_e32 vcc_lo, s14, v10
	v_mov_b32_e32 v10, v3
	s_and_saveexec_b32 s2, vcc_lo
	s_cbranch_execz .LBB80_15
; %bb.14:
	global_load_u16 v10, v[1:2], off offset:640
.LBB80_15:
	s_or_b32 exec_lo, exec_lo, s2
	v_or_b32_e32 v11, 0x180, v0
	s_delay_alu instid0(VALU_DEP_1)
	v_cmp_gt_u32_e32 vcc_lo, s14, v11
	v_mov_b32_e32 v11, v3
	s_and_saveexec_b32 s2, vcc_lo
	s_cbranch_execz .LBB80_17
; %bb.16:
	global_load_u16 v11, v[1:2], off offset:768
.LBB80_17:
	s_or_b32 exec_lo, exec_lo, s2
	v_or_b32_e32 v12, 0x1c0, v0
	s_delay_alu instid0(VALU_DEP_1)
	v_cmp_gt_u32_e32 vcc_lo, s14, v12
	v_mov_b32_e32 v12, v3
	s_and_saveexec_b32 s2, vcc_lo
	s_cbranch_execz .LBB80_19
; %bb.18:
	global_load_u16 v12, v[1:2], off offset:896
.LBB80_19:
	s_or_b32 exec_lo, exec_lo, s2
	v_or_b32_e32 v13, 0x200, v0
	s_delay_alu instid0(VALU_DEP_1)
	v_cmp_gt_u32_e32 vcc_lo, s14, v13
	v_mov_b32_e32 v13, v3
	s_and_saveexec_b32 s2, vcc_lo
	s_cbranch_execz .LBB80_21
; %bb.20:
	global_load_u16 v13, v[1:2], off offset:1024
.LBB80_21:
	s_or_b32 exec_lo, exec_lo, s2
	v_or_b32_e32 v14, 0x240, v0
	s_delay_alu instid0(VALU_DEP_1)
	v_cmp_gt_u32_e32 vcc_lo, s14, v14
	v_mov_b32_e32 v14, v3
	s_and_saveexec_b32 s2, vcc_lo
	s_cbranch_execz .LBB80_23
; %bb.22:
	global_load_u16 v14, v[1:2], off offset:1152
.LBB80_23:
	s_or_b32 exec_lo, exec_lo, s2
	v_or_b32_e32 v15, 0x280, v0
	s_delay_alu instid0(VALU_DEP_1)
	v_cmp_gt_u32_e32 vcc_lo, s14, v15
	v_mov_b32_e32 v15, v3
	s_and_saveexec_b32 s2, vcc_lo
	s_cbranch_execz .LBB80_25
; %bb.24:
	global_load_u16 v15, v[1:2], off offset:1280
.LBB80_25:
	s_or_b32 exec_lo, exec_lo, s2
	v_or_b32_e32 v16, 0x2c0, v0
	s_delay_alu instid0(VALU_DEP_1)
	v_cmp_gt_u32_e32 vcc_lo, s14, v16
	v_mov_b32_e32 v16, v3
	s_and_saveexec_b32 s2, vcc_lo
	s_cbranch_execz .LBB80_27
; %bb.26:
	global_load_u16 v16, v[1:2], off offset:1408
.LBB80_27:
	s_or_b32 exec_lo, exec_lo, s2
	v_or_b32_e32 v17, 0x300, v0
	s_delay_alu instid0(VALU_DEP_1)
	v_cmp_gt_u32_e32 vcc_lo, s14, v17
	v_mov_b32_e32 v17, v3
	s_and_saveexec_b32 s2, vcc_lo
	s_cbranch_execz .LBB80_29
; %bb.28:
	global_load_u16 v17, v[1:2], off offset:1536
.LBB80_29:
	s_or_b32 exec_lo, exec_lo, s2
	v_or_b32_e32 v18, 0x340, v0
	s_delay_alu instid0(VALU_DEP_1)
	v_cmp_gt_u32_e32 vcc_lo, s14, v18
	v_mov_b32_e32 v18, v3
	s_and_saveexec_b32 s2, vcc_lo
	s_cbranch_execz .LBB80_31
; %bb.30:
	global_load_u16 v18, v[1:2], off offset:1664
.LBB80_31:
	s_or_b32 exec_lo, exec_lo, s2
	v_or_b32_e32 v19, 0x380, v0
	s_delay_alu instid0(VALU_DEP_1)
	v_cmp_gt_u32_e32 vcc_lo, s14, v19
	v_mov_b32_e32 v19, v3
	s_and_saveexec_b32 s2, vcc_lo
	s_cbranch_execz .LBB80_33
; %bb.32:
	global_load_u16 v19, v[1:2], off offset:1792
.LBB80_33:
	s_or_b32 exec_lo, exec_lo, s2
	v_or_b32_e32 v20, 0x3c0, v0
	s_delay_alu instid0(VALU_DEP_1)
	v_cmp_gt_u32_e32 vcc_lo, s14, v20
	v_mov_b32_e32 v20, v3
	s_and_saveexec_b32 s2, vcc_lo
	s_cbranch_execz .LBB80_35
; %bb.34:
	global_load_u16 v20, v[1:2], off offset:1920
.LBB80_35:
	s_or_b32 exec_lo, exec_lo, s2
	v_or_b32_e32 v21, 0x400, v0
	s_delay_alu instid0(VALU_DEP_1)
	v_cmp_gt_u32_e32 vcc_lo, s14, v21
	v_mov_b32_e32 v21, v3
	s_and_saveexec_b32 s2, vcc_lo
	s_cbranch_execz .LBB80_37
; %bb.36:
	global_load_u16 v21, v[1:2], off offset:2048
.LBB80_37:
	s_or_b32 exec_lo, exec_lo, s2
	v_or_b32_e32 v22, 0x440, v0
	s_delay_alu instid0(VALU_DEP_1)
	v_cmp_gt_u32_e32 vcc_lo, s14, v22
	v_mov_b32_e32 v22, v3
	s_and_saveexec_b32 s2, vcc_lo
	s_cbranch_execz .LBB80_39
; %bb.38:
	global_load_u16 v22, v[1:2], off offset:2176
.LBB80_39:
	s_or_b32 exec_lo, exec_lo, s2
	v_or_b32_e32 v23, 0x480, v0
	s_delay_alu instid0(VALU_DEP_1)
	v_cmp_gt_u32_e32 vcc_lo, s14, v23
	v_mov_b32_e32 v23, v3
	s_and_saveexec_b32 s2, vcc_lo
	s_cbranch_execz .LBB80_41
; %bb.40:
	global_load_u16 v23, v[1:2], off offset:2304
.LBB80_41:
	s_or_b32 exec_lo, exec_lo, s2
	v_or_b32_e32 v24, 0x4c0, v0
	s_delay_alu instid0(VALU_DEP_1)
	v_cmp_gt_u32_e32 vcc_lo, s14, v24
	v_mov_b32_e32 v24, v3
	s_and_saveexec_b32 s2, vcc_lo
	s_cbranch_execz .LBB80_43
; %bb.42:
	global_load_u16 v24, v[1:2], off offset:2432
.LBB80_43:
	s_or_b32 exec_lo, exec_lo, s2
	v_or_b32_e32 v25, 0x500, v0
	s_delay_alu instid0(VALU_DEP_1)
	v_cmp_gt_u32_e32 vcc_lo, s14, v25
	v_mov_b32_e32 v25, v3
	s_and_saveexec_b32 s2, vcc_lo
	s_cbranch_execz .LBB80_45
; %bb.44:
	global_load_u16 v25, v[1:2], off offset:2560
.LBB80_45:
	s_or_b32 exec_lo, exec_lo, s2
	v_or_b32_e32 v26, 0x540, v0
	s_mov_b32 s2, exec_lo
	s_delay_alu instid0(VALU_DEP_1)
	v_cmpx_gt_u32_e64 s14, v26
	s_cbranch_execz .LBB80_47
; %bb.46:
	global_load_u16 v3, v[1:2], off offset:2688
.LBB80_47:
	s_or_b32 exec_lo, exec_lo, s2
	s_waitcnt vmcnt(0)
	ds_store_b16 v5, v4
	ds_store_b16 v5, v6 offset:128
	ds_store_b16 v5, v7 offset:256
	;; [unrolled: 1-line block ×21, first 2 shown]
	s_waitcnt lgkmcnt(0)
	s_barrier
.LBB80_48:
	v_mul_u32_u24_e32 v6, 22, v0
	buffer_gl0_inv
	s_load_b64 s[16:17], s[0:1], 0x20
	v_lshrrev_b32_e32 v52, 5, v0
	v_cmp_gt_u32_e32 vcc_lo, 32, v0
	v_lshlrev_b32_e32 v7, 1, v6
	s_cmp_lg_u32 s15, 0
	ds_load_2addr_b32 v[1:2], v7 offset1:1
	ds_load_2addr_b32 v[3:4], v7 offset0:2 offset1:3
	ds_load_2addr_b32 v[8:9], v7 offset0:4 offset1:5
	;; [unrolled: 1-line block ×4, first 2 shown]
	ds_load_b32 v22, v7 offset:40
	s_waitcnt lgkmcnt(0)
	s_barrier
	buffer_gl0_inv
	v_lshrrev_b32_e32 v31, 16, v1
	v_lshrrev_b32_e32 v26, 16, v2
	v_and_b32_e32 v35, 0xffff, v1
	v_and_b32_e32 v32, 0xffff, v2
	v_lshrrev_b32_e32 v23, 16, v3
	v_lshrrev_b32_e32 v20, 16, v4
	v_and_b32_e32 v28, 0xffff, v3
	v_and_b32_e32 v24, 0xffff, v4
	;; [unrolled: 4-line block ×4, first 2 shown]
	v_lshrrev_b32_e32 v10, 16, v29
	v_lshrrev_b32_e32 v50, 16, v22
	;; [unrolled: 1-line block ×3, first 2 shown]
	v_and_b32_e32 v13, 0xffff, v29
	v_and_b32_e32 v11, 0xffff, v30
	;; [unrolled: 1-line block ×3, first 2 shown]
	v_lshlrev_b32_e32 v51, 16, v50
	v_lshlrev_b32_e32 v49, 16, v35
	;; [unrolled: 1-line block ×22, first 2 shown]
	s_cbranch_scc0 .LBB80_77
; %bb.49:
	v_cmp_lt_f32_e64 s2, v49, v48
	v_add_lshl_u32 v3, v52, v0, 1
	s_delay_alu instid0(VALU_DEP_2) | instskip(NEXT) | instid1(VALU_DEP_1)
	v_cndmask_b32_e64 v1, v35, v31, s2
	v_lshlrev_b32_e32 v2, 16, v1
	s_delay_alu instid0(VALU_DEP_1) | instskip(NEXT) | instid1(VALU_DEP_1)
	v_cmp_lt_f32_e64 s2, v2, v47
	v_cndmask_b32_e64 v1, v1, v32, s2
	s_delay_alu instid0(VALU_DEP_1) | instskip(NEXT) | instid1(VALU_DEP_1)
	v_lshlrev_b32_e32 v2, 16, v1
	v_cmp_lt_f32_e64 s2, v2, v46
	s_delay_alu instid0(VALU_DEP_1) | instskip(NEXT) | instid1(VALU_DEP_1)
	v_cndmask_b32_e64 v1, v1, v26, s2
	v_lshlrev_b32_e32 v2, 16, v1
	s_delay_alu instid0(VALU_DEP_1) | instskip(NEXT) | instid1(VALU_DEP_1)
	v_cmp_lt_f32_e64 s2, v2, v45
	v_cndmask_b32_e64 v1, v1, v28, s2
	s_delay_alu instid0(VALU_DEP_1) | instskip(NEXT) | instid1(VALU_DEP_1)
	v_lshlrev_b32_e32 v2, 16, v1
	v_cmp_lt_f32_e64 s2, v2, v44
	s_delay_alu instid0(VALU_DEP_1) | instskip(NEXT) | instid1(VALU_DEP_1)
	;; [unrolled: 9-line block ×9, first 2 shown]
	v_cndmask_b32_e64 v1, v1, v9, s2
	v_lshlrev_b32_e32 v2, 16, v1
	s_delay_alu instid0(VALU_DEP_1) | instskip(NEXT) | instid1(VALU_DEP_1)
	v_cmp_lt_f32_e64 s2, v2, v22
	v_cndmask_b32_e64 v1, v1, v8, s2
	s_delay_alu instid0(VALU_DEP_1) | instskip(NEXT) | instid1(VALU_DEP_1)
	v_lshlrev_b32_e32 v2, 16, v1
	v_cmp_lt_f32_e64 s2, v2, v51
	s_delay_alu instid0(VALU_DEP_1)
	v_cndmask_b32_e64 v53, v1, v50, s2
	ds_store_b16 v3, v53
	s_waitcnt lgkmcnt(0)
	s_barrier
	buffer_gl0_inv
	s_and_saveexec_b32 s5, vcc_lo
	s_cbranch_execz .LBB80_51
; %bb.50:
	v_lshrrev_b32_e32 v1, 3, v0
	v_mbcnt_lo_u32_b32 v60, -1, 0
	s_delay_alu instid0(VALU_DEP_2) | instskip(NEXT) | instid1(VALU_DEP_1)
	v_and_b32_e32 v1, 6, v1
	v_lshl_or_b32 v1, v0, 2, v1
	ds_load_b32 v2, v1
	s_waitcnt lgkmcnt(0)
	v_and_b32_e32 v3, 0xffff0000, v2
	v_lshlrev_b32_e32 v4, 16, v2
	v_lshrrev_b32_e32 v54, 16, v2
	s_delay_alu instid0(VALU_DEP_2) | instskip(NEXT) | instid1(VALU_DEP_1)
	v_cmp_lt_f32_e64 s2, v4, v3
	v_cndmask_b32_e64 v55, v2, v54, s2
	s_delay_alu instid0(VALU_DEP_1) | instskip(SKIP_1) | instid1(VALU_DEP_2)
	v_and_b32_e32 v56, 0xffff, v55
	v_lshlrev_b32_e32 v58, 16, v55
	v_mov_b32_dpp v57, v56 row_shr:1 row_mask:0xf bank_mask:0xf
	s_delay_alu instid0(VALU_DEP_1) | instskip(NEXT) | instid1(VALU_DEP_1)
	v_lshlrev_b32_e32 v59, 16, v57
	v_cmp_lt_f32_e64 s2, v59, v58
	v_and_b32_e32 v58, 15, v60
	s_delay_alu instid0(VALU_DEP_2) | instskip(NEXT) | instid1(VALU_DEP_2)
	v_cndmask_b32_e64 v57, v57, v55, s2
	v_cmp_eq_u32_e64 s2, 0, v58
	s_delay_alu instid0(VALU_DEP_2) | instskip(NEXT) | instid1(VALU_DEP_2)
	v_and_b32_e32 v59, 0xffff, v57
	v_cndmask_b32_e64 v55, v57, v55, s2
	s_delay_alu instid0(VALU_DEP_2) | instskip(NEXT) | instid1(VALU_DEP_1)
	v_cndmask_b32_e64 v56, v59, v56, s2
	v_mov_b32_dpp v59, v56 row_shr:2 row_mask:0xf bank_mask:0xf
	v_lshlrev_b32_e32 v61, 16, v56
	s_delay_alu instid0(VALU_DEP_2) | instskip(NEXT) | instid1(VALU_DEP_1)
	v_lshlrev_b32_e32 v62, 16, v59
	v_cmp_lt_f32_e64 s2, v62, v61
	s_delay_alu instid0(VALU_DEP_1) | instskip(SKIP_1) | instid1(VALU_DEP_2)
	v_cndmask_b32_e64 v57, v59, v55, s2
	v_cmp_lt_u32_e64 s2, 1, v58
	v_and_b32_e32 v59, 0xffff, v57
	s_delay_alu instid0(VALU_DEP_2) | instskip(NEXT) | instid1(VALU_DEP_2)
	v_cndmask_b32_e64 v55, v55, v57, s2
	v_cndmask_b32_e64 v56, v56, v59, s2
	s_delay_alu instid0(VALU_DEP_1) | instskip(SKIP_1) | instid1(VALU_DEP_2)
	v_mov_b32_dpp v59, v56 row_shr:4 row_mask:0xf bank_mask:0xf
	v_lshlrev_b32_e32 v61, 16, v56
	v_lshlrev_b32_e32 v62, 16, v59
	s_delay_alu instid0(VALU_DEP_1) | instskip(NEXT) | instid1(VALU_DEP_1)
	v_cmp_lt_f32_e64 s2, v62, v61
	v_cndmask_b32_e64 v57, v59, v55, s2
	v_cmp_lt_u32_e64 s2, 3, v58
	s_delay_alu instid0(VALU_DEP_2) | instskip(NEXT) | instid1(VALU_DEP_2)
	v_and_b32_e32 v59, 0xffff, v57
	v_cndmask_b32_e64 v55, v55, v57, s2
	s_delay_alu instid0(VALU_DEP_2) | instskip(NEXT) | instid1(VALU_DEP_1)
	v_cndmask_b32_e64 v56, v56, v59, s2
	v_mov_b32_dpp v59, v56 row_shr:8 row_mask:0xf bank_mask:0xf
	v_lshlrev_b32_e32 v61, 16, v56
	s_delay_alu instid0(VALU_DEP_2) | instskip(NEXT) | instid1(VALU_DEP_1)
	v_lshlrev_b32_e32 v62, 16, v59
	v_cmp_lt_f32_e64 s2, v62, v61
	v_add_nc_u32_e32 v62, -1, v60
	s_delay_alu instid0(VALU_DEP_2) | instskip(SKIP_1) | instid1(VALU_DEP_2)
	v_cndmask_b32_e64 v57, v59, v55, s2
	v_cmp_lt_u32_e64 s2, 7, v58
	v_and_b32_e32 v59, 0xffff, v57
	s_delay_alu instid0(VALU_DEP_2) | instskip(NEXT) | instid1(VALU_DEP_2)
	v_cndmask_b32_e64 v55, v55, v57, s2
	v_cndmask_b32_e64 v56, v56, v59, s2
	v_and_b32_e32 v59, 16, v60
	v_cmp_gt_i32_e64 s2, 0, v62
	ds_swizzle_b32 v58, v56 offset:swizzle(BROADCAST,32,15)
	v_lshlrev_b32_e32 v56, 16, v56
	v_cmp_eq_u32_e64 s3, 0, v59
	s_waitcnt lgkmcnt(0)
	v_lshlrev_b32_e32 v61, 16, v58
	s_delay_alu instid0(VALU_DEP_1) | instskip(SKIP_1) | instid1(VALU_DEP_2)
	v_cmp_lt_f32_e64 s4, v61, v56
	v_cndmask_b32_e64 v56, v62, v60, s2
	s_or_b32 s2, s3, s4
	s_delay_alu instid0(VALU_DEP_1) | instskip(SKIP_1) | instid1(VALU_DEP_1)
	v_lshlrev_b32_e32 v56, 2, v56
	v_cndmask_b32_e64 v55, v58, v55, s2
	v_and_b32_e32 v55, 0xffff, v55
	ds_bpermute_b32 v55, v56, v55
	s_waitcnt lgkmcnt(0)
	v_lshlrev_b32_e32 v56, 16, v55
	s_delay_alu instid0(VALU_DEP_1) | instskip(NEXT) | instid1(VALU_DEP_1)
	v_cmp_gt_f32_e64 s2, v4, v56
	v_cndmask_b32_e64 v2, v55, v2, s2
	v_cmp_eq_u32_e64 s2, 0, v0
	s_delay_alu instid0(VALU_DEP_1) | instskip(NEXT) | instid1(VALU_DEP_1)
	v_cndmask_b32_e64 v2, v2, v53, s2
	v_lshlrev_b32_e32 v4, 16, v2
	s_delay_alu instid0(VALU_DEP_1) | instskip(NEXT) | instid1(VALU_DEP_1)
	v_cmp_gt_f32_e64 s2, v3, v4
	v_cndmask_b32_e64 v3, v2, v54, s2
	ds_store_b16 v1, v2
	ds_store_b16 v1, v3 offset:2
.LBB80_51:
	s_or_b32 exec_lo, exec_lo, s5
	v_cmp_eq_u32_e64 s2, 0, v0
	s_mov_b32 s4, exec_lo
	s_waitcnt lgkmcnt(0)
	s_barrier
	buffer_gl0_inv
	v_cmpx_ne_u32_e32 0, v0
	s_cbranch_execz .LBB80_53
; %bb.52:
	v_add_nc_u32_e32 v1, -1, v0
	s_delay_alu instid0(VALU_DEP_1) | instskip(NEXT) | instid1(VALU_DEP_1)
	v_lshrrev_b32_e32 v2, 5, v1
	v_add_lshl_u32 v1, v2, v1, 1
	ds_load_u16 v53, v1
.LBB80_53:
	s_or_b32 exec_lo, exec_lo, s4
	s_and_saveexec_b32 s20, vcc_lo
	s_cbranch_execz .LBB80_76
; %bb.54:
	v_mov_b32_e32 v3, 0
	v_mbcnt_lo_u32_b32 v67, -1, 0
	s_mov_b32 s5, 0
	ds_load_u16 v54, v3 offset:128
	v_cmp_eq_u32_e64 s3, 0, v67
	s_waitcnt lgkmcnt(0)
	v_and_b32_e32 v55, 0xffff, v54
	s_delay_alu instid0(VALU_DEP_2)
	s_and_saveexec_b32 s6, s3
	s_cbranch_execz .LBB80_56
; %bb.55:
	s_add_i32 s4, s15, 32
	s_delay_alu instid0(VALU_DEP_1) | instskip(SKIP_1) | instid1(SALU_CYCLE_1)
	v_or_b32_e32 v1, 0x10000, v55
	s_lshl_b64 s[4:5], s[4:5], 2
	s_add_u32 s4, s16, s4
	s_addc_u32 s5, s17, s5
	global_store_b32 v3, v1, s[4:5]
.LBB80_56:
	s_or_b32 exec_lo, exec_lo, s6
	v_xad_u32 v1, v67, -1, s15
	s_mov_b32 s4, exec_lo
	s_delay_alu instid0(VALU_DEP_1) | instskip(NEXT) | instid1(VALU_DEP_1)
	v_add_nc_u32_e32 v2, 32, v1
	v_lshlrev_b64 v[2:3], 2, v[2:3]
	s_delay_alu instid0(VALU_DEP_1) | instskip(NEXT) | instid1(VALU_DEP_2)
	v_add_co_u32 v2, vcc_lo, s16, v2
	v_add_co_ci_u32_e32 v3, vcc_lo, s17, v3, vcc_lo
	global_load_b32 v4, v[2:3], off glc
	s_waitcnt vmcnt(0)
	v_lshrrev_b32_e32 v56, 16, v4
	s_delay_alu instid0(VALU_DEP_1) | instskip(NEXT) | instid1(VALU_DEP_1)
	v_and_b32_e32 v57, 0xff, v56
	v_cmpx_eq_u16_e32 0, v57
	s_cbranch_execz .LBB80_60
; %bb.57:
	s_mov_b32 s5, 0
.LBB80_58:                              ; =>This Inner Loop Header: Depth=1
	global_load_b32 v4, v[2:3], off glc
	s_waitcnt vmcnt(0)
	v_lshrrev_b32_e32 v56, 16, v4
	s_delay_alu instid0(VALU_DEP_1) | instskip(NEXT) | instid1(VALU_DEP_1)
	v_and_b32_e32 v57, 0xff, v56
	v_cmp_ne_u16_e32 vcc_lo, 0, v57
	s_or_b32 s5, vcc_lo, s5
	s_delay_alu instid0(SALU_CYCLE_1)
	s_and_not1_b32 exec_lo, exec_lo, s5
	s_cbranch_execnz .LBB80_58
; %bb.59:
	s_or_b32 exec_lo, exec_lo, s5
.LBB80_60:
	s_delay_alu instid0(SALU_CYCLE_1)
	s_or_b32 exec_lo, exec_lo, s4
	v_cmp_ne_u32_e32 vcc_lo, 31, v67
	v_and_b32_e32 v3, 0xffff, v4
	v_and_b32_e32 v59, 0xff, v56
	v_lshlrev_b32_e64 v58, v67, -1
	v_lshlrev_b32_e32 v60, 16, v4
	v_add_co_ci_u32_e32 v2, vcc_lo, 0, v67, vcc_lo
	s_delay_alu instid0(VALU_DEP_4) | instskip(SKIP_1) | instid1(VALU_DEP_3)
	v_cmp_eq_u16_e32 vcc_lo, 2, v59
	v_cmp_gt_u32_e64 s4, 30, v67
	v_lshlrev_b32_e32 v57, 2, v2
	v_and_or_b32 v62, vcc_lo, v58, 0x80000000
	s_delay_alu instid0(VALU_DEP_3) | instskip(SKIP_4) | instid1(VALU_DEP_1)
	v_cndmask_b32_e64 v61, 0, 1, s4
	ds_bpermute_b32 v2, v57, v3
	v_ctz_i32_b32_e32 v70, v62
	s_waitcnt lgkmcnt(0)
	v_lshlrev_b32_e32 v59, 16, v2
	v_cmp_lt_f32_e32 vcc_lo, v59, v60
	v_add_nc_u32_e32 v59, 1, v67
	v_lshlrev_b32_e32 v60, 1, v61
	v_cndmask_b32_e32 v2, v2, v4, vcc_lo
	s_delay_alu instid0(VALU_DEP_3) | instskip(NEXT) | instid1(VALU_DEP_3)
	v_cmp_le_u32_e64 s4, v59, v70
	v_add_lshl_u32 v60, v60, v67, 2
	v_cmp_gt_u32_e32 vcc_lo, 28, v67
	s_delay_alu instid0(VALU_DEP_4) | instskip(NEXT) | instid1(VALU_DEP_4)
	v_and_b32_e32 v61, 0xffff, v2
	v_cndmask_b32_e64 v2, v4, v2, s4
	v_cndmask_b32_e64 v64, 0, 1, vcc_lo
	s_delay_alu instid0(VALU_DEP_3) | instskip(SKIP_4) | instid1(VALU_DEP_1)
	v_cndmask_b32_e64 v3, v3, v61, s4
	ds_bpermute_b32 v61, v60, v3
	v_lshlrev_b32_e32 v62, 16, v3
	s_waitcnt lgkmcnt(0)
	v_lshlrev_b32_e32 v63, 16, v61
	v_cmp_lt_f32_e32 vcc_lo, v63, v62
	v_dual_cndmask_b32 v63, v61, v2 :: v_dual_lshlrev_b32 v62, 2, v64
	v_add_nc_u32_e32 v61, 2, v67
	s_delay_alu instid0(VALU_DEP_2) | instskip(SKIP_1) | instid1(VALU_DEP_4)
	v_add_lshl_u32 v62, v62, v67, 2
	v_cmp_gt_u32_e32 vcc_lo, 24, v67
	v_and_b32_e32 v64, 0xffff, v63
	s_delay_alu instid0(VALU_DEP_4) | instskip(NEXT) | instid1(VALU_DEP_1)
	v_cmp_le_u32_e64 s5, v61, v70
	v_cndmask_b32_e64 v3, v3, v64, s5
	v_cndmask_b32_e64 v2, v2, v63, s5
	v_cndmask_b32_e64 v63, 0, 1, vcc_lo
	ds_bpermute_b32 v64, v62, v3
	v_lshlrev_b32_e32 v65, 16, v3
	s_waitcnt lgkmcnt(0)
	v_lshlrev_b32_e32 v66, 16, v64
	s_delay_alu instid0(VALU_DEP_1) | instskip(SKIP_2) | instid1(VALU_DEP_2)
	v_cmp_lt_f32_e32 vcc_lo, v66, v65
	v_dual_cndmask_b32 v65, v64, v2 :: v_dual_lshlrev_b32 v64, 3, v63
	v_add_nc_u32_e32 v63, 4, v67
	v_and_b32_e32 v66, 0xffff, v65
	s_delay_alu instid0(VALU_DEP_3) | instskip(NEXT) | instid1(VALU_DEP_3)
	v_add_lshl_u32 v64, v64, v67, 2
	v_cmp_le_u32_e64 s6, v63, v70
	s_delay_alu instid0(VALU_DEP_1)
	v_cndmask_b32_e64 v66, v3, v66, s6
	v_cndmask_b32_e64 v2, v2, v65, s6
	v_add_nc_u32_e32 v65, 8, v67
	ds_bpermute_b32 v3, v64, v66
	v_lshlrev_b32_e32 v68, 16, v66
	s_waitcnt lgkmcnt(0)
	v_lshlrev_b32_e32 v69, 16, v3
	s_delay_alu instid0(VALU_DEP_1) | instskip(SKIP_2) | instid1(VALU_DEP_2)
	v_cmp_lt_f32_e32 vcc_lo, v69, v68
	v_cndmask_b32_e32 v3, v3, v2, vcc_lo
	v_cmp_gt_u32_e32 vcc_lo, 16, v67
	v_and_b32_e32 v69, 0xffff, v3
	v_cndmask_b32_e64 v68, 0, 1, vcc_lo
	v_cmp_le_u32_e32 vcc_lo, v65, v70
	s_delay_alu instid0(VALU_DEP_2) | instskip(NEXT) | instid1(VALU_DEP_1)
	v_dual_cndmask_b32 v69, v66, v69 :: v_dual_lshlrev_b32 v68, 4, v68
	v_add_lshl_u32 v66, v68, v67, 2
	v_add_nc_u32_e32 v67, 16, v67
	ds_bpermute_b32 v68, v66, v69
	v_cmp_le_u32_e64 s7, v67, v70
	s_delay_alu instid0(VALU_DEP_1) | instskip(NEXT) | instid1(SALU_CYCLE_1)
	s_or_b32 s5, s5, s7
	s_or_b32 s5, s4, s5
	v_cmp_gt_u32_e64 s4, v67, v70
	s_or_b32 s5, s6, s5
	s_delay_alu instid0(SALU_CYCLE_1) | instskip(NEXT) | instid1(SALU_CYCLE_1)
	s_or_b32 s5, vcc_lo, s5
	s_and_saveexec_b32 s6, s5
	s_cbranch_execz .LBB80_62
; %bb.61:
	s_waitcnt lgkmcnt(0)
	v_lshlrev_b32_e32 v4, 16, v68
	v_dual_cndmask_b32 v2, v2, v3 :: v_dual_lshlrev_b32 v69, 16, v69
	s_delay_alu instid0(VALU_DEP_1) | instskip(NEXT) | instid1(VALU_DEP_1)
	v_cmp_lt_f32_e64 s5, v4, v69
	s_or_b32 vcc_lo, s4, s5
	s_delay_alu instid0(VALU_DEP_2)
	v_cndmask_b32_e32 v4, v68, v2, vcc_lo
.LBB80_62:
	s_or_b32 exec_lo, exec_lo, s6
	v_mov_b32_e32 v2, 0
	s_branch .LBB80_64
.LBB80_63:                              ;   in Loop: Header=BB80_64 Depth=1
                                        ; implicit-def: $vgpr4
                                        ; implicit-def: $vgpr56
	s_cbranch_execnz .LBB80_72
.LBB80_64:                              ; =>This Loop Header: Depth=1
                                        ;     Child Loop BB80_67 Depth 2
	s_waitcnt lgkmcnt(0)
	s_delay_alu instid0(VALU_DEP_1) | instskip(NEXT) | instid1(VALU_DEP_1)
	v_dual_mov_b32 v68, v4 :: v_dual_and_b32 v3, 0xff, v56
	v_cmp_ne_u16_e32 vcc_lo, 2, v3
	v_cndmask_b32_e64 v3, 0, 1, vcc_lo
	;;#ASMSTART
	;;#ASMEND
	s_delay_alu instid0(VALU_DEP_1)
	v_cmp_ne_u32_e32 vcc_lo, 0, v3
	s_cmp_lg_u32 vcc_lo, exec_lo
	s_cbranch_scc1 .LBB80_63
; %bb.65:                               ;   in Loop: Header=BB80_64 Depth=1
	v_lshlrev_b64 v[3:4], 2, v[1:2]
	s_mov_b32 s4, exec_lo
	s_delay_alu instid0(VALU_DEP_1) | instskip(NEXT) | instid1(VALU_DEP_2)
	v_add_co_u32 v3, vcc_lo, s16, v3
	v_add_co_ci_u32_e32 v4, vcc_lo, s17, v4, vcc_lo
	global_load_b32 v69, v[3:4], off glc
	s_waitcnt vmcnt(0)
	v_lshrrev_b32_e32 v56, 16, v69
	s_delay_alu instid0(VALU_DEP_1) | instskip(NEXT) | instid1(VALU_DEP_1)
	v_and_b32_e32 v70, 0xff, v56
	v_cmpx_eq_u16_e32 0, v70
	s_cbranch_execz .LBB80_69
; %bb.66:                               ;   in Loop: Header=BB80_64 Depth=1
	s_mov_b32 s5, 0
.LBB80_67:                              ;   Parent Loop BB80_64 Depth=1
                                        ; =>  This Inner Loop Header: Depth=2
	global_load_b32 v69, v[3:4], off glc
	s_waitcnt vmcnt(0)
	v_lshrrev_b32_e32 v56, 16, v69
	s_delay_alu instid0(VALU_DEP_1) | instskip(NEXT) | instid1(VALU_DEP_1)
	v_and_b32_e32 v70, 0xff, v56
	v_cmp_ne_u16_e32 vcc_lo, 0, v70
	s_or_b32 s5, vcc_lo, s5
	s_delay_alu instid0(SALU_CYCLE_1)
	s_and_not1_b32 exec_lo, exec_lo, s5
	s_cbranch_execnz .LBB80_67
; %bb.68:                               ;   in Loop: Header=BB80_64 Depth=1
	s_or_b32 exec_lo, exec_lo, s5
.LBB80_69:                              ;   in Loop: Header=BB80_64 Depth=1
	s_delay_alu instid0(SALU_CYCLE_1)
	s_or_b32 exec_lo, exec_lo, s4
	v_and_b32_e32 v3, 0xffff, v69
	v_and_b32_e32 v70, 0xff, v56
	v_lshlrev_b32_e32 v71, 16, v69
	ds_bpermute_b32 v4, v57, v3
	v_cmp_eq_u16_e32 vcc_lo, 2, v70
	v_and_or_b32 v72, vcc_lo, v58, 0x80000000
	s_delay_alu instid0(VALU_DEP_1) | instskip(NEXT) | instid1(VALU_DEP_1)
	v_ctz_i32_b32_e32 v72, v72
	v_cmp_le_u32_e64 s4, v59, v72
	v_cmp_le_u32_e64 s5, v61, v72
	;; [unrolled: 1-line block ×4, first 2 shown]
	s_waitcnt lgkmcnt(0)
	v_lshlrev_b32_e32 v70, 16, v4
	s_delay_alu instid0(VALU_DEP_1) | instskip(SKIP_1) | instid1(VALU_DEP_1)
	v_cmp_lt_f32_e32 vcc_lo, v70, v71
	v_cndmask_b32_e32 v4, v4, v69, vcc_lo
	v_and_b32_e32 v70, 0xffff, v4
	s_delay_alu instid0(VALU_DEP_1) | instskip(NEXT) | instid1(VALU_DEP_1)
	v_cndmask_b32_e64 v3, v3, v70, s4
	v_lshlrev_b32_e32 v71, 16, v3
	ds_bpermute_b32 v70, v60, v3
	v_cndmask_b32_e64 v4, v69, v4, s4
	s_waitcnt lgkmcnt(0)
	v_lshlrev_b32_e32 v73, 16, v70
	s_delay_alu instid0(VALU_DEP_1) | instskip(NEXT) | instid1(VALU_DEP_3)
	v_cmp_lt_f32_e32 vcc_lo, v73, v71
	v_cndmask_b32_e32 v70, v70, v4, vcc_lo
	s_delay_alu instid0(VALU_DEP_1) | instskip(SKIP_1) | instid1(VALU_DEP_2)
	v_and_b32_e32 v71, 0xffff, v70
	v_cndmask_b32_e64 v4, v4, v70, s5
	v_cndmask_b32_e64 v3, v3, v71, s5
	s_or_b32 s5, s5, s7
	s_delay_alu instid0(SALU_CYCLE_1)
	s_or_b32 s5, s4, s5
	v_cmp_gt_u32_e64 s4, v67, v72
	ds_bpermute_b32 v71, v62, v3
	v_lshlrev_b32_e32 v73, 16, v3
	s_or_b32 s5, s6, s5
	s_waitcnt lgkmcnt(0)
	v_lshlrev_b32_e32 v74, 16, v71
	s_delay_alu instid0(VALU_DEP_1) | instskip(SKIP_1) | instid1(VALU_DEP_1)
	v_cmp_lt_f32_e32 vcc_lo, v74, v73
	v_cndmask_b32_e32 v70, v71, v4, vcc_lo
	v_and_b32_e32 v71, 0xffff, v70
	s_delay_alu instid0(VALU_DEP_1)
	v_cndmask_b32_e64 v71, v3, v71, s6
	v_cndmask_b32_e64 v3, v4, v70, s6
	ds_bpermute_b32 v73, v64, v71
	v_lshlrev_b32_e32 v74, 16, v71
	s_waitcnt lgkmcnt(0)
	v_lshlrev_b32_e32 v75, 16, v73
	s_delay_alu instid0(VALU_DEP_1) | instskip(SKIP_2) | instid1(VALU_DEP_2)
	v_cmp_lt_f32_e32 vcc_lo, v75, v74
	v_cndmask_b32_e32 v4, v73, v3, vcc_lo
	v_cmp_le_u32_e32 vcc_lo, v65, v72
	v_and_b32_e32 v70, 0xffff, v4
	s_or_b32 s5, vcc_lo, s5
	s_delay_alu instid0(VALU_DEP_1)
	v_cndmask_b32_e32 v71, v71, v70, vcc_lo
	ds_bpermute_b32 v70, v66, v71
	s_and_saveexec_b32 s6, s5
	s_cbranch_execz .LBB80_71
; %bb.70:                               ;   in Loop: Header=BB80_64 Depth=1
	s_waitcnt lgkmcnt(0)
	v_lshlrev_b32_e32 v69, 16, v70
	v_lshlrev_b32_e32 v71, 16, v71
	v_cndmask_b32_e32 v3, v3, v4, vcc_lo
	s_delay_alu instid0(VALU_DEP_2) | instskip(NEXT) | instid1(VALU_DEP_1)
	v_cmp_lt_f32_e64 s5, v69, v71
	s_or_b32 vcc_lo, s4, s5
	s_delay_alu instid0(VALU_DEP_2)
	v_cndmask_b32_e32 v69, v70, v3, vcc_lo
.LBB80_71:                              ;   in Loop: Header=BB80_64 Depth=1
	s_or_b32 exec_lo, exec_lo, s6
	s_delay_alu instid0(VALU_DEP_1) | instskip(SKIP_2) | instid1(VALU_DEP_2)
	v_lshlrev_b32_e32 v3, 16, v69
	v_lshlrev_b32_e32 v4, 16, v68
	v_subrev_nc_u32_e32 v1, 32, v1
	v_cmp_lt_f32_e32 vcc_lo, v3, v4
	v_cndmask_b32_e32 v4, v69, v68, vcc_lo
	s_branch .LBB80_64
.LBB80_72:
	s_and_saveexec_b32 s4, s3
	s_cbranch_execz .LBB80_74
; %bb.73:
	v_lshlrev_b32_e32 v1, 16, v68
	v_lshlrev_b32_e32 v2, 16, v54
	s_add_i32 s6, s15, 32
	s_mov_b32 s7, 0
	s_delay_alu instid0(SALU_CYCLE_1) | instskip(NEXT) | instid1(VALU_DEP_1)
	s_lshl_b64 s[6:7], s[6:7], 2
	v_cmp_lt_f32_e32 vcc_lo, v1, v2
	v_mov_b32_e32 v2, 0
	s_add_u32 s6, s16, s6
	s_addc_u32 s7, s17, s7
	v_cndmask_b32_e32 v1, v68, v55, vcc_lo
	s_delay_alu instid0(VALU_DEP_1) | instskip(NEXT) | instid1(VALU_DEP_1)
	v_and_b32_e32 v1, 0xffff, v1
	v_or_b32_e32 v1, 0x20000, v1
	global_store_b32 v2, v1, s[6:7]
.LBB80_74:
	s_or_b32 exec_lo, exec_lo, s4
	s_delay_alu instid0(SALU_CYCLE_1)
	s_and_b32 exec_lo, exec_lo, s2
	s_cbranch_execz .LBB80_76
; %bb.75:
	v_mov_b32_e32 v1, 0
	ds_store_b16 v1, v68
.LBB80_76:
	s_or_b32 exec_lo, exec_lo, s20
	s_waitcnt lgkmcnt(0)
	v_dual_mov_b32 v1, 0 :: v_dual_lshlrev_b32 v2, 16, v53
	s_waitcnt_vscnt null, 0x0
	s_barrier
	buffer_gl0_inv
	ds_load_u16 v1, v1
	s_waitcnt lgkmcnt(0)
	v_lshlrev_b32_e32 v3, 16, v1
	s_delay_alu instid0(VALU_DEP_1) | instskip(SKIP_1) | instid1(VALU_DEP_1)
	v_cmp_lt_f32_e32 vcc_lo, v3, v2
	v_cndmask_b32_e32 v2, v1, v53, vcc_lo
	v_cndmask_b32_e64 v1, v2, v1, s2
	s_delay_alu instid0(VALU_DEP_1) | instskip(NEXT) | instid1(VALU_DEP_1)
	v_lshlrev_b32_e32 v2, 16, v1
	v_cmp_lt_f32_e32 vcc_lo, v2, v49
	v_cndmask_b32_e32 v3, v1, v35, vcc_lo
	s_delay_alu instid0(VALU_DEP_1) | instskip(NEXT) | instid1(VALU_DEP_1)
	v_lshlrev_b32_e32 v2, 16, v3
	v_cmp_lt_f32_e32 vcc_lo, v2, v48
	v_cndmask_b32_e32 v4, v3, v31, vcc_lo
	;; [unrolled: 4-line block ×21, first 2 shown]
	s_load_b128 s[4:7], s[0:1], 0x30
	s_branch .LBB80_89
.LBB80_77:
                                        ; implicit-def: $vgpr1
                                        ; implicit-def: $vgpr3
                                        ; implicit-def: $vgpr4
                                        ; implicit-def: $vgpr53
                                        ; implicit-def: $vgpr54
                                        ; implicit-def: $vgpr55
                                        ; implicit-def: $vgpr56
                                        ; implicit-def: $vgpr57
                                        ; implicit-def: $vgpr58
                                        ; implicit-def: $vgpr59
                                        ; implicit-def: $vgpr60
                                        ; implicit-def: $vgpr61
                                        ; implicit-def: $vgpr62
                                        ; implicit-def: $vgpr63
                                        ; implicit-def: $vgpr64
                                        ; implicit-def: $vgpr65
                                        ; implicit-def: $vgpr66
                                        ; implicit-def: $vgpr67
                                        ; implicit-def: $vgpr68
                                        ; implicit-def: $vgpr69
                                        ; implicit-def: $vgpr70
                                        ; implicit-def: $vgpr2
	s_load_b128 s[4:7], s[0:1], 0x30
	s_cbranch_execz .LBB80_89
; %bb.78:
	s_clause 0x1
	s_load_b32 s2, s[0:1], 0x18
	s_load_b32 s3, s[0:1], 0x40
	s_waitcnt lgkmcnt(0)
	v_mov_b32_e32 v2, s2
	s_bitcmp0_b32 s3, 0
	s_cbranch_scc1 .LBB80_80
; %bb.79:
	v_mov_b32_e32 v1, 0
	s_clause 0x1
	global_load_u16 v2, v1, s[8:9] offset:-2
	global_load_u16 v1, v1, s[4:5]
	s_waitcnt vmcnt(1)
	v_lshlrev_b32_e32 v3, 16, v2
	s_waitcnt vmcnt(0)
	v_lshlrev_b32_e32 v4, 16, v1
	s_delay_alu instid0(VALU_DEP_1)
	v_cmp_lt_f32_e32 vcc_lo, v4, v3
	v_cndmask_b32_e32 v2, v1, v2, vcc_lo
.LBB80_80:
	v_cmp_lt_f32_e32 vcc_lo, v49, v48
	v_add_lshl_u32 v4, v52, v0, 1
	s_mov_b32 s4, exec_lo
	v_cndmask_b32_e32 v1, v35, v31, vcc_lo
	s_delay_alu instid0(VALU_DEP_1) | instskip(NEXT) | instid1(VALU_DEP_1)
	v_lshlrev_b32_e32 v3, 16, v1
	v_cmp_lt_f32_e32 vcc_lo, v3, v47
	v_cndmask_b32_e32 v1, v1, v32, vcc_lo
	s_delay_alu instid0(VALU_DEP_1) | instskip(NEXT) | instid1(VALU_DEP_1)
	v_lshlrev_b32_e32 v3, 16, v1
	v_cmp_lt_f32_e32 vcc_lo, v3, v46
	;; [unrolled: 4-line block ×20, first 2 shown]
	v_cndmask_b32_e32 v1, v1, v50, vcc_lo
	ds_store_b16 v4, v1
	s_waitcnt lgkmcnt(0)
	s_barrier
	buffer_gl0_inv
	v_cmpx_gt_u32_e32 32, v0
	s_cbranch_execz .LBB80_82
; %bb.81:
	v_lshrrev_b32_e32 v3, 3, v0
	v_mbcnt_lo_u32_b32 v58, -1, 0
	s_delay_alu instid0(VALU_DEP_2) | instskip(NEXT) | instid1(VALU_DEP_1)
	v_and_b32_e32 v3, 6, v3
	v_lshl_or_b32 v3, v0, 2, v3
	ds_load_b32 v4, v3
	s_waitcnt lgkmcnt(0)
	v_and_b32_e32 v50, 0xffff0000, v4
	v_lshlrev_b32_e32 v51, 16, v4
	v_lshrrev_b32_e32 v52, 16, v4
	s_delay_alu instid0(VALU_DEP_2) | instskip(NEXT) | instid1(VALU_DEP_2)
	v_cmp_lt_f32_e32 vcc_lo, v51, v50
	v_cndmask_b32_e32 v53, v4, v52, vcc_lo
	s_delay_alu instid0(VALU_DEP_1) | instskip(SKIP_1) | instid1(VALU_DEP_2)
	v_and_b32_e32 v54, 0xffff, v53
	v_lshlrev_b32_e32 v56, 16, v53
	v_mov_b32_dpp v55, v54 row_shr:1 row_mask:0xf bank_mask:0xf
	s_delay_alu instid0(VALU_DEP_1) | instskip(NEXT) | instid1(VALU_DEP_1)
	v_lshlrev_b32_e32 v57, 16, v55
	v_cmp_lt_f32_e32 vcc_lo, v57, v56
	v_dual_cndmask_b32 v55, v55, v53 :: v_dual_and_b32 v56, 15, v58
	s_delay_alu instid0(VALU_DEP_1) | instskip(NEXT) | instid1(VALU_DEP_2)
	v_cmp_eq_u32_e32 vcc_lo, 0, v56
	v_and_b32_e32 v57, 0xffff, v55
	s_delay_alu instid0(VALU_DEP_1) | instskip(NEXT) | instid1(VALU_DEP_1)
	v_dual_cndmask_b32 v53, v55, v53 :: v_dual_cndmask_b32 v54, v57, v54
	v_mov_b32_dpp v57, v54 row_shr:2 row_mask:0xf bank_mask:0xf
	v_lshlrev_b32_e32 v59, 16, v54
	s_delay_alu instid0(VALU_DEP_2) | instskip(NEXT) | instid1(VALU_DEP_1)
	v_lshlrev_b32_e32 v60, 16, v57
	v_cmp_lt_f32_e32 vcc_lo, v60, v59
	v_cndmask_b32_e32 v55, v57, v53, vcc_lo
	v_cmp_lt_u32_e32 vcc_lo, 1, v56
	s_delay_alu instid0(VALU_DEP_2) | instskip(NEXT) | instid1(VALU_DEP_1)
	v_and_b32_e32 v57, 0xffff, v55
	v_dual_cndmask_b32 v53, v53, v55 :: v_dual_cndmask_b32 v54, v54, v57
	s_delay_alu instid0(VALU_DEP_1) | instskip(SKIP_1) | instid1(VALU_DEP_2)
	v_mov_b32_dpp v57, v54 row_shr:4 row_mask:0xf bank_mask:0xf
	v_lshlrev_b32_e32 v59, 16, v54
	v_lshlrev_b32_e32 v60, 16, v57
	s_delay_alu instid0(VALU_DEP_1) | instskip(SKIP_2) | instid1(VALU_DEP_2)
	v_cmp_lt_f32_e32 vcc_lo, v60, v59
	v_cndmask_b32_e32 v55, v57, v53, vcc_lo
	v_cmp_lt_u32_e32 vcc_lo, 3, v56
	v_and_b32_e32 v57, 0xffff, v55
	s_delay_alu instid0(VALU_DEP_1) | instskip(NEXT) | instid1(VALU_DEP_1)
	v_dual_cndmask_b32 v53, v53, v55 :: v_dual_cndmask_b32 v54, v54, v57
	v_mov_b32_dpp v57, v54 row_shr:8 row_mask:0xf bank_mask:0xf
	v_lshlrev_b32_e32 v59, 16, v54
	s_delay_alu instid0(VALU_DEP_2) | instskip(NEXT) | instid1(VALU_DEP_1)
	v_lshlrev_b32_e32 v60, 16, v57
	v_cmp_lt_f32_e32 vcc_lo, v60, v59
	v_dual_cndmask_b32 v55, v57, v53 :: v_dual_add_nc_u32 v60, -1, v58
	v_cmp_lt_u32_e32 vcc_lo, 7, v56
	s_delay_alu instid0(VALU_DEP_2) | instskip(NEXT) | instid1(VALU_DEP_1)
	v_and_b32_e32 v57, 0xffff, v55
	v_dual_cndmask_b32 v53, v53, v55 :: v_dual_cndmask_b32 v54, v54, v57
	v_and_b32_e32 v57, 16, v58
	v_cmp_gt_i32_e32 vcc_lo, 0, v60
	ds_swizzle_b32 v56, v54 offset:swizzle(BROADCAST,32,15)
	v_lshlrev_b32_e32 v54, 16, v54
	v_cmp_eq_u32_e64 s2, 0, v57
	s_waitcnt lgkmcnt(0)
	v_lshlrev_b32_e32 v59, 16, v56
	s_delay_alu instid0(VALU_DEP_1) | instskip(SKIP_1) | instid1(VALU_DEP_2)
	v_cmp_lt_f32_e64 s3, v59, v54
	v_cndmask_b32_e32 v54, v60, v58, vcc_lo
	s_or_b32 vcc_lo, s2, s3
	s_delay_alu instid0(VALU_DEP_1) | instskip(NEXT) | instid1(VALU_DEP_1)
	v_dual_cndmask_b32 v53, v56, v53 :: v_dual_lshlrev_b32 v54, 2, v54
	v_and_b32_e32 v53, 0xffff, v53
	ds_bpermute_b32 v53, v54, v53
	s_waitcnt lgkmcnt(0)
	v_lshlrev_b32_e32 v54, 16, v53
	s_delay_alu instid0(VALU_DEP_1) | instskip(SKIP_2) | instid1(VALU_DEP_2)
	v_cmp_gt_f32_e32 vcc_lo, v51, v54
	v_cndmask_b32_e32 v4, v53, v4, vcc_lo
	v_cmp_eq_u32_e32 vcc_lo, 0, v0
	v_cndmask_b32_e32 v1, v4, v1, vcc_lo
	s_delay_alu instid0(VALU_DEP_1) | instskip(NEXT) | instid1(VALU_DEP_1)
	v_lshlrev_b32_e32 v4, 16, v1
	v_cmp_gt_f32_e32 vcc_lo, v50, v4
	v_cndmask_b32_e32 v4, v1, v52, vcc_lo
	ds_store_b16 v3, v1
	ds_store_b16 v3, v4 offset:2
.LBB80_82:
	s_or_b32 exec_lo, exec_lo, s4
	v_cmp_eq_u32_e32 vcc_lo, 0, v0
	v_lshlrev_b32_e32 v3, 16, v2
	s_mov_b32 s3, exec_lo
	s_waitcnt lgkmcnt(0)
	s_barrier
	buffer_gl0_inv
                                        ; implicit-def: $vgpr1
                                        ; implicit-def: $vgpr50
	v_cmpx_ne_u32_e32 0, v0
	s_xor_b32 s3, exec_lo, s3
	s_cbranch_execz .LBB80_84
; %bb.83:
	v_add_nc_u32_e32 v1, -1, v0
	v_lshlrev_b32_e32 v50, 16, v2
	s_delay_alu instid0(VALU_DEP_2) | instskip(NEXT) | instid1(VALU_DEP_1)
	v_lshrrev_b32_e32 v3, 5, v1
	v_add_lshl_u32 v1, v3, v1, 1
	ds_load_u16 v1, v1
	s_waitcnt lgkmcnt(0)
	v_lshlrev_b32_e32 v3, 16, v1
	s_delay_alu instid0(VALU_DEP_1) | instskip(NEXT) | instid1(VALU_DEP_1)
	v_cmp_lt_f32_e64 s2, v50, v3
	v_cndmask_b32_e64 v1, v2, v1, s2
	s_delay_alu instid0(VALU_DEP_1)
	v_lshlrev_b32_e32 v3, 16, v1
.LBB80_84:
	s_and_not1_saveexec_b32 s2, s3
; %bb.85:
	s_delay_alu instid0(VALU_DEP_1)
	v_dual_mov_b32 v50, v3 :: v_dual_mov_b32 v1, v2
; %bb.86:
	s_or_b32 exec_lo, exec_lo, s2
	v_cmp_lt_f32_e64 s2, v3, v49
	s_delay_alu instid0(VALU_DEP_1) | instskip(NEXT) | instid1(VALU_DEP_1)
	v_cndmask_b32_e64 v3, v1, v35, s2
	v_lshlrev_b32_e32 v4, 16, v3
	s_delay_alu instid0(VALU_DEP_1) | instskip(NEXT) | instid1(VALU_DEP_1)
	v_cmp_lt_f32_e64 s2, v4, v48
	v_cndmask_b32_e64 v4, v3, v31, s2
	s_delay_alu instid0(VALU_DEP_1) | instskip(NEXT) | instid1(VALU_DEP_1)
	v_lshlrev_b32_e32 v31, 16, v4
	v_cmp_lt_f32_e64 s2, v31, v47
	s_delay_alu instid0(VALU_DEP_1) | instskip(NEXT) | instid1(VALU_DEP_1)
	v_cndmask_b32_e64 v53, v4, v32, s2
	v_lshlrev_b32_e32 v31, 16, v53
	s_delay_alu instid0(VALU_DEP_1) | instskip(NEXT) | instid1(VALU_DEP_1)
	v_cmp_lt_f32_e64 s2, v31, v46
	v_cndmask_b32_e64 v54, v53, v26, s2
	s_delay_alu instid0(VALU_DEP_1) | instskip(NEXT) | instid1(VALU_DEP_1)
	v_lshlrev_b32_e32 v26, 16, v54
	;; [unrolled: 9-line block ×10, first 2 shown]
	v_cmp_lt_f32_e64 s2, v9, v22
	s_and_saveexec_b32 s3, vcc_lo
	s_cbranch_execz .LBB80_88
; %bb.87:
	v_mov_b32_e32 v9, 0
	ds_load_u16 v10, v9 offset:128
	s_waitcnt lgkmcnt(0)
	v_lshlrev_b32_e32 v11, 16, v10
	s_delay_alu instid0(VALU_DEP_1) | instskip(SKIP_1) | instid1(VALU_DEP_1)
	v_cmp_lt_f32_e32 vcc_lo, v50, v11
	v_cndmask_b32_e32 v2, v2, v10, vcc_lo
	v_and_b32_e32 v2, 0xffff, v2
	s_delay_alu instid0(VALU_DEP_1)
	v_or_b32_e32 v2, 0x20000, v2
	global_store_b32 v9, v2, s[16:17] offset:128
.LBB80_88:
	s_or_b32 exec_lo, exec_lo, s3
	s_delay_alu instid0(VALU_DEP_1)
	v_cndmask_b32_e64 v2, v70, v8, s2
.LBB80_89:
	v_perm_b32 v4, v53, v4, 0x5040100
	v_perm_b32 v8, v3, v1, 0x5040100
	;; [unrolled: 1-line block ×11, first 2 shown]
	s_add_u32 s2, s10, s12
	s_addc_u32 s3, s11, s13
	s_and_b32 vcc_lo, exec_lo, s19
	s_waitcnt lgkmcnt(0)
	s_mov_b32 s4, -1
	s_waitcnt_vscnt null, 0x0
	s_barrier
	buffer_gl0_inv
	s_cbranch_vccz .LBB80_91
; %bb.90:
	ds_store_2addr_b32 v7, v8, v4 offset1:1
	ds_store_2addr_b32 v7, v10, v9 offset0:2 offset1:3
	ds_store_2addr_b32 v7, v12, v11 offset0:4 offset1:5
	;; [unrolled: 1-line block ×4, first 2 shown]
	ds_store_b32 v7, v2 offset:40
	s_waitcnt lgkmcnt(0)
	s_barrier
	buffer_gl0_inv
	ds_load_u16 v15, v5
	ds_load_u16 v16, v5 offset:128
	ds_load_u16 v17, v5 offset:256
	;; [unrolled: 1-line block ×21, first 2 shown]
	s_mov_b32 s4, 0
	s_waitcnt lgkmcnt(21)
	global_store_b16 v5, v15, s[2:3]
	s_waitcnt lgkmcnt(20)
	global_store_b16 v5, v16, s[2:3] offset:128
	s_waitcnt lgkmcnt(19)
	global_store_b16 v5, v17, s[2:3] offset:256
	;; [unrolled: 2-line block ×21, first 2 shown]
.LBB80_91:
	s_and_not1_b32 vcc_lo, exec_lo, s4
	s_cbranch_vccnz .LBB80_218
; %bb.92:
	v_mad_i32_i24 v27, 0xffffffd6, v0, v7
	ds_store_2addr_b32 v7, v8, v4 offset1:1
	ds_store_2addr_b32 v7, v10, v9 offset0:2 offset1:3
	ds_store_2addr_b32 v7, v12, v11 offset0:4 offset1:5
	;; [unrolled: 1-line block ×4, first 2 shown]
	ds_store_b32 v7, v2 offset:40
	s_waitcnt lgkmcnt(0)
	s_waitcnt_vscnt null, 0x0
	s_barrier
	buffer_gl0_inv
	ds_load_u16 v7, v27
	ds_load_u16 v4, v27 offset:128
	ds_load_u16 v9, v27 offset:256
	;; [unrolled: 1-line block ×21, first 2 shown]
	v_add_co_u32 v2, s2, s2, v5
	v_mov_b32_e32 v1, 0
	v_add_co_ci_u32_e64 v3, null, s3, 0, s2
	s_mov_b32 s2, exec_lo
	v_cmpx_gt_u32_e64 s14, v0
	s_cbranch_execz .LBB80_94
; %bb.93:
	s_waitcnt lgkmcnt(21)
	global_store_b16 v[2:3], v7, off
.LBB80_94:
	s_or_b32 exec_lo, exec_lo, s2
	v_or_b32_e32 v5, 64, v0
	s_mov_b32 s2, exec_lo
	s_delay_alu instid0(VALU_DEP_1)
	v_cmpx_gt_u32_e64 s14, v5
	s_cbranch_execz .LBB80_96
; %bb.95:
	s_waitcnt lgkmcnt(20)
	global_store_b16 v[2:3], v4, off offset:128
.LBB80_96:
	s_or_b32 exec_lo, exec_lo, s2
	v_or_b32_e32 v5, 0x80, v0
	s_mov_b32 s2, exec_lo
	s_delay_alu instid0(VALU_DEP_1)
	v_cmpx_gt_u32_e64 s14, v5
	s_cbranch_execz .LBB80_98
; %bb.97:
	s_waitcnt lgkmcnt(19)
	global_store_b16 v[2:3], v9, off offset:256
.LBB80_98:
	s_or_b32 exec_lo, exec_lo, s2
	v_or_b32_e32 v5, 0xc0, v0
	s_mov_b32 s2, exec_lo
	s_delay_alu instid0(VALU_DEP_1)
	v_cmpx_gt_u32_e64 s14, v5
	s_cbranch_execz .LBB80_100
; %bb.99:
	s_waitcnt lgkmcnt(18)
	global_store_b16 v[2:3], v10, off offset:384
.LBB80_100:
	s_or_b32 exec_lo, exec_lo, s2
	v_or_b32_e32 v5, 0x100, v0
	s_mov_b32 s2, exec_lo
	s_delay_alu instid0(VALU_DEP_1)
	v_cmpx_gt_u32_e64 s14, v5
	s_cbranch_execz .LBB80_102
; %bb.101:
	s_waitcnt lgkmcnt(17)
	global_store_b16 v[2:3], v8, off offset:512
.LBB80_102:
	s_or_b32 exec_lo, exec_lo, s2
	v_or_b32_e32 v5, 0x140, v0
	s_mov_b32 s2, exec_lo
	s_delay_alu instid0(VALU_DEP_1)
	v_cmpx_gt_u32_e64 s14, v5
	s_cbranch_execz .LBB80_104
; %bb.103:
	s_waitcnt lgkmcnt(16)
	global_store_b16 v[2:3], v11, off offset:640
.LBB80_104:
	s_or_b32 exec_lo, exec_lo, s2
	v_or_b32_e32 v5, 0x180, v0
	s_mov_b32 s2, exec_lo
	s_delay_alu instid0(VALU_DEP_1)
	v_cmpx_gt_u32_e64 s14, v5
	s_cbranch_execz .LBB80_106
; %bb.105:
	s_waitcnt lgkmcnt(15)
	global_store_b16 v[2:3], v12, off offset:768
.LBB80_106:
	s_or_b32 exec_lo, exec_lo, s2
	v_or_b32_e32 v5, 0x1c0, v0
	s_mov_b32 s2, exec_lo
	s_delay_alu instid0(VALU_DEP_1)
	v_cmpx_gt_u32_e64 s14, v5
	s_cbranch_execz .LBB80_108
; %bb.107:
	s_waitcnt lgkmcnt(14)
	global_store_b16 v[2:3], v13, off offset:896
.LBB80_108:
	s_or_b32 exec_lo, exec_lo, s2
	v_or_b32_e32 v5, 0x200, v0
	s_mov_b32 s2, exec_lo
	s_delay_alu instid0(VALU_DEP_1)
	v_cmpx_gt_u32_e64 s14, v5
	s_cbranch_execz .LBB80_110
; %bb.109:
	s_waitcnt lgkmcnt(13)
	global_store_b16 v[2:3], v16, off offset:1024
.LBB80_110:
	s_or_b32 exec_lo, exec_lo, s2
	v_or_b32_e32 v5, 0x240, v0
	s_mov_b32 s2, exec_lo
	s_delay_alu instid0(VALU_DEP_1)
	v_cmpx_gt_u32_e64 s14, v5
	s_cbranch_execz .LBB80_112
; %bb.111:
	s_waitcnt lgkmcnt(12)
	global_store_b16 v[2:3], v17, off offset:1152
.LBB80_112:
	s_or_b32 exec_lo, exec_lo, s2
	v_or_b32_e32 v5, 0x280, v0
	s_mov_b32 s2, exec_lo
	s_delay_alu instid0(VALU_DEP_1)
	v_cmpx_gt_u32_e64 s14, v5
	s_cbranch_execz .LBB80_114
; %bb.113:
	s_waitcnt lgkmcnt(11)
	global_store_b16 v[2:3], v15, off offset:1280
.LBB80_114:
	s_or_b32 exec_lo, exec_lo, s2
	v_or_b32_e32 v5, 0x2c0, v0
	s_mov_b32 s2, exec_lo
	s_delay_alu instid0(VALU_DEP_1)
	v_cmpx_gt_u32_e64 s14, v5
	s_cbranch_execz .LBB80_116
; %bb.115:
	s_waitcnt lgkmcnt(10)
	global_store_b16 v[2:3], v14, off offset:1408
.LBB80_116:
	s_or_b32 exec_lo, exec_lo, s2
	v_or_b32_e32 v5, 0x300, v0
	s_mov_b32 s2, exec_lo
	s_delay_alu instid0(VALU_DEP_1)
	v_cmpx_gt_u32_e64 s14, v5
	s_cbranch_execz .LBB80_118
; %bb.117:
	s_waitcnt lgkmcnt(9)
	global_store_b16 v[2:3], v19, off offset:1536
.LBB80_118:
	s_or_b32 exec_lo, exec_lo, s2
	v_or_b32_e32 v5, 0x340, v0
	s_mov_b32 s2, exec_lo
	s_delay_alu instid0(VALU_DEP_1)
	v_cmpx_gt_u32_e64 s14, v5
	s_cbranch_execz .LBB80_120
; %bb.119:
	s_waitcnt lgkmcnt(8)
	global_store_b16 v[2:3], v22, off offset:1664
.LBB80_120:
	s_or_b32 exec_lo, exec_lo, s2
	v_or_b32_e32 v5, 0x380, v0
	s_mov_b32 s2, exec_lo
	s_delay_alu instid0(VALU_DEP_1)
	v_cmpx_gt_u32_e64 s14, v5
	s_cbranch_execz .LBB80_122
; %bb.121:
	s_waitcnt lgkmcnt(7)
	global_store_b16 v[2:3], v18, off offset:1792
.LBB80_122:
	s_or_b32 exec_lo, exec_lo, s2
	v_or_b32_e32 v5, 0x3c0, v0
	s_mov_b32 s2, exec_lo
	s_delay_alu instid0(VALU_DEP_1)
	v_cmpx_gt_u32_e64 s14, v5
	s_cbranch_execz .LBB80_124
; %bb.123:
	s_waitcnt lgkmcnt(6)
	global_store_b16 v[2:3], v24, off offset:1920
.LBB80_124:
	s_or_b32 exec_lo, exec_lo, s2
	v_or_b32_e32 v5, 0x400, v0
	s_mov_b32 s2, exec_lo
	s_delay_alu instid0(VALU_DEP_1)
	v_cmpx_gt_u32_e64 s14, v5
	s_cbranch_execz .LBB80_126
; %bb.125:
	s_waitcnt lgkmcnt(5)
	global_store_b16 v[2:3], v23, off offset:2048
.LBB80_126:
	s_or_b32 exec_lo, exec_lo, s2
	v_or_b32_e32 v5, 0x440, v0
	s_mov_b32 s2, exec_lo
	s_delay_alu instid0(VALU_DEP_1)
	v_cmpx_gt_u32_e64 s14, v5
	s_cbranch_execz .LBB80_128
; %bb.127:
	s_waitcnt lgkmcnt(4)
	global_store_b16 v[2:3], v20, off offset:2176
.LBB80_128:
	s_or_b32 exec_lo, exec_lo, s2
	v_or_b32_e32 v5, 0x480, v0
	s_mov_b32 s2, exec_lo
	s_delay_alu instid0(VALU_DEP_1)
	v_cmpx_gt_u32_e64 s14, v5
	s_cbranch_execz .LBB80_130
; %bb.129:
	s_waitcnt lgkmcnt(3)
	global_store_b16 v[2:3], v25, off offset:2304
.LBB80_130:
	s_or_b32 exec_lo, exec_lo, s2
	v_or_b32_e32 v5, 0x4c0, v0
	s_mov_b32 s2, exec_lo
	s_delay_alu instid0(VALU_DEP_1)
	v_cmpx_gt_u32_e64 s14, v5
	s_cbranch_execz .LBB80_132
; %bb.131:
	s_waitcnt lgkmcnt(2)
	global_store_b16 v[2:3], v26, off offset:2432
.LBB80_132:
	s_or_b32 exec_lo, exec_lo, s2
	v_or_b32_e32 v5, 0x500, v0
	s_mov_b32 s2, exec_lo
	s_delay_alu instid0(VALU_DEP_1)
	v_cmpx_gt_u32_e64 s14, v5
	s_cbranch_execz .LBB80_134
; %bb.133:
	s_waitcnt lgkmcnt(1)
	global_store_b16 v[2:3], v21, off offset:2560
.LBB80_134:
	s_or_b32 exec_lo, exec_lo, s2
	v_or_b32_e32 v5, 0x540, v0
	s_mov_b32 s2, exec_lo
	s_delay_alu instid0(VALU_DEP_1)
	v_cmpx_gt_u32_e64 s14, v5
	s_cbranch_execz .LBB80_136
; %bb.135:
	s_waitcnt lgkmcnt(0)
	global_store_b16 v[2:3], v27, off offset:2688
.LBB80_136:
	s_or_b32 exec_lo, exec_lo, s2
	s_load_b32 s0, s[0:1], 0x40
	s_waitcnt lgkmcnt(0)
	s_bfe_u32 s0, s0, 0x10008
	s_delay_alu instid0(SALU_CYCLE_1)
	s_cmp_eq_u32 s0, 0
	s_cbranch_scc1 .LBB80_218
; %bb.137:
	s_add_u32 s0, s14, -1
	s_addc_u32 s1, s18, -1
	s_add_u32 s2, 0, 0x2e8b0a00
	s_addc_u32 s3, 0, 42
	s_mul_hi_u32 s5, s2, 0xffffffea
	s_add_i32 s3, s3, 0xba2e890
	s_sub_i32 s5, s5, s2
	s_mul_i32 s8, s3, 0xffffffea
	s_mul_i32 s4, s2, 0xffffffea
	s_add_i32 s5, s5, s8
	s_mul_hi_u32 s9, s3, s4
	s_mul_i32 s8, s3, s4
	s_mul_i32 s10, s2, s5
	s_mul_hi_u32 s4, s2, s4
	s_mul_hi_u32 s11, s2, s5
	s_add_u32 s4, s4, s10
	s_addc_u32 s10, 0, s11
	s_mul_hi_u32 s11, s3, s5
	s_add_u32 s4, s4, s8
	s_addc_u32 s4, s10, s9
	s_mul_i32 s5, s3, s5
	s_addc_u32 s8, s11, 0
	s_add_u32 s4, s4, s5
	s_delay_alu instid0(SALU_CYCLE_1) | instskip(SKIP_2) | instid1(VALU_DEP_1)
	v_add_co_u32 v2, s2, s2, s4
	s_addc_u32 s4, 0, s8
	s_cmp_lg_u32 s2, 0
	v_readfirstlane_b32 s2, v2
	s_addc_u32 s3, s3, s4
	s_delay_alu instid0(SALU_CYCLE_1) | instskip(SKIP_1) | instid1(VALU_DEP_1)
	s_mul_i32 s4, s0, s3
	s_mul_hi_u32 s8, s0, s3
	s_mul_hi_u32 s5, s0, s2
	s_mul_i32 s9, s1, s2
	s_add_u32 s4, s5, s4
	s_addc_u32 s5, 0, s8
	s_mul_hi_u32 s2, s1, s2
	s_mul_hi_u32 s8, s1, s3
	s_add_u32 s4, s4, s9
	s_addc_u32 s2, s5, s2
	s_mul_i32 s3, s1, s3
	s_addc_u32 s4, s8, 0
	s_add_u32 s2, s2, s3
	s_addc_u32 s3, 0, s4
	s_mul_i32 s5, s2, 22
	s_add_u32 s4, s2, 1
	v_sub_co_u32 v2, s5, s0, s5
	s_addc_u32 s8, s3, 0
	s_mul_i32 s10, s3, 22
	s_mul_hi_u32 s12, s2, 22
	s_delay_alu instid0(VALU_DEP_1)
	v_sub_co_u32 v3, s11, v2, 22
	s_add_u32 s9, s2, 2
	s_addc_u32 s13, s3, 0
	s_add_i32 s12, s12, s10
	s_cmp_lg_u32 s5, 0
	v_readfirstlane_b32 s5, v3
	s_subb_u32 s10, s1, s12
	s_cmp_lg_u32 s11, 0
	s_subb_u32 s11, s10, 0
	s_delay_alu instid0(VALU_DEP_1) | instskip(SKIP_4) | instid1(SALU_CYCLE_1)
	s_cmp_gt_u32 s5, 21
	s_cselect_b32 s5, -1, 0
	s_cmp_eq_u32 s11, 0
	v_readfirstlane_b32 s11, v2
	s_cselect_b32 s5, s5, -1
	s_cmp_lg_u32 s5, 0
	s_cselect_b32 s4, s9, s4
	s_cselect_b32 s5, s13, s8
	s_cmp_gt_u32 s11, 21
	s_cselect_b32 s8, -1, 0
	s_cmp_eq_u32 s10, 0
	s_cselect_b32 s8, s8, -1
	s_delay_alu instid0(SALU_CYCLE_1) | instskip(SKIP_2) | instid1(SALU_CYCLE_1)
	s_cmp_lg_u32 s8, 0
	s_cselect_b32 s3, s5, s3
	s_cselect_b32 s2, s4, s2
	v_cmp_eq_u64_e32 vcc_lo, s[2:3], v[0:1]
	s_and_saveexec_b32 s2, vcc_lo
	s_cbranch_execz .LBB80_218
; %bb.138:
	v_mul_hi_u32_u24_e32 v1, 22, v0
	v_sub_co_u32 v0, vcc_lo, s0, v6
	s_mov_b32 s0, 0
	s_mov_b32 s2, 0
	s_delay_alu instid0(VALU_DEP_2) | instskip(SKIP_1) | instid1(VALU_DEP_1)
	v_sub_co_ci_u32_e32 v1, vcc_lo, s1, v1, vcc_lo
	s_mov_b32 s1, exec_lo
	v_cmpx_lt_i64_e32 10, v[0:1]
	s_xor_b32 s1, exec_lo, s1
	s_cbranch_execnz .LBB80_142
; %bb.139:
	s_or_saveexec_b32 s1, s1
	s_mov_b32 s3, 0
	s_xor_b32 exec_lo, exec_lo, s1
	s_cbranch_execnz .LBB80_183
.LBB80_140:
	s_or_b32 exec_lo, exec_lo, s1
	s_and_saveexec_b32 s1, s2
	s_cbranch_execnz .LBB80_194
.LBB80_141:
	s_or_b32 exec_lo, exec_lo, s1
	s_and_saveexec_b32 s1, s0
	s_cbranch_execnz .LBB80_195
	s_branch .LBB80_199
.LBB80_142:
	s_mov_b32 s3, 0
	s_mov_b32 s2, exec_lo
	v_cmpx_lt_i64_e32 15, v[0:1]
	s_xor_b32 s2, exec_lo, s2
	s_cbranch_execz .LBB80_164
; %bb.143:
	s_mov_b32 s4, exec_lo
                                        ; implicit-def: $vgpr14
	v_cmpx_lt_i64_e32 18, v[0:1]
	s_xor_b32 s4, exec_lo, s4
	s_cbranch_execz .LBB80_153
; %bb.144:
	s_mov_b32 s5, 0
	s_mov_b32 s3, exec_lo
                                        ; implicit-def: $vgpr14
	v_cmpx_lt_i64_e32 19, v[0:1]
	s_xor_b32 s3, exec_lo, s3
	s_cbranch_execz .LBB80_150
; %bb.145:
	s_mov_b32 s5, exec_lo
	v_cmpx_lt_i64_e32 20, v[0:1]
	s_xor_b32 s5, exec_lo, s5
	s_cbranch_execz .LBB80_147
; %bb.146:
	v_mov_b32_e32 v2, 0
                                        ; implicit-def: $vgpr21
	global_store_b16 v2, v27, s[6:7]
.LBB80_147:
	s_or_saveexec_b32 s5, s5
	s_mov_b32 s8, 0
	s_xor_b32 exec_lo, exec_lo, s5
; %bb.148:
	s_delay_alu instid0(SALU_CYCLE_1)
	s_mov_b32 s8, exec_lo
; %bb.149:
	s_or_b32 exec_lo, exec_lo, s5
	v_mov_b32_e32 v14, v21
	s_and_b32 s5, s8, exec_lo
                                        ; implicit-def: $vgpr26
.LBB80_150:
	s_and_not1_saveexec_b32 s3, s3
	s_cbranch_execz .LBB80_152
; %bb.151:
	v_mov_b32_e32 v2, 0
                                        ; implicit-def: $vgpr14
	global_store_b16 v2, v26, s[6:7]
.LBB80_152:
	s_or_b32 exec_lo, exec_lo, s3
	s_delay_alu instid0(SALU_CYCLE_1)
	s_and_b32 s3, s5, exec_lo
                                        ; implicit-def: $vgpr23
                                        ; implicit-def: $vgpr20
                                        ; implicit-def: $vgpr25
.LBB80_153:
	s_and_not1_saveexec_b32 s4, s4
	s_cbranch_execz .LBB80_163
; %bb.154:
	s_mov_b32 s5, exec_lo
	v_cmpx_lt_i64_e32 16, v[0:1]
	s_xor_b32 s5, exec_lo, s5
	s_cbranch_execz .LBB80_160
; %bb.155:
	s_mov_b32 s8, exec_lo
	v_cmpx_lt_i64_e32 17, v[0:1]
	s_xor_b32 s8, exec_lo, s8
	s_cbranch_execz .LBB80_157
; %bb.156:
	v_mov_b32_e32 v2, 0
                                        ; implicit-def: $vgpr20
	global_store_b16 v2, v25, s[6:7]
.LBB80_157:
	s_and_not1_saveexec_b32 s8, s8
	s_cbranch_execz .LBB80_159
; %bb.158:
	v_mov_b32_e32 v2, 0
	global_store_b16 v2, v20, s[6:7]
.LBB80_159:
	s_or_b32 exec_lo, exec_lo, s8
                                        ; implicit-def: $vgpr23
.LBB80_160:
	s_and_not1_saveexec_b32 s5, s5
	s_cbranch_execz .LBB80_162
; %bb.161:
	v_mov_b32_e32 v2, 0
	global_store_b16 v2, v23, s[6:7]
.LBB80_162:
	s_or_b32 exec_lo, exec_lo, s5
                                        ; implicit-def: $vgpr14
.LBB80_163:
	s_delay_alu instid0(SALU_CYCLE_1) | instskip(NEXT) | instid1(SALU_CYCLE_1)
	s_or_b32 exec_lo, exec_lo, s4
	s_and_b32 s3, s3, exec_lo
                                        ; implicit-def: $vgpr22
                                        ; implicit-def: $vgpr19
                                        ; implicit-def: $vgpr18
                                        ; implicit-def: $vgpr24
.LBB80_164:
	s_and_not1_saveexec_b32 s2, s2
	s_cbranch_execz .LBB80_182
; %bb.165:
	s_mov_b32 s4, exec_lo
	v_cmpx_lt_i64_e32 12, v[0:1]
	s_xor_b32 s4, exec_lo, s4
	s_cbranch_execz .LBB80_175
; %bb.166:
	s_mov_b32 s5, exec_lo
	v_cmpx_lt_i64_e32 13, v[0:1]
	s_xor_b32 s5, exec_lo, s5
	;; [unrolled: 5-line block ×3, first 2 shown]
	s_cbranch_execz .LBB80_169
; %bb.168:
	v_mov_b32_e32 v2, 0
                                        ; implicit-def: $vgpr18
	global_store_b16 v2, v24, s[6:7]
.LBB80_169:
	s_and_not1_saveexec_b32 s8, s8
	s_cbranch_execz .LBB80_171
; %bb.170:
	v_mov_b32_e32 v2, 0
	global_store_b16 v2, v18, s[6:7]
.LBB80_171:
	s_or_b32 exec_lo, exec_lo, s8
                                        ; implicit-def: $vgpr22
.LBB80_172:
	s_and_not1_saveexec_b32 s5, s5
	s_cbranch_execz .LBB80_174
; %bb.173:
	v_mov_b32_e32 v2, 0
	global_store_b16 v2, v22, s[6:7]
.LBB80_174:
	s_or_b32 exec_lo, exec_lo, s5
                                        ; implicit-def: $vgpr14
                                        ; implicit-def: $vgpr19
.LBB80_175:
	s_or_saveexec_b32 s4, s4
	s_mov_b32 s5, s3
	s_xor_b32 exec_lo, exec_lo, s4
	s_cbranch_execz .LBB80_181
; %bb.176:
	s_mov_b32 s5, exec_lo
	v_cmpx_lt_i64_e32 11, v[0:1]
	s_xor_b32 s5, exec_lo, s5
	s_cbranch_execz .LBB80_178
; %bb.177:
	v_mov_b32_e32 v2, 0
                                        ; implicit-def: $vgpr14
	global_store_b16 v2, v19, s[6:7]
.LBB80_178:
	s_or_saveexec_b32 s5, s5
	s_mov_b32 s8, s3
	s_xor_b32 exec_lo, exec_lo, s5
; %bb.179:
	s_delay_alu instid0(SALU_CYCLE_1)
	s_or_b32 s8, s3, exec_lo
; %bb.180:
	s_or_b32 exec_lo, exec_lo, s5
	s_delay_alu instid0(SALU_CYCLE_1) | instskip(SKIP_1) | instid1(SALU_CYCLE_1)
	s_and_not1_b32 s5, s3, exec_lo
	s_and_b32 s8, s8, exec_lo
	s_or_b32 s5, s5, s8
.LBB80_181:
	s_or_b32 exec_lo, exec_lo, s4
	s_delay_alu instid0(SALU_CYCLE_1) | instskip(SKIP_1) | instid1(SALU_CYCLE_1)
	s_and_not1_b32 s3, s3, exec_lo
	s_and_b32 s4, s5, exec_lo
	s_or_b32 s3, s3, s4
.LBB80_182:
	s_or_b32 exec_lo, exec_lo, s2
	s_delay_alu instid0(SALU_CYCLE_1)
	s_and_b32 s2, s3, exec_lo
                                        ; implicit-def: $vgpr16
                                        ; implicit-def: $vgpr17
                                        ; implicit-def: $vgpr15
	s_or_saveexec_b32 s1, s1
	s_mov_b32 s3, 0
	s_xor_b32 exec_lo, exec_lo, s1
	s_cbranch_execz .LBB80_140
.LBB80_183:
	s_mov_b32 s4, 0
	s_mov_b32 s3, -1
	s_mov_b32 s5, s2
	s_mov_b32 s0, exec_lo
                                        ; implicit-def: $vgpr14
	v_cmpx_lt_i64_e32 5, v[0:1]
	s_cbranch_execz .LBB80_193
; %bb.184:
	s_mov_b32 s4, -1
	s_mov_b32 s5, s2
	s_mov_b32 s3, exec_lo
	v_cmpx_lt_i64_e32 7, v[0:1]
	s_cbranch_execz .LBB80_192
; %bb.185:
	s_mov_b32 s4, exec_lo
	v_cmpx_lt_i64_e32 8, v[0:1]
	s_cbranch_execz .LBB80_191
; %bb.186:
	s_mov_b32 s5, exec_lo
	v_cmpx_lt_i64_e32 9, v[0:1]
	s_xor_b32 s5, exec_lo, s5
; %bb.187:
                                        ; implicit-def: $vgpr17
; %bb.188:
	s_delay_alu instid0(SALU_CYCLE_1)
	s_and_not1_saveexec_b32 s5, s5
; %bb.189:
	v_mov_b32_e32 v15, v17
; %bb.190:
	s_or_b32 exec_lo, exec_lo, s5
	s_delay_alu instid0(VALU_DEP_1)
	v_mov_b32_e32 v16, v15
.LBB80_191:
	s_or_b32 exec_lo, exec_lo, s4
	s_delay_alu instid0(SALU_CYCLE_1)
	s_xor_b32 s4, exec_lo, -1
	s_or_b32 s5, s2, exec_lo
.LBB80_192:
	s_or_b32 exec_lo, exec_lo, s3
	v_mov_b32_e32 v14, v16
	s_and_not1_b32 s8, s2, exec_lo
	s_and_b32 s5, s5, exec_lo
	s_xor_b32 s3, exec_lo, -1
	s_and_b32 s4, s4, exec_lo
	s_or_b32 s5, s8, s5
.LBB80_193:
	s_or_b32 exec_lo, exec_lo, s0
	s_delay_alu instid0(SALU_CYCLE_1)
	s_and_not1_b32 s2, s2, exec_lo
	s_and_b32 s5, s5, exec_lo
	s_and_b32 s3, s3, exec_lo
	;; [unrolled: 1-line block ×3, first 2 shown]
	s_or_b32 s2, s2, s5
	s_or_b32 exec_lo, exec_lo, s1
	s_and_saveexec_b32 s1, s2
	s_cbranch_execz .LBB80_141
.LBB80_194:
	v_mov_b32_e32 v2, 0
	global_store_b16 v2, v14, s[6:7]
	s_or_b32 exec_lo, exec_lo, s1
	s_and_saveexec_b32 s1, s0
	s_cbranch_execz .LBB80_199
.LBB80_195:
	s_mov_b32 s0, exec_lo
	v_cmpx_lt_i64_e32 6, v[0:1]
	s_xor_b32 s0, exec_lo, s0
	s_cbranch_execz .LBB80_197
; %bb.196:
	v_mov_b32_e32 v2, 0
                                        ; implicit-def: $vgpr12
	global_store_b16 v2, v13, s[6:7]
.LBB80_197:
	s_and_not1_saveexec_b32 s0, s0
	s_cbranch_execz .LBB80_199
; %bb.198:
	v_mov_b32_e32 v2, 0
	global_store_b16 v2, v12, s[6:7]
.LBB80_199:
	s_or_b32 exec_lo, exec_lo, s1
	s_delay_alu instid0(SALU_CYCLE_1)
	s_and_b32 exec_lo, exec_lo, s3
	s_cbranch_execz .LBB80_218
; %bb.200:
	s_mov_b32 s0, exec_lo
	v_cmpx_lt_i64_e32 2, v[0:1]
	s_xor_b32 s0, exec_lo, s0
	s_cbranch_execz .LBB80_210
; %bb.201:
	s_mov_b32 s1, exec_lo
	v_cmpx_lt_i64_e32 3, v[0:1]
	s_xor_b32 s1, exec_lo, s1
	;; [unrolled: 5-line block ×3, first 2 shown]
	s_cbranch_execz .LBB80_204
; %bb.203:
	v_mov_b32_e32 v0, 0
                                        ; implicit-def: $vgpr8
	global_store_b16 v0, v11, s[6:7]
.LBB80_204:
	s_and_not1_saveexec_b32 s2, s2
	s_cbranch_execz .LBB80_206
; %bb.205:
	v_mov_b32_e32 v0, 0
	global_store_b16 v0, v8, s[6:7]
.LBB80_206:
	s_or_b32 exec_lo, exec_lo, s2
                                        ; implicit-def: $vgpr10
.LBB80_207:
	s_and_not1_saveexec_b32 s1, s1
	s_cbranch_execz .LBB80_209
; %bb.208:
	v_mov_b32_e32 v0, 0
	global_store_b16 v0, v10, s[6:7]
.LBB80_209:
	s_or_b32 exec_lo, exec_lo, s1
                                        ; implicit-def: $vgpr0_vgpr1
                                        ; implicit-def: $vgpr9
                                        ; implicit-def: $vgpr4
                                        ; implicit-def: $vgpr7
.LBB80_210:
	s_and_not1_saveexec_b32 s0, s0
	s_cbranch_execz .LBB80_218
; %bb.211:
	s_mov_b32 s0, exec_lo
	v_cmpx_lt_i64_e32 1, v[0:1]
	s_xor_b32 s0, exec_lo, s0
	s_cbranch_execz .LBB80_213
; %bb.212:
	v_mov_b32_e32 v0, 0
                                        ; implicit-def: $vgpr4
                                        ; implicit-def: $vgpr7
	global_store_b16 v0, v9, s[6:7]
                                        ; implicit-def: $vgpr0_vgpr1
.LBB80_213:
	s_and_not1_saveexec_b32 s0, s0
	s_cbranch_execz .LBB80_218
; %bb.214:
	s_mov_b32 s0, exec_lo
	v_cmpx_ne_u64_e32 1, v[0:1]
	s_xor_b32 s0, exec_lo, s0
	s_cbranch_execz .LBB80_216
; %bb.215:
	v_mov_b32_e32 v0, 0
                                        ; implicit-def: $vgpr4
	global_store_b16 v0, v7, s[6:7]
.LBB80_216:
	s_and_not1_saveexec_b32 s0, s0
	s_cbranch_execz .LBB80_218
; %bb.217:
	v_mov_b32_e32 v0, 0
	global_store_b16 v0, v4, s[6:7]
.LBB80_218:
	s_nop 0
	s_sendmsg sendmsg(MSG_DEALLOC_VGPRS)
	s_endpgm
	.section	.rodata,"a",@progbits
	.p2align	6, 0x0
	.amdhsa_kernel _ZN7rocprim6detail20lookback_scan_kernelILNS0_25lookback_scan_determinismE0ELb1ENS0_19wrapped_scan_configINS_14default_configE12hip_bfloat16EEPS5_S7_N6hipcub3MaxES5_S5_NS0_19lookback_scan_stateIS5_Lb0ELb1EEEEEvT2_T3_mT5_T4_T7_jPT6_SI_bb
		.amdhsa_group_segment_fixed_size 2816
		.amdhsa_private_segment_fixed_size 0
		.amdhsa_kernarg_size 68
		.amdhsa_user_sgpr_count 15
		.amdhsa_user_sgpr_dispatch_ptr 0
		.amdhsa_user_sgpr_queue_ptr 0
		.amdhsa_user_sgpr_kernarg_segment_ptr 1
		.amdhsa_user_sgpr_dispatch_id 0
		.amdhsa_user_sgpr_private_segment_size 0
		.amdhsa_wavefront_size32 1
		.amdhsa_uses_dynamic_stack 0
		.amdhsa_enable_private_segment 0
		.amdhsa_system_sgpr_workgroup_id_x 1
		.amdhsa_system_sgpr_workgroup_id_y 0
		.amdhsa_system_sgpr_workgroup_id_z 0
		.amdhsa_system_sgpr_workgroup_info 0
		.amdhsa_system_vgpr_workitem_id 0
		.amdhsa_next_free_vgpr 76
		.amdhsa_next_free_sgpr 21
		.amdhsa_reserve_vcc 1
		.amdhsa_float_round_mode_32 0
		.amdhsa_float_round_mode_16_64 0
		.amdhsa_float_denorm_mode_32 3
		.amdhsa_float_denorm_mode_16_64 3
		.amdhsa_dx10_clamp 1
		.amdhsa_ieee_mode 1
		.amdhsa_fp16_overflow 0
		.amdhsa_workgroup_processor_mode 1
		.amdhsa_memory_ordered 1
		.amdhsa_forward_progress 0
		.amdhsa_shared_vgpr_count 0
		.amdhsa_exception_fp_ieee_invalid_op 0
		.amdhsa_exception_fp_denorm_src 0
		.amdhsa_exception_fp_ieee_div_zero 0
		.amdhsa_exception_fp_ieee_overflow 0
		.amdhsa_exception_fp_ieee_underflow 0
		.amdhsa_exception_fp_ieee_inexact 0
		.amdhsa_exception_int_div_zero 0
	.end_amdhsa_kernel
	.section	.text._ZN7rocprim6detail20lookback_scan_kernelILNS0_25lookback_scan_determinismE0ELb1ENS0_19wrapped_scan_configINS_14default_configE12hip_bfloat16EEPS5_S7_N6hipcub3MaxES5_S5_NS0_19lookback_scan_stateIS5_Lb0ELb1EEEEEvT2_T3_mT5_T4_T7_jPT6_SI_bb,"axG",@progbits,_ZN7rocprim6detail20lookback_scan_kernelILNS0_25lookback_scan_determinismE0ELb1ENS0_19wrapped_scan_configINS_14default_configE12hip_bfloat16EEPS5_S7_N6hipcub3MaxES5_S5_NS0_19lookback_scan_stateIS5_Lb0ELb1EEEEEvT2_T3_mT5_T4_T7_jPT6_SI_bb,comdat
.Lfunc_end80:
	.size	_ZN7rocprim6detail20lookback_scan_kernelILNS0_25lookback_scan_determinismE0ELb1ENS0_19wrapped_scan_configINS_14default_configE12hip_bfloat16EEPS5_S7_N6hipcub3MaxES5_S5_NS0_19lookback_scan_stateIS5_Lb0ELb1EEEEEvT2_T3_mT5_T4_T7_jPT6_SI_bb, .Lfunc_end80-_ZN7rocprim6detail20lookback_scan_kernelILNS0_25lookback_scan_determinismE0ELb1ENS0_19wrapped_scan_configINS_14default_configE12hip_bfloat16EEPS5_S7_N6hipcub3MaxES5_S5_NS0_19lookback_scan_stateIS5_Lb0ELb1EEEEEvT2_T3_mT5_T4_T7_jPT6_SI_bb
                                        ; -- End function
	.section	.AMDGPU.csdata,"",@progbits
; Kernel info:
; codeLenInByte = 10192
; NumSgprs: 23
; NumVgprs: 76
; ScratchSize: 0
; MemoryBound: 0
; FloatMode: 240
; IeeeMode: 1
; LDSByteSize: 2816 bytes/workgroup (compile time only)
; SGPRBlocks: 2
; VGPRBlocks: 9
; NumSGPRsForWavesPerEU: 23
; NumVGPRsForWavesPerEU: 76
; Occupancy: 16
; WaveLimiterHint : 1
; COMPUTE_PGM_RSRC2:SCRATCH_EN: 0
; COMPUTE_PGM_RSRC2:USER_SGPR: 15
; COMPUTE_PGM_RSRC2:TRAP_HANDLER: 0
; COMPUTE_PGM_RSRC2:TGID_X_EN: 1
; COMPUTE_PGM_RSRC2:TGID_Y_EN: 0
; COMPUTE_PGM_RSRC2:TGID_Z_EN: 0
; COMPUTE_PGM_RSRC2:TIDIG_COMP_CNT: 0
	.section	.text._ZN7rocprim6detail18single_scan_kernelILb1ENS0_19wrapped_scan_configINS_14default_configE12hip_bfloat16EEPS4_S6_N6hipcub3MaxES4_S4_EEvT1_mT4_T2_T3_,"axG",@progbits,_ZN7rocprim6detail18single_scan_kernelILb1ENS0_19wrapped_scan_configINS_14default_configE12hip_bfloat16EEPS4_S6_N6hipcub3MaxES4_S4_EEvT1_mT4_T2_T3_,comdat
	.protected	_ZN7rocprim6detail18single_scan_kernelILb1ENS0_19wrapped_scan_configINS_14default_configE12hip_bfloat16EEPS4_S6_N6hipcub3MaxES4_S4_EEvT1_mT4_T2_T3_ ; -- Begin function _ZN7rocprim6detail18single_scan_kernelILb1ENS0_19wrapped_scan_configINS_14default_configE12hip_bfloat16EEPS4_S6_N6hipcub3MaxES4_S4_EEvT1_mT4_T2_T3_
	.globl	_ZN7rocprim6detail18single_scan_kernelILb1ENS0_19wrapped_scan_configINS_14default_configE12hip_bfloat16EEPS4_S6_N6hipcub3MaxES4_S4_EEvT1_mT4_T2_T3_
	.p2align	8
	.type	_ZN7rocprim6detail18single_scan_kernelILb1ENS0_19wrapped_scan_configINS_14default_configE12hip_bfloat16EEPS4_S6_N6hipcub3MaxES4_S4_EEvT1_mT4_T2_T3_,@function
_ZN7rocprim6detail18single_scan_kernelILb1ENS0_19wrapped_scan_configINS_14default_configE12hip_bfloat16EEPS4_S6_N6hipcub3MaxES4_S4_EEvT1_mT4_T2_T3_: ; @_ZN7rocprim6detail18single_scan_kernelILb1ENS0_19wrapped_scan_configINS_14default_configE12hip_bfloat16EEPS4_S6_N6hipcub3MaxES4_S4_EEvT1_mT4_T2_T3_
; %bb.0:
	s_load_b128 s[20:23], s[0:1], 0x0
	v_mov_b32_e32 v1, 0
	v_lshlrev_b32_e32 v11, 1, v0
	s_waitcnt lgkmcnt(0)
	global_load_u16 v3, v1, s[20:21]
	v_add_co_u32 v1, s2, s20, v11
	s_delay_alu instid0(VALU_DEP_1)
	v_add_co_ci_u32_e64 v2, null, s21, 0, s2
	v_cmp_gt_u32_e32 vcc_lo, s22, v0
	s_waitcnt vmcnt(0)
	v_mov_b32_e32 v4, v3
	s_and_saveexec_b32 s2, vcc_lo
	s_cbranch_execz .LBB81_2
; %bb.1:
	global_load_u16 v4, v[1:2], off
.LBB81_2:
	s_or_b32 exec_lo, exec_lo, s2
	v_or_b32_e32 v5, 64, v0
	s_delay_alu instid0(VALU_DEP_1) | instskip(SKIP_1) | instid1(VALU_DEP_2)
	v_cmp_gt_u32_e64 s2, s22, v5
	v_mov_b32_e32 v5, v3
	s_and_saveexec_b32 s3, s2
	s_cbranch_execz .LBB81_4
; %bb.3:
	global_load_u16 v5, v[1:2], off offset:128
.LBB81_4:
	s_or_b32 exec_lo, exec_lo, s3
	v_or_b32_e32 v6, 0x80, v0
	s_delay_alu instid0(VALU_DEP_1) | instskip(SKIP_1) | instid1(VALU_DEP_2)
	v_cmp_gt_u32_e64 s3, s22, v6
	v_mov_b32_e32 v6, v3
	s_and_saveexec_b32 s4, s3
	s_cbranch_execz .LBB81_6
; %bb.5:
	global_load_u16 v6, v[1:2], off offset:256
.LBB81_6:
	;; [unrolled: 10-line block ×20, first 2 shown]
	s_or_b32 exec_lo, exec_lo, s23
	v_or_b32_e32 v26, 0x540, v0
	s_delay_alu instid0(VALU_DEP_1) | instskip(NEXT) | instid1(VALU_DEP_1)
	v_cmp_gt_u32_e64 s22, s22, v26
	s_and_saveexec_b32 s23, s22
	s_cbranch_execz .LBB81_44
; %bb.43:
	global_load_u16 v3, v[1:2], off offset:2688
.LBB81_44:
	s_or_b32 exec_lo, exec_lo, s23
	s_waitcnt vmcnt(0)
	ds_store_b16 v11, v4
	ds_store_b16 v11, v5 offset:128
	ds_store_b16 v11, v6 offset:256
	;; [unrolled: 1-line block ×15, first 2 shown]
	v_mad_u32_u24 v12, v0, 42, v11
	ds_store_b16 v11, v21 offset:2048
	ds_store_b16 v11, v22 offset:2176
	;; [unrolled: 1-line block ×6, first 2 shown]
	s_waitcnt lgkmcnt(0)
	s_barrier
	buffer_gl0_inv
	ds_load_2addr_b32 v[7:8], v12 offset1:1
	ds_load_2addr_b32 v[5:6], v12 offset0:2 offset1:3
	ds_load_2addr_b32 v[3:4], v12 offset0:4 offset1:5
	ds_load_2addr_b32 v[1:2], v12 offset0:6 offset1:7
	v_lshrrev_b32_e32 v47, 4, v0
	s_mov_b32 s26, exec_lo
	s_waitcnt lgkmcnt(3)
	v_and_b32_e32 v14, 0xffff0000, v7
	v_lshlrev_b32_e32 v16, 16, v7
	v_lshrrev_b32_e32 v15, 16, v7
	v_lshlrev_b32_e32 v17, 16, v8
	v_and_b32_e32 v18, 0xffff0000, v8
	v_lshrrev_b32_e32 v19, 16, v8
	v_cmp_lt_f32_e64 s23, v16, v14
	s_waitcnt lgkmcnt(2)
	v_lshlrev_b32_e32 v20, 16, v5
	v_and_b32_e32 v21, 0xffff0000, v5
	v_lshrrev_b32_e32 v22, 16, v5
	v_lshlrev_b32_e32 v23, 16, v6
	v_cndmask_b32_e64 v9, v7, v15, s23
	v_and_b32_e32 v25, 0xffff0000, v6
	v_lshrrev_b32_e32 v26, 16, v6
	s_waitcnt lgkmcnt(1)
	v_lshlrev_b32_e32 v27, 16, v3
	v_and_b32_e32 v28, 0xffff0000, v3
	v_lshlrev_b32_e32 v10, 16, v9
	v_lshrrev_b32_e32 v29, 16, v3
	v_lshlrev_b32_e32 v30, 16, v4
	v_and_b32_e32 v31, 0xffff0000, v4
	v_lshrrev_b32_e32 v32, 16, v4
	v_cmp_lt_f32_e64 s23, v10, v17
	s_waitcnt lgkmcnt(0)
	v_lshlrev_b32_e32 v33, 16, v1
	v_and_b32_e32 v34, 0xffff0000, v1
	v_lshrrev_b32_e32 v35, 16, v1
	v_lshlrev_b32_e32 v36, 16, v2
	v_cndmask_b32_e64 v9, v9, v8, s23
	v_and_b32_e32 v37, 0xffff0000, v2
	v_lshrrev_b32_e32 v38, 16, v2
	s_delay_alu instid0(VALU_DEP_3) | instskip(NEXT) | instid1(VALU_DEP_1)
	v_lshlrev_b32_e32 v10, 16, v9
	v_cmp_lt_f32_e64 s23, v10, v18
	s_delay_alu instid0(VALU_DEP_1) | instskip(NEXT) | instid1(VALU_DEP_1)
	v_cndmask_b32_e64 v9, v9, v19, s23
	v_lshlrev_b32_e32 v10, 16, v9
	s_delay_alu instid0(VALU_DEP_1) | instskip(NEXT) | instid1(VALU_DEP_1)
	v_cmp_lt_f32_e64 s23, v10, v20
	v_cndmask_b32_e64 v9, v9, v5, s23
	s_delay_alu instid0(VALU_DEP_1) | instskip(NEXT) | instid1(VALU_DEP_1)
	v_lshlrev_b32_e32 v10, 16, v9
	v_cmp_lt_f32_e64 s23, v10, v21
	s_delay_alu instid0(VALU_DEP_1) | instskip(NEXT) | instid1(VALU_DEP_1)
	v_cndmask_b32_e64 v9, v9, v22, s23
	v_lshlrev_b32_e32 v10, 16, v9
	s_delay_alu instid0(VALU_DEP_1) | instskip(NEXT) | instid1(VALU_DEP_1)
	v_cmp_lt_f32_e64 s23, v10, v23
	v_cndmask_b32_e64 v9, v9, v6, s23
	s_delay_alu instid0(VALU_DEP_1) | instskip(NEXT) | instid1(VALU_DEP_1)
	v_lshlrev_b32_e32 v10, 16, v9
	v_cmp_lt_f32_e64 s23, v10, v25
	s_delay_alu instid0(VALU_DEP_1) | instskip(NEXT) | instid1(VALU_DEP_1)
	v_cndmask_b32_e64 v9, v9, v26, s23
	v_lshlrev_b32_e32 v10, 16, v9
	s_delay_alu instid0(VALU_DEP_1) | instskip(NEXT) | instid1(VALU_DEP_1)
	v_cmp_lt_f32_e64 s23, v10, v27
	v_cndmask_b32_e64 v9, v9, v3, s23
	s_delay_alu instid0(VALU_DEP_1) | instskip(NEXT) | instid1(VALU_DEP_1)
	v_lshlrev_b32_e32 v10, 16, v9
	v_cmp_lt_f32_e64 s23, v10, v28
	s_delay_alu instid0(VALU_DEP_1) | instskip(NEXT) | instid1(VALU_DEP_1)
	v_cndmask_b32_e64 v9, v9, v29, s23
	v_lshlrev_b32_e32 v10, 16, v9
	s_delay_alu instid0(VALU_DEP_1) | instskip(NEXT) | instid1(VALU_DEP_1)
	v_cmp_lt_f32_e64 s23, v10, v30
	v_cndmask_b32_e64 v9, v9, v4, s23
	s_delay_alu instid0(VALU_DEP_1) | instskip(NEXT) | instid1(VALU_DEP_1)
	v_lshlrev_b32_e32 v10, 16, v9
	v_cmp_lt_f32_e64 s23, v10, v31
	s_delay_alu instid0(VALU_DEP_1) | instskip(NEXT) | instid1(VALU_DEP_1)
	v_cndmask_b32_e64 v9, v9, v32, s23
	v_lshlrev_b32_e32 v10, 16, v9
	s_delay_alu instid0(VALU_DEP_1) | instskip(NEXT) | instid1(VALU_DEP_1)
	v_cmp_lt_f32_e64 s23, v10, v33
	v_cndmask_b32_e64 v9, v9, v1, s23
	s_delay_alu instid0(VALU_DEP_1) | instskip(NEXT) | instid1(VALU_DEP_1)
	v_lshlrev_b32_e32 v10, 16, v9
	v_cmp_lt_f32_e64 s23, v10, v34
	s_delay_alu instid0(VALU_DEP_1) | instskip(SKIP_2) | instid1(VALU_DEP_1)
	v_cndmask_b32_e64 v13, v9, v35, s23
	ds_load_2addr_b32 v[9:10], v12 offset0:8 offset1:9
	v_lshlrev_b32_e32 v24, 16, v13
	v_cmp_lt_f32_e64 s23, v24, v36
	s_delay_alu instid0(VALU_DEP_1) | instskip(NEXT) | instid1(VALU_DEP_1)
	v_cndmask_b32_e64 v13, v13, v2, s23
	v_lshlrev_b32_e32 v24, 16, v13
	s_delay_alu instid0(VALU_DEP_1) | instskip(NEXT) | instid1(VALU_DEP_1)
	v_cmp_lt_f32_e64 s23, v24, v37
	v_cndmask_b32_e64 v24, v13, v38, s23
	ds_load_b32 v13, v12 offset:40
	s_waitcnt lgkmcnt(1)
	v_lshlrev_b32_e32 v40, 16, v9
	v_and_b32_e32 v42, 0xffff0000, v9
	v_lshrrev_b32_e32 v43, 16, v9
	v_lshlrev_b32_e32 v39, 16, v24
	v_lshlrev_b32_e32 v44, 16, v10
	v_lshrrev_b32_e32 v41, 16, v10
	s_waitcnt lgkmcnt(0)
	s_barrier
	v_cmp_lt_f32_e64 s23, v39, v40
	buffer_gl0_inv
	v_cndmask_b32_e64 v24, v24, v9, s23
	s_delay_alu instid0(VALU_DEP_1) | instskip(SKIP_1) | instid1(VALU_DEP_2)
	v_lshlrev_b32_e32 v39, 16, v24
	v_lshrrev_b32_e32 v49, 16, v13
	v_cmp_lt_f32_e64 s23, v39, v42
	s_delay_alu instid0(VALU_DEP_1) | instskip(NEXT) | instid1(VALU_DEP_1)
	v_cndmask_b32_e64 v24, v24, v43, s23
	v_lshlrev_b32_e32 v39, 16, v24
	s_delay_alu instid0(VALU_DEP_1) | instskip(SKIP_1) | instid1(VALU_DEP_2)
	v_cmp_lt_f32_e64 s23, v39, v44
	v_and_b32_e32 v39, 0xffff0000, v10
	v_cndmask_b32_e64 v24, v24, v10, s23
	s_delay_alu instid0(VALU_DEP_1) | instskip(NEXT) | instid1(VALU_DEP_1)
	v_lshlrev_b32_e32 v45, 16, v24
	v_cmp_lt_f32_e64 s23, v45, v39
	s_delay_alu instid0(VALU_DEP_1) | instskip(SKIP_1) | instid1(VALU_DEP_2)
	v_cndmask_b32_e64 v45, v24, v41, s23
	v_lshlrev_b32_e32 v24, 16, v13
	v_lshlrev_b32_e32 v46, 16, v45
	s_delay_alu instid0(VALU_DEP_1) | instskip(SKIP_2) | instid1(VALU_DEP_3)
	v_cmp_lt_f32_e64 s23, v46, v24
	v_and_b32_e32 v46, 2, v47
	v_and_b32_e32 v47, 0xffff0000, v13
	v_cndmask_b32_e64 v45, v45, v13, s23
	s_delay_alu instid0(VALU_DEP_3) | instskip(NEXT) | instid1(VALU_DEP_2)
	v_add_nc_u32_e32 v46, v11, v46
	v_lshlrev_b32_e32 v48, 16, v45
	s_delay_alu instid0(VALU_DEP_1) | instskip(NEXT) | instid1(VALU_DEP_1)
	v_cmp_lt_f32_e64 s23, v48, v47
	v_cndmask_b32_e64 v45, v45, v49, s23
	ds_store_b16 v46, v45
	s_waitcnt lgkmcnt(0)
	s_barrier
	buffer_gl0_inv
	v_cmpx_gt_u32_e32 32, v0
	s_cbranch_execz .LBB81_46
; %bb.45:
	v_lshrrev_b32_e32 v46, 3, v0
	v_mbcnt_lo_u32_b32 v56, -1, 0
	s_delay_alu instid0(VALU_DEP_2) | instskip(NEXT) | instid1(VALU_DEP_1)
	v_and_b32_e32 v46, 6, v46
	v_lshl_or_b32 v46, v0, 2, v46
	ds_load_b32 v47, v46
	s_waitcnt lgkmcnt(0)
	v_and_b32_e32 v48, 0xffff0000, v47
	v_lshlrev_b32_e32 v49, 16, v47
	v_lshrrev_b32_e32 v50, 16, v47
	s_delay_alu instid0(VALU_DEP_2) | instskip(NEXT) | instid1(VALU_DEP_1)
	v_cmp_lt_f32_e64 s23, v49, v48
	v_cndmask_b32_e64 v51, v47, v50, s23
	s_delay_alu instid0(VALU_DEP_1) | instskip(SKIP_1) | instid1(VALU_DEP_2)
	v_and_b32_e32 v52, 0xffff, v51
	v_lshlrev_b32_e32 v54, 16, v51
	v_mov_b32_dpp v53, v52 row_shr:1 row_mask:0xf bank_mask:0xf
	s_delay_alu instid0(VALU_DEP_1) | instskip(NEXT) | instid1(VALU_DEP_1)
	v_lshlrev_b32_e32 v55, 16, v53
	v_cmp_lt_f32_e64 s23, v55, v54
	v_and_b32_e32 v54, 15, v56
	s_delay_alu instid0(VALU_DEP_2) | instskip(NEXT) | instid1(VALU_DEP_2)
	v_cndmask_b32_e64 v53, v53, v51, s23
	v_cmp_eq_u32_e64 s23, 0, v54
	s_delay_alu instid0(VALU_DEP_2) | instskip(NEXT) | instid1(VALU_DEP_2)
	v_and_b32_e32 v55, 0xffff, v53
	v_cndmask_b32_e64 v51, v53, v51, s23
	s_delay_alu instid0(VALU_DEP_2) | instskip(NEXT) | instid1(VALU_DEP_1)
	v_cndmask_b32_e64 v52, v55, v52, s23
	v_mov_b32_dpp v55, v52 row_shr:2 row_mask:0xf bank_mask:0xf
	v_lshlrev_b32_e32 v57, 16, v52
	s_delay_alu instid0(VALU_DEP_2) | instskip(NEXT) | instid1(VALU_DEP_1)
	v_lshlrev_b32_e32 v58, 16, v55
	v_cmp_lt_f32_e64 s23, v58, v57
	s_delay_alu instid0(VALU_DEP_1) | instskip(SKIP_1) | instid1(VALU_DEP_2)
	v_cndmask_b32_e64 v53, v55, v51, s23
	v_cmp_lt_u32_e64 s23, 1, v54
	v_and_b32_e32 v55, 0xffff, v53
	s_delay_alu instid0(VALU_DEP_2) | instskip(NEXT) | instid1(VALU_DEP_2)
	v_cndmask_b32_e64 v51, v51, v53, s23
	v_cndmask_b32_e64 v52, v52, v55, s23
	s_delay_alu instid0(VALU_DEP_1) | instskip(SKIP_1) | instid1(VALU_DEP_2)
	v_mov_b32_dpp v55, v52 row_shr:4 row_mask:0xf bank_mask:0xf
	v_lshlrev_b32_e32 v57, 16, v52
	v_lshlrev_b32_e32 v58, 16, v55
	s_delay_alu instid0(VALU_DEP_1) | instskip(NEXT) | instid1(VALU_DEP_1)
	v_cmp_lt_f32_e64 s23, v58, v57
	v_cndmask_b32_e64 v53, v55, v51, s23
	v_cmp_lt_u32_e64 s23, 3, v54
	s_delay_alu instid0(VALU_DEP_2) | instskip(NEXT) | instid1(VALU_DEP_2)
	v_and_b32_e32 v55, 0xffff, v53
	v_cndmask_b32_e64 v51, v51, v53, s23
	s_delay_alu instid0(VALU_DEP_2) | instskip(NEXT) | instid1(VALU_DEP_1)
	v_cndmask_b32_e64 v52, v52, v55, s23
	v_mov_b32_dpp v55, v52 row_shr:8 row_mask:0xf bank_mask:0xf
	v_lshlrev_b32_e32 v57, 16, v52
	s_delay_alu instid0(VALU_DEP_2) | instskip(NEXT) | instid1(VALU_DEP_1)
	v_lshlrev_b32_e32 v58, 16, v55
	v_cmp_lt_f32_e64 s23, v58, v57
	v_add_nc_u32_e32 v58, -1, v56
	s_delay_alu instid0(VALU_DEP_2) | instskip(SKIP_1) | instid1(VALU_DEP_2)
	v_cndmask_b32_e64 v53, v55, v51, s23
	v_cmp_lt_u32_e64 s23, 7, v54
	v_and_b32_e32 v55, 0xffff, v53
	s_delay_alu instid0(VALU_DEP_2) | instskip(NEXT) | instid1(VALU_DEP_2)
	v_cndmask_b32_e64 v51, v51, v53, s23
	v_cndmask_b32_e64 v52, v52, v55, s23
	v_and_b32_e32 v55, 16, v56
	v_cmp_gt_i32_e64 s23, 0, v58
	ds_swizzle_b32 v54, v52 offset:swizzle(BROADCAST,32,15)
	v_lshlrev_b32_e32 v52, 16, v52
	v_cmp_eq_u32_e64 s24, 0, v55
	s_waitcnt lgkmcnt(0)
	v_lshlrev_b32_e32 v57, 16, v54
	s_delay_alu instid0(VALU_DEP_1) | instskip(SKIP_1) | instid1(VALU_DEP_2)
	v_cmp_lt_f32_e64 s25, v57, v52
	v_cndmask_b32_e64 v52, v58, v56, s23
	s_or_b32 s23, s24, s25
	s_delay_alu instid0(VALU_DEP_1) | instskip(SKIP_1) | instid1(VALU_DEP_1)
	v_lshlrev_b32_e32 v52, 2, v52
	v_cndmask_b32_e64 v51, v54, v51, s23
	v_and_b32_e32 v51, 0xffff, v51
	ds_bpermute_b32 v51, v52, v51
	s_waitcnt lgkmcnt(0)
	v_lshlrev_b32_e32 v52, 16, v51
	s_delay_alu instid0(VALU_DEP_1) | instskip(NEXT) | instid1(VALU_DEP_1)
	v_cmp_gt_f32_e64 s23, v49, v52
	v_cndmask_b32_e64 v47, v51, v47, s23
	v_cmp_eq_u32_e64 s23, 0, v0
	s_delay_alu instid0(VALU_DEP_1) | instskip(NEXT) | instid1(VALU_DEP_1)
	v_cndmask_b32_e64 v45, v47, v45, s23
	v_lshlrev_b32_e32 v47, 16, v45
	s_delay_alu instid0(VALU_DEP_1) | instskip(NEXT) | instid1(VALU_DEP_1)
	v_cmp_gt_f32_e64 s23, v48, v47
	v_cndmask_b32_e64 v47, v45, v50, s23
	ds_store_b16 v46, v45
	ds_store_b16 v46, v47 offset:2
.LBB81_46:
	s_or_b32 exec_lo, exec_lo, s26
	s_load_b32 s24, s[0:1], 0x10
	s_mov_b32 s25, exec_lo
	s_waitcnt lgkmcnt(0)
	s_barrier
	buffer_gl0_inv
	v_mov_b32_e32 v45, s24
	v_cmpx_ne_u32_e32 0, v0
	s_cbranch_execz .LBB81_48
; %bb.47:
	v_add_nc_u32_e32 v45, -1, v0
	s_lshl_b32 s23, s24, 16
	s_delay_alu instid0(VALU_DEP_1) | instskip(NEXT) | instid1(VALU_DEP_1)
	v_lshrrev_b32_e32 v46, 5, v45
	v_add_lshl_u32 v45, v46, v45, 1
	ds_load_u16 v45, v45
	s_waitcnt lgkmcnt(0)
	v_lshlrev_b32_e32 v46, 16, v45
	s_delay_alu instid0(VALU_DEP_1) | instskip(NEXT) | instid1(VALU_DEP_1)
	v_cmp_lt_f32_e64 s23, s23, v46
	v_cndmask_b32_e64 v45, s24, v45, s23
.LBB81_48:
	s_or_b32 exec_lo, exec_lo, s25
	s_delay_alu instid0(VALU_DEP_1)
	v_lshlrev_b32_e32 v46, 16, v45
	s_load_b64 s[24:25], s[0:1], 0x18
	v_mad_i32_i24 v0, 0xffffffd6, v0, v12
	s_waitcnt lgkmcnt(0)
	s_barrier
	v_cmp_gt_f32_e64 s23, v16, v46
	buffer_gl0_inv
	v_cndmask_b32_e64 v7, v45, v7, s23
	s_delay_alu instid0(VALU_DEP_1) | instskip(NEXT) | instid1(VALU_DEP_1)
	v_lshlrev_b32_e32 v16, 16, v7
	v_cmp_gt_f32_e64 s23, v14, v16
	s_delay_alu instid0(VALU_DEP_1) | instskip(SKIP_1) | instid1(VALU_DEP_2)
	v_cndmask_b32_e64 v14, v7, v15, s23
	v_perm_b32 v7, v7, v45, 0x5040100
	v_lshlrev_b32_e32 v15, 16, v14
	s_delay_alu instid0(VALU_DEP_1) | instskip(NEXT) | instid1(VALU_DEP_1)
	v_cmp_gt_f32_e64 s23, v17, v15
	v_cndmask_b32_e64 v8, v14, v8, s23
	s_delay_alu instid0(VALU_DEP_1) | instskip(NEXT) | instid1(VALU_DEP_1)
	v_lshlrev_b32_e32 v15, 16, v8
	v_cmp_gt_f32_e64 s23, v18, v15
	s_delay_alu instid0(VALU_DEP_1) | instskip(SKIP_1) | instid1(VALU_DEP_2)
	v_cndmask_b32_e64 v15, v8, v19, s23
	v_perm_b32 v8, v8, v14, 0x5040100
	v_lshlrev_b32_e32 v16, 16, v15
	s_delay_alu instid0(VALU_DEP_1) | instskip(NEXT) | instid1(VALU_DEP_1)
	v_cmp_gt_f32_e64 s23, v20, v16
	;; [unrolled: 10-line block ×10, first 2 shown]
	v_cndmask_b32_e64 v13, v23, v13, s0
	s_delay_alu instid0(VALU_DEP_1)
	v_perm_b32 v13, v13, v23, 0x5040100
	ds_store_2addr_b32 v12, v7, v8 offset1:1
	ds_store_2addr_b32 v12, v5, v6 offset0:2 offset1:3
	ds_store_2addr_b32 v12, v3, v4 offset0:4 offset1:5
	;; [unrolled: 1-line block ×4, first 2 shown]
	ds_store_b32 v12, v13 offset:40
	s_waitcnt lgkmcnt(0)
	s_barrier
	buffer_gl0_inv
	ds_load_u16 v22, v0 offset:256
	ds_load_u16 v21, v0 offset:384
	ds_load_u16 v20, v0 offset:512
	ds_load_u16 v19, v0 offset:640
	ds_load_u16 v18, v0 offset:768
	ds_load_u16 v17, v0 offset:896
	ds_load_u16 v16, v0 offset:1024
	ds_load_u16 v15, v0 offset:1152
	ds_load_u16 v14, v0 offset:1280
	ds_load_u16 v13, v0 offset:1408
	ds_load_u16 v12, v0 offset:1536
	ds_load_u16 v10, v0 offset:1664
	ds_load_u16 v9, v0 offset:1792
	ds_load_u16 v8, v0 offset:1920
	ds_load_u16 v23, v0 offset:128
	ds_load_u16 v7, v11 offset:2048
	ds_load_u16 v6, v0 offset:2176
	ds_load_u16 v5, v0 offset:2304
	ds_load_u16 v4, v0 offset:2432
	ds_load_u16 v3, v0 offset:2560
	ds_load_u16 v2, v0 offset:2688
	v_add_co_u32 v0, s0, s24, v11
	s_delay_alu instid0(VALU_DEP_1)
	v_add_co_ci_u32_e64 v1, null, s25, 0, s0
	s_and_saveexec_b32 s0, vcc_lo
	s_cbranch_execnz .LBB81_71
; %bb.49:
	s_or_b32 exec_lo, exec_lo, s0
	s_and_saveexec_b32 s0, s2
	s_cbranch_execnz .LBB81_72
.LBB81_50:
	s_or_b32 exec_lo, exec_lo, s0
	s_and_saveexec_b32 s0, s3
	s_cbranch_execnz .LBB81_73
.LBB81_51:
	s_or_b32 exec_lo, exec_lo, s0
	s_and_saveexec_b32 s0, s4
	s_cbranch_execnz .LBB81_74
.LBB81_52:
	s_or_b32 exec_lo, exec_lo, s0
	s_and_saveexec_b32 s0, s5
	s_cbranch_execnz .LBB81_75
.LBB81_53:
	s_or_b32 exec_lo, exec_lo, s0
	s_and_saveexec_b32 s0, s6
	s_cbranch_execnz .LBB81_76
.LBB81_54:
	s_or_b32 exec_lo, exec_lo, s0
	s_and_saveexec_b32 s0, s7
	s_cbranch_execnz .LBB81_77
.LBB81_55:
	s_or_b32 exec_lo, exec_lo, s0
	s_and_saveexec_b32 s0, s8
	s_cbranch_execnz .LBB81_78
.LBB81_56:
	s_or_b32 exec_lo, exec_lo, s0
	s_and_saveexec_b32 s0, s9
	s_cbranch_execnz .LBB81_79
.LBB81_57:
	s_or_b32 exec_lo, exec_lo, s0
	s_and_saveexec_b32 s0, s10
	s_cbranch_execnz .LBB81_80
.LBB81_58:
	s_or_b32 exec_lo, exec_lo, s0
	s_and_saveexec_b32 s0, s11
	s_cbranch_execnz .LBB81_81
.LBB81_59:
	s_or_b32 exec_lo, exec_lo, s0
	s_and_saveexec_b32 s0, s12
	s_cbranch_execnz .LBB81_82
.LBB81_60:
	s_or_b32 exec_lo, exec_lo, s0
	s_and_saveexec_b32 s0, s13
	s_cbranch_execnz .LBB81_83
.LBB81_61:
	s_or_b32 exec_lo, exec_lo, s0
	s_and_saveexec_b32 s0, s14
	s_cbranch_execnz .LBB81_84
.LBB81_62:
	s_or_b32 exec_lo, exec_lo, s0
	s_and_saveexec_b32 s0, s15
	s_cbranch_execnz .LBB81_85
.LBB81_63:
	s_or_b32 exec_lo, exec_lo, s0
	s_and_saveexec_b32 s0, s16
	s_cbranch_execnz .LBB81_86
.LBB81_64:
	s_or_b32 exec_lo, exec_lo, s0
	s_and_saveexec_b32 s0, s17
	s_cbranch_execnz .LBB81_87
.LBB81_65:
	s_or_b32 exec_lo, exec_lo, s0
	s_and_saveexec_b32 s0, s18
	s_cbranch_execnz .LBB81_88
.LBB81_66:
	s_or_b32 exec_lo, exec_lo, s0
	s_and_saveexec_b32 s0, s19
	s_cbranch_execnz .LBB81_89
.LBB81_67:
	s_or_b32 exec_lo, exec_lo, s0
	s_and_saveexec_b32 s0, s20
	s_cbranch_execnz .LBB81_90
.LBB81_68:
	s_or_b32 exec_lo, exec_lo, s0
	s_and_saveexec_b32 s0, s21
	s_cbranch_execnz .LBB81_91
.LBB81_69:
	s_or_b32 exec_lo, exec_lo, s0
	s_and_saveexec_b32 s0, s22
	s_cbranch_execnz .LBB81_92
.LBB81_70:
	s_nop 0
	s_sendmsg sendmsg(MSG_DEALLOC_VGPRS)
	s_endpgm
.LBB81_71:
	ds_load_u16 v11, v11
	s_waitcnt lgkmcnt(0)
	global_store_b16 v[0:1], v11, off
	s_or_b32 exec_lo, exec_lo, s0
	s_and_saveexec_b32 s0, s2
	s_cbranch_execz .LBB81_50
.LBB81_72:
	s_waitcnt lgkmcnt(6)
	global_store_b16 v[0:1], v23, off offset:128
	s_or_b32 exec_lo, exec_lo, s0
	s_and_saveexec_b32 s0, s3
	s_cbranch_execz .LBB81_51
.LBB81_73:
	s_waitcnt lgkmcnt(20)
	global_store_b16 v[0:1], v22, off offset:256
	s_or_b32 exec_lo, exec_lo, s0
	s_and_saveexec_b32 s0, s4
	s_cbranch_execz .LBB81_52
.LBB81_74:
	s_waitcnt lgkmcnt(19)
	global_store_b16 v[0:1], v21, off offset:384
	s_or_b32 exec_lo, exec_lo, s0
	s_and_saveexec_b32 s0, s5
	s_cbranch_execz .LBB81_53
.LBB81_75:
	s_waitcnt lgkmcnt(18)
	global_store_b16 v[0:1], v20, off offset:512
	s_or_b32 exec_lo, exec_lo, s0
	s_and_saveexec_b32 s0, s6
	s_cbranch_execz .LBB81_54
.LBB81_76:
	s_waitcnt lgkmcnt(17)
	global_store_b16 v[0:1], v19, off offset:640
	s_or_b32 exec_lo, exec_lo, s0
	s_and_saveexec_b32 s0, s7
	s_cbranch_execz .LBB81_55
.LBB81_77:
	s_waitcnt lgkmcnt(16)
	global_store_b16 v[0:1], v18, off offset:768
	s_or_b32 exec_lo, exec_lo, s0
	s_and_saveexec_b32 s0, s8
	s_cbranch_execz .LBB81_56
.LBB81_78:
	s_waitcnt lgkmcnt(15)
	global_store_b16 v[0:1], v17, off offset:896
	s_or_b32 exec_lo, exec_lo, s0
	s_and_saveexec_b32 s0, s9
	s_cbranch_execz .LBB81_57
.LBB81_79:
	s_waitcnt lgkmcnt(14)
	global_store_b16 v[0:1], v16, off offset:1024
	s_or_b32 exec_lo, exec_lo, s0
	s_and_saveexec_b32 s0, s10
	s_cbranch_execz .LBB81_58
.LBB81_80:
	s_waitcnt lgkmcnt(13)
	global_store_b16 v[0:1], v15, off offset:1152
	s_or_b32 exec_lo, exec_lo, s0
	s_and_saveexec_b32 s0, s11
	s_cbranch_execz .LBB81_59
.LBB81_81:
	s_waitcnt lgkmcnt(12)
	global_store_b16 v[0:1], v14, off offset:1280
	s_or_b32 exec_lo, exec_lo, s0
	s_and_saveexec_b32 s0, s12
	s_cbranch_execz .LBB81_60
.LBB81_82:
	s_waitcnt lgkmcnt(11)
	global_store_b16 v[0:1], v13, off offset:1408
	s_or_b32 exec_lo, exec_lo, s0
	s_and_saveexec_b32 s0, s13
	s_cbranch_execz .LBB81_61
.LBB81_83:
	s_waitcnt lgkmcnt(10)
	global_store_b16 v[0:1], v12, off offset:1536
	s_or_b32 exec_lo, exec_lo, s0
	s_and_saveexec_b32 s0, s14
	s_cbranch_execz .LBB81_62
.LBB81_84:
	s_waitcnt lgkmcnt(9)
	global_store_b16 v[0:1], v10, off offset:1664
	s_or_b32 exec_lo, exec_lo, s0
	s_and_saveexec_b32 s0, s15
	s_cbranch_execz .LBB81_63
.LBB81_85:
	s_waitcnt lgkmcnt(8)
	global_store_b16 v[0:1], v9, off offset:1792
	s_or_b32 exec_lo, exec_lo, s0
	s_and_saveexec_b32 s0, s16
	s_cbranch_execz .LBB81_64
.LBB81_86:
	s_waitcnt lgkmcnt(7)
	global_store_b16 v[0:1], v8, off offset:1920
	s_or_b32 exec_lo, exec_lo, s0
	s_and_saveexec_b32 s0, s17
	s_cbranch_execz .LBB81_65
.LBB81_87:
	s_waitcnt lgkmcnt(5)
	global_store_b16 v[0:1], v7, off offset:2048
	s_or_b32 exec_lo, exec_lo, s0
	s_and_saveexec_b32 s0, s18
	s_cbranch_execz .LBB81_66
.LBB81_88:
	s_waitcnt lgkmcnt(4)
	global_store_b16 v[0:1], v6, off offset:2176
	s_or_b32 exec_lo, exec_lo, s0
	s_and_saveexec_b32 s0, s19
	s_cbranch_execz .LBB81_67
.LBB81_89:
	s_waitcnt lgkmcnt(3)
	global_store_b16 v[0:1], v5, off offset:2304
	s_or_b32 exec_lo, exec_lo, s0
	s_and_saveexec_b32 s0, s20
	s_cbranch_execz .LBB81_68
.LBB81_90:
	s_waitcnt lgkmcnt(2)
	global_store_b16 v[0:1], v4, off offset:2432
	s_or_b32 exec_lo, exec_lo, s0
	s_and_saveexec_b32 s0, s21
	s_cbranch_execz .LBB81_69
.LBB81_91:
	s_waitcnt lgkmcnt(1)
	global_store_b16 v[0:1], v3, off offset:2560
	s_or_b32 exec_lo, exec_lo, s0
	s_and_saveexec_b32 s0, s22
	s_cbranch_execz .LBB81_70
.LBB81_92:
	s_waitcnt lgkmcnt(0)
	global_store_b16 v[0:1], v2, off offset:2688
	s_nop 0
	s_sendmsg sendmsg(MSG_DEALLOC_VGPRS)
	s_endpgm
	.section	.rodata,"a",@progbits
	.p2align	6, 0x0
	.amdhsa_kernel _ZN7rocprim6detail18single_scan_kernelILb1ENS0_19wrapped_scan_configINS_14default_configE12hip_bfloat16EEPS4_S6_N6hipcub3MaxES4_S4_EEvT1_mT4_T2_T3_
		.amdhsa_group_segment_fixed_size 2816
		.amdhsa_private_segment_fixed_size 0
		.amdhsa_kernarg_size 36
		.amdhsa_user_sgpr_count 15
		.amdhsa_user_sgpr_dispatch_ptr 0
		.amdhsa_user_sgpr_queue_ptr 0
		.amdhsa_user_sgpr_kernarg_segment_ptr 1
		.amdhsa_user_sgpr_dispatch_id 0
		.amdhsa_user_sgpr_private_segment_size 0
		.amdhsa_wavefront_size32 1
		.amdhsa_uses_dynamic_stack 0
		.amdhsa_enable_private_segment 0
		.amdhsa_system_sgpr_workgroup_id_x 1
		.amdhsa_system_sgpr_workgroup_id_y 0
		.amdhsa_system_sgpr_workgroup_id_z 0
		.amdhsa_system_sgpr_workgroup_info 0
		.amdhsa_system_vgpr_workitem_id 0
		.amdhsa_next_free_vgpr 59
		.amdhsa_next_free_sgpr 27
		.amdhsa_reserve_vcc 1
		.amdhsa_float_round_mode_32 0
		.amdhsa_float_round_mode_16_64 0
		.amdhsa_float_denorm_mode_32 3
		.amdhsa_float_denorm_mode_16_64 3
		.amdhsa_dx10_clamp 1
		.amdhsa_ieee_mode 1
		.amdhsa_fp16_overflow 0
		.amdhsa_workgroup_processor_mode 1
		.amdhsa_memory_ordered 1
		.amdhsa_forward_progress 0
		.amdhsa_shared_vgpr_count 0
		.amdhsa_exception_fp_ieee_invalid_op 0
		.amdhsa_exception_fp_denorm_src 0
		.amdhsa_exception_fp_ieee_div_zero 0
		.amdhsa_exception_fp_ieee_overflow 0
		.amdhsa_exception_fp_ieee_underflow 0
		.amdhsa_exception_fp_ieee_inexact 0
		.amdhsa_exception_int_div_zero 0
	.end_amdhsa_kernel
	.section	.text._ZN7rocprim6detail18single_scan_kernelILb1ENS0_19wrapped_scan_configINS_14default_configE12hip_bfloat16EEPS4_S6_N6hipcub3MaxES4_S4_EEvT1_mT4_T2_T3_,"axG",@progbits,_ZN7rocprim6detail18single_scan_kernelILb1ENS0_19wrapped_scan_configINS_14default_configE12hip_bfloat16EEPS4_S6_N6hipcub3MaxES4_S4_EEvT1_mT4_T2_T3_,comdat
.Lfunc_end81:
	.size	_ZN7rocprim6detail18single_scan_kernelILb1ENS0_19wrapped_scan_configINS_14default_configE12hip_bfloat16EEPS4_S6_N6hipcub3MaxES4_S4_EEvT1_mT4_T2_T3_, .Lfunc_end81-_ZN7rocprim6detail18single_scan_kernelILb1ENS0_19wrapped_scan_configINS_14default_configE12hip_bfloat16EEPS4_S6_N6hipcub3MaxES4_S4_EEvT1_mT4_T2_T3_
                                        ; -- End function
	.section	.AMDGPU.csdata,"",@progbits
; Kernel info:
; codeLenInByte = 4508
; NumSgprs: 29
; NumVgprs: 59
; ScratchSize: 0
; MemoryBound: 0
; FloatMode: 240
; IeeeMode: 1
; LDSByteSize: 2816 bytes/workgroup (compile time only)
; SGPRBlocks: 3
; VGPRBlocks: 7
; NumSGPRsForWavesPerEU: 29
; NumVGPRsForWavesPerEU: 59
; Occupancy: 16
; WaveLimiterHint : 0
; COMPUTE_PGM_RSRC2:SCRATCH_EN: 0
; COMPUTE_PGM_RSRC2:USER_SGPR: 15
; COMPUTE_PGM_RSRC2:TRAP_HANDLER: 0
; COMPUTE_PGM_RSRC2:TGID_X_EN: 1
; COMPUTE_PGM_RSRC2:TGID_Y_EN: 0
; COMPUTE_PGM_RSRC2:TGID_Z_EN: 0
; COMPUTE_PGM_RSRC2:TIDIG_COMP_CNT: 0
	.section	.text._ZN7rocprim6detail20lookback_scan_kernelILNS0_25lookback_scan_determinismE0ELb1ENS0_19wrapped_scan_configINS_14default_configEiEEN6hipcub22TransformInputIteratorIiNS6_6CastOpIiEEPilEEPdNS6_3SumEiiNS0_19lookback_scan_stateIiLb1ELb1EEEEEvT2_T3_mT5_T4_T7_jPT6_SM_bb,"axG",@progbits,_ZN7rocprim6detail20lookback_scan_kernelILNS0_25lookback_scan_determinismE0ELb1ENS0_19wrapped_scan_configINS_14default_configEiEEN6hipcub22TransformInputIteratorIiNS6_6CastOpIiEEPilEEPdNS6_3SumEiiNS0_19lookback_scan_stateIiLb1ELb1EEEEEvT2_T3_mT5_T4_T7_jPT6_SM_bb,comdat
	.protected	_ZN7rocprim6detail20lookback_scan_kernelILNS0_25lookback_scan_determinismE0ELb1ENS0_19wrapped_scan_configINS_14default_configEiEEN6hipcub22TransformInputIteratorIiNS6_6CastOpIiEEPilEEPdNS6_3SumEiiNS0_19lookback_scan_stateIiLb1ELb1EEEEEvT2_T3_mT5_T4_T7_jPT6_SM_bb ; -- Begin function _ZN7rocprim6detail20lookback_scan_kernelILNS0_25lookback_scan_determinismE0ELb1ENS0_19wrapped_scan_configINS_14default_configEiEEN6hipcub22TransformInputIteratorIiNS6_6CastOpIiEEPilEEPdNS6_3SumEiiNS0_19lookback_scan_stateIiLb1ELb1EEEEEvT2_T3_mT5_T4_T7_jPT6_SM_bb
	.globl	_ZN7rocprim6detail20lookback_scan_kernelILNS0_25lookback_scan_determinismE0ELb1ENS0_19wrapped_scan_configINS_14default_configEiEEN6hipcub22TransformInputIteratorIiNS6_6CastOpIiEEPilEEPdNS6_3SumEiiNS0_19lookback_scan_stateIiLb1ELb1EEEEEvT2_T3_mT5_T4_T7_jPT6_SM_bb
	.p2align	8
	.type	_ZN7rocprim6detail20lookback_scan_kernelILNS0_25lookback_scan_determinismE0ELb1ENS0_19wrapped_scan_configINS_14default_configEiEEN6hipcub22TransformInputIteratorIiNS6_6CastOpIiEEPilEEPdNS6_3SumEiiNS0_19lookback_scan_stateIiLb1ELb1EEEEEvT2_T3_mT5_T4_T7_jPT6_SM_bb,@function
_ZN7rocprim6detail20lookback_scan_kernelILNS0_25lookback_scan_determinismE0ELb1ENS0_19wrapped_scan_configINS_14default_configEiEEN6hipcub22TransformInputIteratorIiNS6_6CastOpIiEEPilEEPdNS6_3SumEiiNS0_19lookback_scan_stateIiLb1ELb1EEEEEvT2_T3_mT5_T4_T7_jPT6_SM_bb: ; @_ZN7rocprim6detail20lookback_scan_kernelILNS0_25lookback_scan_determinismE0ELb1ENS0_19wrapped_scan_configINS_14default_configEiEEN6hipcub22TransformInputIteratorIiNS6_6CastOpIiEEPilEEPdNS6_3SumEiiNS0_19lookback_scan_stateIiLb1ELb1EEEEEvT2_T3_mT5_T4_T7_jPT6_SM_bb
; %bb.0:
	s_endpgm
	.section	.rodata,"a",@progbits
	.p2align	6, 0x0
	.amdhsa_kernel _ZN7rocprim6detail20lookback_scan_kernelILNS0_25lookback_scan_determinismE0ELb1ENS0_19wrapped_scan_configINS_14default_configEiEEN6hipcub22TransformInputIteratorIiNS6_6CastOpIiEEPilEEPdNS6_3SumEiiNS0_19lookback_scan_stateIiLb1ELb1EEEEEvT2_T3_mT5_T4_T7_jPT6_SM_bb
		.amdhsa_group_segment_fixed_size 0
		.amdhsa_private_segment_fixed_size 0
		.amdhsa_kernarg_size 76
		.amdhsa_user_sgpr_count 15
		.amdhsa_user_sgpr_dispatch_ptr 0
		.amdhsa_user_sgpr_queue_ptr 0
		.amdhsa_user_sgpr_kernarg_segment_ptr 1
		.amdhsa_user_sgpr_dispatch_id 0
		.amdhsa_user_sgpr_private_segment_size 0
		.amdhsa_wavefront_size32 1
		.amdhsa_uses_dynamic_stack 0
		.amdhsa_enable_private_segment 0
		.amdhsa_system_sgpr_workgroup_id_x 1
		.amdhsa_system_sgpr_workgroup_id_y 0
		.amdhsa_system_sgpr_workgroup_id_z 0
		.amdhsa_system_sgpr_workgroup_info 0
		.amdhsa_system_vgpr_workitem_id 0
		.amdhsa_next_free_vgpr 1
		.amdhsa_next_free_sgpr 1
		.amdhsa_reserve_vcc 0
		.amdhsa_float_round_mode_32 0
		.amdhsa_float_round_mode_16_64 0
		.amdhsa_float_denorm_mode_32 3
		.amdhsa_float_denorm_mode_16_64 3
		.amdhsa_dx10_clamp 1
		.amdhsa_ieee_mode 1
		.amdhsa_fp16_overflow 0
		.amdhsa_workgroup_processor_mode 1
		.amdhsa_memory_ordered 1
		.amdhsa_forward_progress 0
		.amdhsa_shared_vgpr_count 0
		.amdhsa_exception_fp_ieee_invalid_op 0
		.amdhsa_exception_fp_denorm_src 0
		.amdhsa_exception_fp_ieee_div_zero 0
		.amdhsa_exception_fp_ieee_overflow 0
		.amdhsa_exception_fp_ieee_underflow 0
		.amdhsa_exception_fp_ieee_inexact 0
		.amdhsa_exception_int_div_zero 0
	.end_amdhsa_kernel
	.section	.text._ZN7rocprim6detail20lookback_scan_kernelILNS0_25lookback_scan_determinismE0ELb1ENS0_19wrapped_scan_configINS_14default_configEiEEN6hipcub22TransformInputIteratorIiNS6_6CastOpIiEEPilEEPdNS6_3SumEiiNS0_19lookback_scan_stateIiLb1ELb1EEEEEvT2_T3_mT5_T4_T7_jPT6_SM_bb,"axG",@progbits,_ZN7rocprim6detail20lookback_scan_kernelILNS0_25lookback_scan_determinismE0ELb1ENS0_19wrapped_scan_configINS_14default_configEiEEN6hipcub22TransformInputIteratorIiNS6_6CastOpIiEEPilEEPdNS6_3SumEiiNS0_19lookback_scan_stateIiLb1ELb1EEEEEvT2_T3_mT5_T4_T7_jPT6_SM_bb,comdat
.Lfunc_end82:
	.size	_ZN7rocprim6detail20lookback_scan_kernelILNS0_25lookback_scan_determinismE0ELb1ENS0_19wrapped_scan_configINS_14default_configEiEEN6hipcub22TransformInputIteratorIiNS6_6CastOpIiEEPilEEPdNS6_3SumEiiNS0_19lookback_scan_stateIiLb1ELb1EEEEEvT2_T3_mT5_T4_T7_jPT6_SM_bb, .Lfunc_end82-_ZN7rocprim6detail20lookback_scan_kernelILNS0_25lookback_scan_determinismE0ELb1ENS0_19wrapped_scan_configINS_14default_configEiEEN6hipcub22TransformInputIteratorIiNS6_6CastOpIiEEPilEEPdNS6_3SumEiiNS0_19lookback_scan_stateIiLb1ELb1EEEEEvT2_T3_mT5_T4_T7_jPT6_SM_bb
                                        ; -- End function
	.section	.AMDGPU.csdata,"",@progbits
; Kernel info:
; codeLenInByte = 4
; NumSgprs: 0
; NumVgprs: 0
; ScratchSize: 0
; MemoryBound: 0
; FloatMode: 240
; IeeeMode: 1
; LDSByteSize: 0 bytes/workgroup (compile time only)
; SGPRBlocks: 0
; VGPRBlocks: 0
; NumSGPRsForWavesPerEU: 1
; NumVGPRsForWavesPerEU: 1
; Occupancy: 16
; WaveLimiterHint : 0
; COMPUTE_PGM_RSRC2:SCRATCH_EN: 0
; COMPUTE_PGM_RSRC2:USER_SGPR: 15
; COMPUTE_PGM_RSRC2:TRAP_HANDLER: 0
; COMPUTE_PGM_RSRC2:TGID_X_EN: 1
; COMPUTE_PGM_RSRC2:TGID_Y_EN: 0
; COMPUTE_PGM_RSRC2:TGID_Z_EN: 0
; COMPUTE_PGM_RSRC2:TIDIG_COMP_CNT: 0
	.section	.text._ZN7rocprim6detail20lookback_scan_kernelILNS0_25lookback_scan_determinismE0ELb1ENS0_19wrapped_scan_configINS_14default_configEiEEN6hipcub22TransformInputIteratorIiNS6_6CastOpIiEEPilEEPdNS6_3SumEiiNS0_19lookback_scan_stateIiLb0ELb1EEEEEvT2_T3_mT5_T4_T7_jPT6_SM_bb,"axG",@progbits,_ZN7rocprim6detail20lookback_scan_kernelILNS0_25lookback_scan_determinismE0ELb1ENS0_19wrapped_scan_configINS_14default_configEiEEN6hipcub22TransformInputIteratorIiNS6_6CastOpIiEEPilEEPdNS6_3SumEiiNS0_19lookback_scan_stateIiLb0ELb1EEEEEvT2_T3_mT5_T4_T7_jPT6_SM_bb,comdat
	.protected	_ZN7rocprim6detail20lookback_scan_kernelILNS0_25lookback_scan_determinismE0ELb1ENS0_19wrapped_scan_configINS_14default_configEiEEN6hipcub22TransformInputIteratorIiNS6_6CastOpIiEEPilEEPdNS6_3SumEiiNS0_19lookback_scan_stateIiLb0ELb1EEEEEvT2_T3_mT5_T4_T7_jPT6_SM_bb ; -- Begin function _ZN7rocprim6detail20lookback_scan_kernelILNS0_25lookback_scan_determinismE0ELb1ENS0_19wrapped_scan_configINS_14default_configEiEEN6hipcub22TransformInputIteratorIiNS6_6CastOpIiEEPilEEPdNS6_3SumEiiNS0_19lookback_scan_stateIiLb0ELb1EEEEEvT2_T3_mT5_T4_T7_jPT6_SM_bb
	.globl	_ZN7rocprim6detail20lookback_scan_kernelILNS0_25lookback_scan_determinismE0ELb1ENS0_19wrapped_scan_configINS_14default_configEiEEN6hipcub22TransformInputIteratorIiNS6_6CastOpIiEEPilEEPdNS6_3SumEiiNS0_19lookback_scan_stateIiLb0ELb1EEEEEvT2_T3_mT5_T4_T7_jPT6_SM_bb
	.p2align	8
	.type	_ZN7rocprim6detail20lookback_scan_kernelILNS0_25lookback_scan_determinismE0ELb1ENS0_19wrapped_scan_configINS_14default_configEiEEN6hipcub22TransformInputIteratorIiNS6_6CastOpIiEEPilEEPdNS6_3SumEiiNS0_19lookback_scan_stateIiLb0ELb1EEEEEvT2_T3_mT5_T4_T7_jPT6_SM_bb,@function
_ZN7rocprim6detail20lookback_scan_kernelILNS0_25lookback_scan_determinismE0ELb1ENS0_19wrapped_scan_configINS_14default_configEiEEN6hipcub22TransformInputIteratorIiNS6_6CastOpIiEEPilEEPdNS6_3SumEiiNS0_19lookback_scan_stateIiLb0ELb1EEEEEvT2_T3_mT5_T4_T7_jPT6_SM_bb: ; @_ZN7rocprim6detail20lookback_scan_kernelILNS0_25lookback_scan_determinismE0ELb1ENS0_19wrapped_scan_configINS_14default_configEiEEN6hipcub22TransformInputIteratorIiNS6_6CastOpIiEEPilEEPdNS6_3SumEiiNS0_19lookback_scan_stateIiLb0ELb1EEEEEvT2_T3_mT5_T4_T7_jPT6_SM_bb
; %bb.0:
	s_clause 0x2
	s_load_b32 s2, s[0:1], 0x30
	s_load_b128 s[4:7], s[0:1], 0x10
	s_load_b64 s[34:35], s[0:1], 0x0
	s_lshl_b32 s12, s15, 10
	s_mov_b32 s13, 0
	v_lshlrev_b32_e32 v19, 2, v0
	v_lshrrev_b32_e32 v20, 3, v0
	v_or_b32_e32 v47, 64, v0
	v_or_b32_e32 v46, 0x80, v0
	;; [unrolled: 1-line block ×13, first 2 shown]
	s_waitcnt lgkmcnt(0)
	s_add_i32 s2, s2, -1
	v_or_b32_e32 v34, 0x380, v0
	s_lshl_b32 s3, s2, 10
	v_or_b32_e32 v33, 0x3c0, v0
	s_sub_u32 s14, s6, s3
	s_subb_u32 s33, s7, 0
	s_cmp_lg_u32 s15, s2
	s_cselect_b32 s36, -1, 0
	s_lshl_b64 s[2:3], s[12:13], 2
	s_delay_alu instid0(SALU_CYCLE_1)
	s_add_u32 s6, s34, s2
	s_addc_u32 s7, s35, s3
	s_and_b32 vcc_lo, exec_lo, s36
	s_mov_b32 s3, -1
	s_cbranch_vccz .LBB83_2
; %bb.1:
	s_clause 0xf
	global_load_b32 v1, v19, s[6:7]
	global_load_b32 v2, v19, s[6:7] offset:256
	global_load_b32 v3, v19, s[6:7] offset:512
	;; [unrolled: 1-line block ×15, first 2 shown]
	v_lshrrev_b32_e32 v18, 3, v47
	v_lshrrev_b32_e32 v21, 3, v46
	;; [unrolled: 1-line block ×4, first 2 shown]
	v_and_b32_e32 v17, 4, v20
	v_lshrrev_b32_e32 v24, 3, v43
	v_lshrrev_b32_e32 v25, 3, v42
	;; [unrolled: 1-line block ×11, first 2 shown]
	v_and_b32_e32 v18, 12, v18
	v_and_b32_e32 v21, 20, v21
	v_and_b32_e32 v22, 28, v22
	v_and_b32_e32 v23, 36, v23
	v_add_nc_u32_e32 v17, v17, v19
	v_and_b32_e32 v24, 44, v24
	v_and_b32_e32 v25, 52, v25
	;; [unrolled: 1-line block ×11, first 2 shown]
	v_add_nc_u32_e32 v18, v18, v19
	v_add_nc_u32_e32 v21, v21, v19
	;; [unrolled: 1-line block ×4, first 2 shown]
	s_mov_b32 s3, s13
	v_add_nc_u32_e32 v24, v24, v19
	v_add_nc_u32_e32 v25, v25, v19
	;; [unrolled: 1-line block ×11, first 2 shown]
	s_waitcnt vmcnt(15)
	ds_store_b32 v17, v1
	s_waitcnt vmcnt(14)
	ds_store_b32 v18, v2 offset:256
	s_waitcnt vmcnt(13)
	ds_store_b32 v21, v3 offset:512
	;; [unrolled: 2-line block ×15, first 2 shown]
	s_waitcnt lgkmcnt(0)
	s_barrier
.LBB83_2:
	v_cmp_gt_u32_e64 s2, s14, v0
	s_and_not1_b32 vcc_lo, exec_lo, s3
	s_cbranch_vccnz .LBB83_21
; %bb.3:
	s_load_b32 s16, s[6:7], 0x0
	v_add_co_u32 v17, s3, s6, v19
	s_delay_alu instid0(VALU_DEP_1)
	v_add_co_ci_u32_e64 v18, null, s7, 0, s3
	s_waitcnt lgkmcnt(0)
	s_mov_b32 s17, s16
	s_mov_b32 s18, s16
	;; [unrolled: 1-line block ×15, first 2 shown]
	v_dual_mov_b32 v1, s16 :: v_dual_mov_b32 v2, s17
	v_dual_mov_b32 v3, s18 :: v_dual_mov_b32 v4, s19
	;; [unrolled: 1-line block ×8, first 2 shown]
	v_mov_b32_e32 v21, s16
	s_and_saveexec_b32 s3, s2
	s_cbranch_execnz .LBB83_132
; %bb.4:
	s_or_b32 exec_lo, exec_lo, s3
	s_delay_alu instid0(SALU_CYCLE_1)
	s_mov_b32 s2, exec_lo
	v_cmpx_gt_u32_e64 s14, v47
	s_cbranch_execnz .LBB83_133
.LBB83_5:
	s_or_b32 exec_lo, exec_lo, s2
	s_delay_alu instid0(SALU_CYCLE_1)
	s_mov_b32 s2, exec_lo
	v_cmpx_gt_u32_e64 s14, v46
	s_cbranch_execnz .LBB83_134
.LBB83_6:
	s_or_b32 exec_lo, exec_lo, s2
	s_delay_alu instid0(SALU_CYCLE_1)
	s_mov_b32 s2, exec_lo
	v_cmpx_gt_u32_e64 s14, v45
	s_cbranch_execnz .LBB83_135
.LBB83_7:
	s_or_b32 exec_lo, exec_lo, s2
	s_delay_alu instid0(SALU_CYCLE_1)
	s_mov_b32 s2, exec_lo
	v_cmpx_gt_u32_e64 s14, v44
	s_cbranch_execnz .LBB83_136
.LBB83_8:
	s_or_b32 exec_lo, exec_lo, s2
	s_delay_alu instid0(SALU_CYCLE_1)
	s_mov_b32 s2, exec_lo
	v_cmpx_gt_u32_e64 s14, v43
	s_cbranch_execnz .LBB83_137
.LBB83_9:
	s_or_b32 exec_lo, exec_lo, s2
	s_delay_alu instid0(SALU_CYCLE_1)
	s_mov_b32 s2, exec_lo
	v_cmpx_gt_u32_e64 s14, v42
	s_cbranch_execnz .LBB83_138
.LBB83_10:
	s_or_b32 exec_lo, exec_lo, s2
	s_delay_alu instid0(SALU_CYCLE_1)
	s_mov_b32 s2, exec_lo
	v_cmpx_gt_u32_e64 s14, v41
	s_cbranch_execnz .LBB83_139
.LBB83_11:
	s_or_b32 exec_lo, exec_lo, s2
	s_delay_alu instid0(SALU_CYCLE_1)
	s_mov_b32 s2, exec_lo
	v_cmpx_gt_u32_e64 s14, v40
	s_cbranch_execnz .LBB83_140
.LBB83_12:
	s_or_b32 exec_lo, exec_lo, s2
	s_delay_alu instid0(SALU_CYCLE_1)
	s_mov_b32 s2, exec_lo
	v_cmpx_gt_u32_e64 s14, v39
	s_cbranch_execnz .LBB83_141
.LBB83_13:
	s_or_b32 exec_lo, exec_lo, s2
	s_delay_alu instid0(SALU_CYCLE_1)
	s_mov_b32 s2, exec_lo
	v_cmpx_gt_u32_e64 s14, v38
	s_cbranch_execnz .LBB83_142
.LBB83_14:
	s_or_b32 exec_lo, exec_lo, s2
	s_delay_alu instid0(SALU_CYCLE_1)
	s_mov_b32 s2, exec_lo
	v_cmpx_gt_u32_e64 s14, v37
	s_cbranch_execnz .LBB83_143
.LBB83_15:
	s_or_b32 exec_lo, exec_lo, s2
	s_delay_alu instid0(SALU_CYCLE_1)
	s_mov_b32 s2, exec_lo
	v_cmpx_gt_u32_e64 s14, v36
	s_cbranch_execnz .LBB83_144
.LBB83_16:
	s_or_b32 exec_lo, exec_lo, s2
	s_delay_alu instid0(SALU_CYCLE_1)
	s_mov_b32 s2, exec_lo
	v_cmpx_gt_u32_e64 s14, v35
	s_cbranch_execnz .LBB83_145
.LBB83_17:
	s_or_b32 exec_lo, exec_lo, s2
	s_delay_alu instid0(SALU_CYCLE_1)
	s_mov_b32 s2, exec_lo
	v_cmpx_gt_u32_e64 s14, v34
	s_cbranch_execnz .LBB83_146
.LBB83_18:
	s_or_b32 exec_lo, exec_lo, s2
	s_delay_alu instid0(SALU_CYCLE_1)
	s_mov_b32 s2, exec_lo
	v_cmpx_gt_u32_e64 s14, v33
	s_cbranch_execz .LBB83_20
.LBB83_19:
	global_load_b32 v16, v[17:18], off offset:3840
.LBB83_20:
	s_or_b32 exec_lo, exec_lo, s2
	v_lshrrev_b32_e32 v1, 3, v47
	v_lshrrev_b32_e32 v17, 3, v46
	v_and_b32_e32 v18, 4, v20
	v_lshrrev_b32_e32 v20, 3, v45
	v_lshrrev_b32_e32 v22, 3, v44
	;; [unrolled: 1-line block ×5, first 2 shown]
	v_and_b32_e32 v1, 12, v1
	v_and_b32_e32 v17, 28, v17
	;; [unrolled: 1-line block ×4, first 2 shown]
	v_add_nc_u32_e32 v18, v18, v19
	v_and_b32_e32 v23, 60, v23
	v_and_b32_e32 v24, 60, v24
	;; [unrolled: 1-line block ×3, first 2 shown]
	v_add_nc_u32_e32 v1, v1, v19
	v_add_nc_u32_e32 v17, v17, v19
	v_lshrrev_b32_e32 v26, 3, v40
	v_add_nc_u32_e32 v20, v20, v19
	v_lshrrev_b32_e32 v27, 3, v39
	;; [unrolled: 2-line block ×3, first 2 shown]
	v_add_nc_u32_e32 v23, v23, v19
	v_add_nc_u32_e32 v24, v24, v19
	;; [unrolled: 1-line block ×3, first 2 shown]
	s_waitcnt vmcnt(0)
	ds_store_b32 v18, v21
	ds_store_b32 v1, v2 offset:256
	ds_store_b32 v17, v3 offset:512
	;; [unrolled: 1-line block ×7, first 2 shown]
	v_lshrrev_b32_e32 v4, 3, v37
	v_lshrrev_b32_e32 v5, 3, v36
	v_and_b32_e32 v26, 0x7c, v26
	v_lshrrev_b32_e32 v6, 3, v35
	v_lshrrev_b32_e32 v7, 3, v34
	;; [unrolled: 1-line block ×3, first 2 shown]
	v_and_b32_e32 v27, 0x7c, v27
	v_and_b32_e32 v28, 0x7c, v28
	;; [unrolled: 1-line block ×4, first 2 shown]
	v_add_nc_u32_e32 v1, v26, v19
	v_and_b32_e32 v6, 0x7c, v6
	v_and_b32_e32 v7, 0x7c, v7
	;; [unrolled: 1-line block ×3, first 2 shown]
	v_add_nc_u32_e32 v2, v27, v19
	v_add_nc_u32_e32 v3, v28, v19
	;; [unrolled: 1-line block ×7, first 2 shown]
	ds_store_b32 v1, v9 offset:2048
	ds_store_b32 v2, v10 offset:2304
	;; [unrolled: 1-line block ×8, first 2 shown]
	s_waitcnt lgkmcnt(0)
	s_barrier
.LBB83_21:
	v_lshlrev_b32_e32 v1, 4, v0
	v_lshrrev_b32_e32 v49, 1, v0
	buffer_gl0_inv
	s_load_b64 s[6:7], s[0:1], 0x28
	v_lshrrev_b32_e32 v48, 5, v0
	v_cmp_gt_u32_e32 vcc_lo, 32, v0
	v_add_lshl_u32 v1, v49, v1, 2
	s_cmp_lg_u32 s15, 0
	ds_load_2addr_b32 v[29:30], v1 offset1:1
	ds_load_2addr_b32 v[31:32], v1 offset0:2 offset1:3
	ds_load_2addr_b32 v[27:28], v1 offset0:4 offset1:5
	;; [unrolled: 1-line block ×7, first 2 shown]
	s_waitcnt lgkmcnt(0)
	s_barrier
	buffer_gl0_inv
	v_add_nc_u32_e32 v1, v30, v29
	s_delay_alu instid0(VALU_DEP_1)
	v_add3_u32 v50, v1, v31, v32
	s_cbranch_scc0 .LBB83_46
; %bb.22:
	s_delay_alu instid0(VALU_DEP_1) | instskip(SKIP_1) | instid1(VALU_DEP_2)
	v_add3_u32 v1, v50, v27, v28
	v_add_lshl_u32 v2, v48, v0, 2
	v_add3_u32 v1, v1, v25, v26
	s_delay_alu instid0(VALU_DEP_1) | instskip(NEXT) | instid1(VALU_DEP_1)
	v_add3_u32 v1, v1, v23, v24
	v_add3_u32 v1, v1, v21, v22
	s_delay_alu instid0(VALU_DEP_1) | instskip(NEXT) | instid1(VALU_DEP_1)
	v_add3_u32 v1, v1, v17, v18
	v_add3_u32 v1, v1, v19, v20
	ds_store_b32 v2, v1
	s_waitcnt lgkmcnt(0)
	s_barrier
	buffer_gl0_inv
	s_and_saveexec_b32 s3, vcc_lo
	s_cbranch_execz .LBB83_24
; %bb.23:
	v_lshrrev_b32_e32 v2, 2, v0
	v_mbcnt_lo_u32_b32 v5, -1, 0
	s_delay_alu instid0(VALU_DEP_2) | instskip(NEXT) | instid1(VALU_DEP_2)
	v_and_b32_e32 v2, 12, v2
	v_and_b32_e32 v7, 15, v5
	v_add_nc_u32_e32 v9, -1, v5
	s_delay_alu instid0(VALU_DEP_3) | instskip(NEXT) | instid1(VALU_DEP_3)
	v_lshl_or_b32 v4, v0, 3, v2
	v_cmp_ne_u32_e64 s2, 0, v7
	ds_load_2addr_b32 v[2:3], v4 offset1:1
	s_waitcnt lgkmcnt(0)
	v_add_nc_u32_e32 v6, v3, v2
	s_delay_alu instid0(VALU_DEP_1) | instskip(NEXT) | instid1(VALU_DEP_1)
	v_mov_b32_dpp v8, v6 row_shr:1 row_mask:0xf bank_mask:0xf
	v_cndmask_b32_e64 v8, 0, v8, s2
	v_cmp_lt_u32_e64 s2, 1, v7
	s_delay_alu instid0(VALU_DEP_2) | instskip(NEXT) | instid1(VALU_DEP_1)
	v_add_nc_u32_e32 v6, v8, v6
	v_mov_b32_dpp v8, v6 row_shr:2 row_mask:0xf bank_mask:0xf
	s_delay_alu instid0(VALU_DEP_1) | instskip(SKIP_1) | instid1(VALU_DEP_2)
	v_cndmask_b32_e64 v8, 0, v8, s2
	v_cmp_lt_u32_e64 s2, 3, v7
	v_add_nc_u32_e32 v6, v6, v8
	s_delay_alu instid0(VALU_DEP_1) | instskip(NEXT) | instid1(VALU_DEP_1)
	v_mov_b32_dpp v8, v6 row_shr:4 row_mask:0xf bank_mask:0xf
	v_cndmask_b32_e64 v8, 0, v8, s2
	v_cmp_lt_u32_e64 s2, 7, v7
	s_delay_alu instid0(VALU_DEP_2) | instskip(NEXT) | instid1(VALU_DEP_1)
	v_add_nc_u32_e32 v6, v6, v8
	v_mov_b32_dpp v8, v6 row_shr:8 row_mask:0xf bank_mask:0xf
	s_delay_alu instid0(VALU_DEP_1) | instskip(SKIP_2) | instid1(VALU_DEP_3)
	v_cndmask_b32_e64 v7, 0, v8, s2
	v_bfe_i32 v8, v5, 4, 1
	v_cmp_gt_i32_e64 s2, 0, v9
	v_add_nc_u32_e32 v6, v6, v7
	s_delay_alu instid0(VALU_DEP_2)
	v_cndmask_b32_e64 v5, v9, v5, s2
	v_cmp_eq_u32_e64 s2, 0, v0
	ds_swizzle_b32 v7, v6 offset:swizzle(BROADCAST,32,15)
	v_lshlrev_b32_e32 v5, 2, v5
	s_waitcnt lgkmcnt(0)
	v_and_b32_e32 v7, v8, v7
	s_delay_alu instid0(VALU_DEP_1) | instskip(SKIP_3) | instid1(VALU_DEP_1)
	v_add_nc_u32_e32 v6, v6, v7
	ds_bpermute_b32 v5, v5, v6
	s_waitcnt lgkmcnt(0)
	v_add_nc_u32_e32 v2, v5, v2
	v_cndmask_b32_e64 v1, v2, v1, s2
	s_delay_alu instid0(VALU_DEP_1)
	v_add_nc_u32_e32 v2, v1, v3
	ds_store_2addr_b32 v4, v1, v2 offset1:1
.LBB83_24:
	s_or_b32 exec_lo, exec_lo, s3
	v_cmp_eq_u32_e64 s2, 0, v0
	v_mov_b32_e32 v8, 0
	s_mov_b32 s8, exec_lo
	s_waitcnt lgkmcnt(0)
	s_barrier
	buffer_gl0_inv
	v_cmpx_ne_u32_e32 0, v0
	s_cbranch_execz .LBB83_26
; %bb.25:
	v_add_nc_u32_e32 v1, -1, v0
	s_delay_alu instid0(VALU_DEP_1) | instskip(NEXT) | instid1(VALU_DEP_1)
	v_lshrrev_b32_e32 v2, 5, v1
	v_add_lshl_u32 v1, v2, v1, 2
	ds_load_b32 v8, v1
.LBB83_26:
	s_or_b32 exec_lo, exec_lo, s8
	s_and_saveexec_b32 s10, vcc_lo
	s_cbranch_execz .LBB83_45
; %bb.27:
	v_mov_b32_e32 v4, 0
	v_mbcnt_lo_u32_b32 v16, -1, 0
	s_mov_b32 s9, 0
	ds_load_b32 v1, v4 offset:256
	v_cmp_eq_u32_e64 s3, 0, v16
	s_delay_alu instid0(VALU_DEP_1)
	s_and_saveexec_b32 s11, s3
	s_cbranch_execz .LBB83_29
; %bb.28:
	s_add_i32 s8, s15, 32
	v_mov_b32_e32 v2, 1
	s_lshl_b64 s[8:9], s[8:9], 3
	s_delay_alu instid0(SALU_CYCLE_1)
	s_add_u32 s8, s6, s8
	s_addc_u32 s9, s7, s9
	s_waitcnt lgkmcnt(0)
	global_store_b64 v4, v[1:2], s[8:9]
.LBB83_29:
	s_or_b32 exec_lo, exec_lo, s11
	v_xad_u32 v2, v16, -1, s15
	s_mov_b32 s8, exec_lo
	s_delay_alu instid0(VALU_DEP_1) | instskip(NEXT) | instid1(VALU_DEP_1)
	v_add_nc_u32_e32 v3, 32, v2
	v_lshlrev_b64 v[3:4], 3, v[3:4]
	s_delay_alu instid0(VALU_DEP_1) | instskip(NEXT) | instid1(VALU_DEP_2)
	v_add_co_u32 v6, vcc_lo, s6, v3
	v_add_co_ci_u32_e32 v7, vcc_lo, s7, v4, vcc_lo
	global_load_b64 v[4:5], v[6:7], off glc
	s_waitcnt vmcnt(0)
	v_and_b32_e32 v3, 0xff, v5
	s_delay_alu instid0(VALU_DEP_1)
	v_cmpx_eq_u16_e32 0, v3
	s_cbranch_execz .LBB83_33
; %bb.30:
	s_mov_b32 s9, 0
.LBB83_31:                              ; =>This Inner Loop Header: Depth=1
	global_load_b64 v[4:5], v[6:7], off glc
	s_waitcnt vmcnt(0)
	v_and_b32_e32 v3, 0xff, v5
	s_delay_alu instid0(VALU_DEP_1) | instskip(SKIP_1) | instid1(SALU_CYCLE_1)
	v_cmp_ne_u16_e32 vcc_lo, 0, v3
	s_or_b32 s9, vcc_lo, s9
	s_and_not1_b32 exec_lo, exec_lo, s9
	s_cbranch_execnz .LBB83_31
; %bb.32:
	s_or_b32 exec_lo, exec_lo, s9
.LBB83_33:
	s_delay_alu instid0(SALU_CYCLE_1)
	s_or_b32 exec_lo, exec_lo, s8
	v_cmp_ne_u32_e32 vcc_lo, 31, v16
	v_lshlrev_b32_e64 v10, v16, -1
	v_add_nc_u32_e32 v11, 1, v16
	v_add_nc_u32_e32 v13, 2, v16
	;; [unrolled: 1-line block ×3, first 2 shown]
	v_add_co_ci_u32_e32 v3, vcc_lo, 0, v16, vcc_lo
	v_add_nc_u32_e32 v52, 8, v16
	v_add_nc_u32_e32 v54, 16, v16
	s_delay_alu instid0(VALU_DEP_3)
	v_lshlrev_b32_e32 v9, 2, v3
	v_and_b32_e32 v3, 0xff, v5
	ds_bpermute_b32 v6, v9, v4
	v_cmp_eq_u16_e32 vcc_lo, 2, v3
	v_and_or_b32 v3, vcc_lo, v10, 0x80000000
	v_cmp_gt_u32_e32 vcc_lo, 30, v16
	s_delay_alu instid0(VALU_DEP_2) | instskip(SKIP_1) | instid1(VALU_DEP_2)
	v_ctz_i32_b32_e32 v3, v3
	v_cndmask_b32_e64 v7, 0, 1, vcc_lo
	v_cmp_le_u32_e32 vcc_lo, v11, v3
	s_waitcnt lgkmcnt(0)
	s_delay_alu instid0(VALU_DEP_2) | instskip(NEXT) | instid1(VALU_DEP_1)
	v_dual_cndmask_b32 v6, 0, v6 :: v_dual_lshlrev_b32 v7, 1, v7
	v_add_lshl_u32 v12, v7, v16, 2
	v_cmp_gt_u32_e32 vcc_lo, 28, v16
	s_delay_alu instid0(VALU_DEP_3) | instskip(SKIP_4) | instid1(VALU_DEP_1)
	v_add_nc_u32_e32 v4, v6, v4
	v_cndmask_b32_e64 v7, 0, 1, vcc_lo
	v_cmp_le_u32_e32 vcc_lo, v13, v3
	ds_bpermute_b32 v6, v12, v4
	v_lshlrev_b32_e32 v7, 2, v7
	v_add_lshl_u32 v14, v7, v16, 2
	s_waitcnt lgkmcnt(0)
	v_cndmask_b32_e32 v6, 0, v6, vcc_lo
	v_cmp_gt_u32_e32 vcc_lo, 24, v16
	s_delay_alu instid0(VALU_DEP_2) | instskip(SKIP_4) | instid1(VALU_DEP_1)
	v_add_nc_u32_e32 v4, v4, v6
	v_cndmask_b32_e64 v7, 0, 1, vcc_lo
	v_cmp_le_u32_e32 vcc_lo, v15, v3
	ds_bpermute_b32 v6, v14, v4
	v_lshlrev_b32_e32 v7, 3, v7
	v_add_lshl_u32 v51, v7, v16, 2
	s_waitcnt lgkmcnt(0)
	v_cndmask_b32_e32 v6, 0, v6, vcc_lo
	v_cmp_gt_u32_e32 vcc_lo, 16, v16
	s_delay_alu instid0(VALU_DEP_2) | instskip(SKIP_4) | instid1(VALU_DEP_1)
	v_add_nc_u32_e32 v4, v4, v6
	v_cndmask_b32_e64 v7, 0, 1, vcc_lo
	v_cmp_le_u32_e32 vcc_lo, v52, v3
	ds_bpermute_b32 v6, v51, v4
	v_lshlrev_b32_e32 v7, 4, v7
	v_add_lshl_u32 v53, v7, v16, 2
	s_waitcnt lgkmcnt(0)
	v_cndmask_b32_e32 v6, 0, v6, vcc_lo
	v_cmp_le_u32_e32 vcc_lo, v54, v3
	s_delay_alu instid0(VALU_DEP_2) | instskip(SKIP_3) | instid1(VALU_DEP_1)
	v_add_nc_u32_e32 v4, v4, v6
	ds_bpermute_b32 v6, v53, v4
	s_waitcnt lgkmcnt(0)
	v_cndmask_b32_e32 v3, 0, v6, vcc_lo
	v_dual_mov_b32 v3, 0 :: v_dual_add_nc_u32 v4, v4, v3
	s_branch .LBB83_35
.LBB83_34:                              ;   in Loop: Header=BB83_35 Depth=1
	s_or_b32 exec_lo, exec_lo, s8
	ds_bpermute_b32 v7, v9, v4
	v_and_b32_e32 v6, 0xff, v5
	v_subrev_nc_u32_e32 v2, 32, v2
	s_delay_alu instid0(VALU_DEP_2) | instskip(SKIP_1) | instid1(VALU_DEP_1)
	v_cmp_eq_u16_e32 vcc_lo, 2, v6
	v_and_or_b32 v6, vcc_lo, v10, 0x80000000
	v_ctz_i32_b32_e32 v6, v6
	s_delay_alu instid0(VALU_DEP_1) | instskip(SKIP_3) | instid1(VALU_DEP_2)
	v_cmp_le_u32_e32 vcc_lo, v11, v6
	s_waitcnt lgkmcnt(0)
	v_cndmask_b32_e32 v7, 0, v7, vcc_lo
	v_cmp_le_u32_e32 vcc_lo, v13, v6
	v_add_nc_u32_e32 v4, v7, v4
	ds_bpermute_b32 v7, v12, v4
	s_waitcnt lgkmcnt(0)
	v_cndmask_b32_e32 v7, 0, v7, vcc_lo
	v_cmp_le_u32_e32 vcc_lo, v15, v6
	s_delay_alu instid0(VALU_DEP_2) | instskip(SKIP_4) | instid1(VALU_DEP_2)
	v_add_nc_u32_e32 v4, v4, v7
	ds_bpermute_b32 v7, v14, v4
	s_waitcnt lgkmcnt(0)
	v_cndmask_b32_e32 v7, 0, v7, vcc_lo
	v_cmp_le_u32_e32 vcc_lo, v52, v6
	v_add_nc_u32_e32 v4, v4, v7
	ds_bpermute_b32 v7, v51, v4
	s_waitcnt lgkmcnt(0)
	v_cndmask_b32_e32 v7, 0, v7, vcc_lo
	v_cmp_le_u32_e32 vcc_lo, v54, v6
	s_delay_alu instid0(VALU_DEP_2) | instskip(SKIP_3) | instid1(VALU_DEP_1)
	v_add_nc_u32_e32 v4, v4, v7
	ds_bpermute_b32 v7, v53, v4
	s_waitcnt lgkmcnt(0)
	v_cndmask_b32_e32 v6, 0, v7, vcc_lo
	v_add3_u32 v4, v6, v16, v4
.LBB83_35:                              ; =>This Loop Header: Depth=1
                                        ;     Child Loop BB83_38 Depth 2
	s_delay_alu instid0(VALU_DEP_1) | instskip(NEXT) | instid1(VALU_DEP_1)
	v_dual_mov_b32 v16, v4 :: v_dual_and_b32 v5, 0xff, v5
	v_cmp_ne_u16_e32 vcc_lo, 2, v5
	v_cndmask_b32_e64 v5, 0, 1, vcc_lo
	;;#ASMSTART
	;;#ASMEND
	s_delay_alu instid0(VALU_DEP_1)
	v_cmp_ne_u32_e32 vcc_lo, 0, v5
	s_cmp_lg_u32 vcc_lo, exec_lo
	s_cbranch_scc1 .LBB83_40
; %bb.36:                               ;   in Loop: Header=BB83_35 Depth=1
	v_lshlrev_b64 v[4:5], 3, v[2:3]
	s_mov_b32 s8, exec_lo
	s_delay_alu instid0(VALU_DEP_1) | instskip(NEXT) | instid1(VALU_DEP_2)
	v_add_co_u32 v6, vcc_lo, s6, v4
	v_add_co_ci_u32_e32 v7, vcc_lo, s7, v5, vcc_lo
	global_load_b64 v[4:5], v[6:7], off glc
	s_waitcnt vmcnt(0)
	v_and_b32_e32 v55, 0xff, v5
	s_delay_alu instid0(VALU_DEP_1)
	v_cmpx_eq_u16_e32 0, v55
	s_cbranch_execz .LBB83_34
; %bb.37:                               ;   in Loop: Header=BB83_35 Depth=1
	s_mov_b32 s9, 0
.LBB83_38:                              ;   Parent Loop BB83_35 Depth=1
                                        ; =>  This Inner Loop Header: Depth=2
	global_load_b64 v[4:5], v[6:7], off glc
	s_waitcnt vmcnt(0)
	v_and_b32_e32 v55, 0xff, v5
	s_delay_alu instid0(VALU_DEP_1) | instskip(SKIP_1) | instid1(SALU_CYCLE_1)
	v_cmp_ne_u16_e32 vcc_lo, 0, v55
	s_or_b32 s9, vcc_lo, s9
	s_and_not1_b32 exec_lo, exec_lo, s9
	s_cbranch_execnz .LBB83_38
; %bb.39:                               ;   in Loop: Header=BB83_35 Depth=1
	s_or_b32 exec_lo, exec_lo, s9
	s_branch .LBB83_34
.LBB83_40:                              ;   in Loop: Header=BB83_35 Depth=1
                                        ; implicit-def: $vgpr4
                                        ; implicit-def: $vgpr5
	s_cbranch_execz .LBB83_35
; %bb.41:
	s_and_saveexec_b32 s8, s3
	s_cbranch_execz .LBB83_43
; %bb.42:
	s_add_i32 s16, s15, 32
	s_mov_b32 s17, 0
	v_dual_mov_b32 v3, 0 :: v_dual_mov_b32 v2, 2
	s_lshl_b64 s[16:17], s[16:17], 3
	v_add_nc_u32_e32 v1, v16, v1
	s_add_u32 s16, s6, s16
	s_addc_u32 s17, s7, s17
	global_store_b64 v3, v[1:2], s[16:17]
.LBB83_43:
	s_or_b32 exec_lo, exec_lo, s8
	s_delay_alu instid0(SALU_CYCLE_1)
	s_and_b32 exec_lo, exec_lo, s2
	s_cbranch_execz .LBB83_45
; %bb.44:
	v_mov_b32_e32 v1, 0
	ds_store_b32 v1, v16
.LBB83_45:
	s_or_b32 exec_lo, exec_lo, s10
	v_mov_b32_e32 v1, 0
	s_waitcnt lgkmcnt(0)
	s_waitcnt_vscnt null, 0x0
	s_barrier
	buffer_gl0_inv
	ds_load_b32 v1, v1
	s_waitcnt lgkmcnt(0)
	v_add_nc_u32_e32 v1, v1, v8
	s_delay_alu instid0(VALU_DEP_1) | instskip(NEXT) | instid1(VALU_DEP_1)
	v_add_nc_u32_e32 v2, v1, v29
	v_add_nc_u32_e32 v3, v2, v30
	s_delay_alu instid0(VALU_DEP_1) | instskip(NEXT) | instid1(VALU_DEP_1)
	v_add_nc_u32_e32 v4, v3, v31
	;; [unrolled: 3-line block ×7, first 2 shown]
	v_add_nc_u32_e32 v15, v14, v18
	s_delay_alu instid0(VALU_DEP_1)
	v_add_nc_u32_e32 v16, v15, v19
	s_load_b128 s[8:11], s[0:1], 0x38
	s_branch .LBB83_56
.LBB83_46:
                                        ; implicit-def: $vgpr1_vgpr2_vgpr3_vgpr4_vgpr5_vgpr6_vgpr7_vgpr8_vgpr9_vgpr10_vgpr11_vgpr12_vgpr13_vgpr14_vgpr15_vgpr16
	s_load_b128 s[8:11], s[0:1], 0x38
	s_cbranch_execz .LBB83_56
; %bb.47:
	s_clause 0x1
	s_load_b32 s2, s[0:1], 0x20
	s_load_b32 s3, s[0:1], 0x48
	s_waitcnt lgkmcnt(0)
	v_mov_b32_e32 v51, s2
	s_bitcmp0_b32 s3, 0
	s_cbranch_scc1 .LBB83_49
; %bb.48:
	v_mov_b32_e32 v1, 0
	s_load_b32 s2, s[8:9], 0x0
	global_load_b32 v1, v1, s[34:35] offset:-4
	s_waitcnt vmcnt(0) lgkmcnt(0)
	v_add_nc_u32_e32 v51, s2, v1
.LBB83_49:
	v_add3_u32 v1, v50, v27, v28
	v_add_lshl_u32 v2, v48, v0, 2
	s_mov_b32 s2, exec_lo
	s_delay_alu instid0(VALU_DEP_2) | instskip(NEXT) | instid1(VALU_DEP_1)
	v_add3_u32 v1, v1, v25, v26
	v_add3_u32 v1, v1, v23, v24
	s_delay_alu instid0(VALU_DEP_1) | instskip(NEXT) | instid1(VALU_DEP_1)
	v_add3_u32 v1, v1, v21, v22
	v_add3_u32 v1, v1, v17, v18
	s_delay_alu instid0(VALU_DEP_1)
	v_add3_u32 v1, v1, v19, v20
	ds_store_b32 v2, v1
	s_waitcnt lgkmcnt(0)
	s_barrier
	buffer_gl0_inv
	v_cmpx_gt_u32_e32 32, v0
	s_cbranch_execz .LBB83_51
; %bb.50:
	v_lshrrev_b32_e32 v2, 2, v0
	v_mbcnt_lo_u32_b32 v5, -1, 0
	s_delay_alu instid0(VALU_DEP_2) | instskip(NEXT) | instid1(VALU_DEP_2)
	v_and_b32_e32 v2, 12, v2
	v_add_nc_u32_e32 v9, -1, v5
	s_delay_alu instid0(VALU_DEP_2) | instskip(SKIP_3) | instid1(VALU_DEP_1)
	v_lshl_or_b32 v4, v0, 3, v2
	ds_load_2addr_b32 v[2:3], v4 offset1:1
	s_waitcnt lgkmcnt(0)
	v_add_nc_u32_e32 v6, v3, v2
	v_mov_b32_dpp v8, v6 row_shr:1 row_mask:0xf bank_mask:0xf
	v_and_b32_e32 v7, 15, v5
	s_delay_alu instid0(VALU_DEP_1) | instskip(NEXT) | instid1(VALU_DEP_3)
	v_cmp_ne_u32_e32 vcc_lo, 0, v7
	v_cndmask_b32_e32 v8, 0, v8, vcc_lo
	v_cmp_lt_u32_e32 vcc_lo, 1, v7
	s_delay_alu instid0(VALU_DEP_2) | instskip(NEXT) | instid1(VALU_DEP_1)
	v_add_nc_u32_e32 v6, v8, v6
	v_mov_b32_dpp v8, v6 row_shr:2 row_mask:0xf bank_mask:0xf
	s_delay_alu instid0(VALU_DEP_1) | instskip(SKIP_1) | instid1(VALU_DEP_2)
	v_cndmask_b32_e32 v8, 0, v8, vcc_lo
	v_cmp_lt_u32_e32 vcc_lo, 3, v7
	v_add_nc_u32_e32 v6, v6, v8
	s_delay_alu instid0(VALU_DEP_1) | instskip(NEXT) | instid1(VALU_DEP_1)
	v_mov_b32_dpp v8, v6 row_shr:4 row_mask:0xf bank_mask:0xf
	v_cndmask_b32_e32 v8, 0, v8, vcc_lo
	v_cmp_lt_u32_e32 vcc_lo, 7, v7
	s_delay_alu instid0(VALU_DEP_2) | instskip(NEXT) | instid1(VALU_DEP_1)
	v_add_nc_u32_e32 v6, v6, v8
	v_mov_b32_dpp v8, v6 row_shr:8 row_mask:0xf bank_mask:0xf
	s_delay_alu instid0(VALU_DEP_1) | instskip(SKIP_2) | instid1(VALU_DEP_3)
	v_cndmask_b32_e32 v7, 0, v8, vcc_lo
	v_bfe_i32 v8, v5, 4, 1
	v_cmp_gt_i32_e32 vcc_lo, 0, v9
	v_dual_cndmask_b32 v5, v9, v5 :: v_dual_add_nc_u32 v6, v6, v7
	v_cmp_eq_u32_e32 vcc_lo, 0, v0
	ds_swizzle_b32 v7, v6 offset:swizzle(BROADCAST,32,15)
	v_lshlrev_b32_e32 v5, 2, v5
	s_waitcnt lgkmcnt(0)
	v_and_b32_e32 v7, v8, v7
	s_delay_alu instid0(VALU_DEP_1) | instskip(SKIP_3) | instid1(VALU_DEP_1)
	v_add_nc_u32_e32 v6, v6, v7
	ds_bpermute_b32 v5, v5, v6
	s_waitcnt lgkmcnt(0)
	v_add_nc_u32_e32 v2, v5, v2
	v_cndmask_b32_e32 v1, v2, v1, vcc_lo
	s_delay_alu instid0(VALU_DEP_1)
	v_add_nc_u32_e32 v2, v1, v3
	ds_store_2addr_b32 v4, v1, v2 offset1:1
.LBB83_51:
	s_or_b32 exec_lo, exec_lo, s2
	v_cmp_eq_u32_e32 vcc_lo, 0, v0
	v_mov_b32_e32 v1, v51
	s_mov_b32 s3, exec_lo
	s_waitcnt lgkmcnt(0)
	s_barrier
	buffer_gl0_inv
	v_cmpx_ne_u32_e32 0, v0
	s_cbranch_execz .LBB83_53
; %bb.52:
	v_add_nc_u32_e32 v1, -1, v0
	s_delay_alu instid0(VALU_DEP_1) | instskip(NEXT) | instid1(VALU_DEP_1)
	v_lshrrev_b32_e32 v2, 5, v1
	v_add_lshl_u32 v1, v2, v1, 2
	ds_load_b32 v1, v1
	s_waitcnt lgkmcnt(0)
	v_add_nc_u32_e32 v1, v1, v51
.LBB83_53:
	s_or_b32 exec_lo, exec_lo, s3
	s_delay_alu instid0(VALU_DEP_1) | instskip(NEXT) | instid1(VALU_DEP_1)
	v_add_nc_u32_e32 v2, v1, v29
	v_add_nc_u32_e32 v3, v2, v30
	s_delay_alu instid0(VALU_DEP_1) | instskip(NEXT) | instid1(VALU_DEP_1)
	v_add_nc_u32_e32 v4, v3, v31
	v_add_nc_u32_e32 v5, v4, v32
	;; [unrolled: 3-line block ×7, first 2 shown]
	s_delay_alu instid0(VALU_DEP_1)
	v_add_nc_u32_e32 v16, v15, v19
	s_and_saveexec_b32 s2, vcc_lo
	s_cbranch_execz .LBB83_55
; %bb.54:
	v_dual_mov_b32 v19, 0 :: v_dual_mov_b32 v18, 2
	ds_load_b32 v17, v19 offset:256
	s_waitcnt lgkmcnt(0)
	v_add_nc_u32_e32 v17, v17, v51
	global_store_b64 v19, v[17:18], s[6:7] offset:256
.LBB83_55:
	s_or_b32 exec_lo, exec_lo, s2
.LBB83_56:
	s_lshl_b64 s[2:3], s[12:13], 3
	v_lshlrev_b32_e32 v17, 6, v0
	v_lshlrev_b32_e32 v20, 3, v0
	s_add_u32 s2, s4, s2
	s_addc_u32 s3, s5, s3
	s_and_b32 vcc_lo, exec_lo, s36
	s_mov_b32 s4, -1
	s_waitcnt lgkmcnt(0)
	s_waitcnt_vscnt null, 0x0
	s_barrier
	buffer_gl0_inv
	s_cbranch_vccz .LBB83_58
; %bb.57:
	v_lshl_add_u32 v18, v49, 2, v17
	v_lshrrev_b32_e32 v19, 5, v46
	v_lshrrev_b32_e32 v22, 5, v45
	;; [unrolled: 1-line block ×3, first 2 shown]
	v_add_lshl_u32 v21, v48, v0, 2
	ds_store_2addr_b32 v18, v1, v2 offset1:1
	ds_store_2addr_b32 v18, v3, v4 offset0:2 offset1:3
	ds_store_2addr_b32 v18, v5, v6 offset0:4 offset1:5
	;; [unrolled: 1-line block ×7, first 2 shown]
	v_lshrrev_b32_e32 v18, 5, v47
	v_lshrrev_b32_e32 v24, 5, v43
	;; [unrolled: 1-line block ×4, first 2 shown]
	v_add_lshl_u32 v19, v19, v0, 2
	v_add_lshl_u32 v18, v18, v0, 2
	;; [unrolled: 1-line block ×3, first 2 shown]
	v_lshrrev_b32_e32 v27, 5, v40
	v_add_lshl_u32 v23, v23, v0, 2
	v_lshrrev_b32_e32 v28, 5, v39
	s_waitcnt lgkmcnt(0)
	s_barrier
	buffer_gl0_inv
	v_add_lshl_u32 v24, v24, v0, 2
	v_add_lshl_u32 v25, v25, v0, 2
	;; [unrolled: 1-line block ×3, first 2 shown]
	v_lshrrev_b32_e32 v29, 5, v38
	ds_load_b32 v21, v21
	ds_load_b32 v30, v18 offset:256
	ds_load_b32 v31, v19 offset:512
	;; [unrolled: 1-line block ×7, first 2 shown]
	v_lshrrev_b32_e32 v23, 5, v37
	v_lshrrev_b32_e32 v24, 5, v36
	v_add_lshl_u32 v18, v27, v0, 2
	v_lshrrev_b32_e32 v25, 5, v35
	v_lshrrev_b32_e32 v26, 5, v34
	;; [unrolled: 1-line block ×3, first 2 shown]
	v_add_lshl_u32 v19, v28, v0, 2
	v_add_lshl_u32 v22, v29, v0, 2
	;; [unrolled: 1-line block ×7, first 2 shown]
	ds_load_b32 v54, v18 offset:2048
	ds_load_b32 v55, v19 offset:2304
	;; [unrolled: 1-line block ×8, first 2 shown]
	s_waitcnt lgkmcnt(15)
	v_cvt_f64_i32_e32 v[18:19], v21
	s_waitcnt lgkmcnt(14)
	v_cvt_f64_i32_e32 v[21:22], v30
	;; [unrolled: 2-line block ×8, first 2 shown]
	v_add_co_u32 v68, s5, s2, v20
	s_delay_alu instid0(VALU_DEP_1)
	v_add_co_ci_u32_e64 v69, null, s3, 0, s5
	s_waitcnt lgkmcnt(7)
	v_cvt_f64_i32_e32 v[52:53], v54
	s_waitcnt lgkmcnt(6)
	v_cvt_f64_i32_e32 v[54:55], v55
	;; [unrolled: 2-line block ×8, first 2 shown]
	s_mov_b32 s4, 0
	s_clause 0x3
	global_store_b64 v20, v[18:19], s[2:3]
	global_store_b64 v20, v[21:22], s[2:3] offset:512
	global_store_b64 v20, v[23:24], s[2:3] offset:1024
	;; [unrolled: 1-line block ×3, first 2 shown]
	v_add_co_u32 v18, vcc_lo, 0x1000, v68
	v_add_co_ci_u32_e32 v19, vcc_lo, 0, v69, vcc_lo
	s_clause 0xb
	global_store_b64 v20, v[27:28], s[2:3] offset:2048
	global_store_b64 v20, v[29:30], s[2:3] offset:2560
	;; [unrolled: 1-line block ×4, first 2 shown]
	global_store_b64 v[18:19], v[52:53], off
	global_store_b64 v[18:19], v[54:55], off offset:512
	global_store_b64 v[18:19], v[56:57], off offset:1024
	;; [unrolled: 1-line block ×7, first 2 shown]
.LBB83_58:
	s_and_not1_b32 vcc_lo, exec_lo, s4
	s_cbranch_vccnz .LBB83_131
; %bb.59:
	v_lshl_add_u32 v17, v49, 2, v17
	ds_store_2addr_b32 v17, v1, v2 offset1:1
	ds_store_2addr_b32 v17, v3, v4 offset0:2 offset1:3
	ds_store_2addr_b32 v17, v5, v6 offset0:4 offset1:5
	;; [unrolled: 1-line block ×7, first 2 shown]
	v_lshrrev_b32_e32 v1, 5, v47
	v_lshrrev_b32_e32 v2, 5, v46
	;; [unrolled: 1-line block ×6, first 2 shown]
	v_add_lshl_u32 v3, v48, v0, 2
	v_lshrrev_b32_e32 v8, 5, v41
	v_add_lshl_u32 v1, v1, v0, 2
	v_lshrrev_b32_e32 v14, 5, v40
	v_add_lshl_u32 v2, v2, v0, 2
	v_lshrrev_b32_e32 v15, 5, v39
	v_lshrrev_b32_e32 v16, 5, v38
	v_add_lshl_u32 v9, v4, v0, 2
	v_add_lshl_u32 v10, v5, v0, 2
	;; [unrolled: 1-line block ×4, first 2 shown]
	s_waitcnt lgkmcnt(0)
	s_waitcnt_vscnt null, 0x0
	s_barrier
	buffer_gl0_inv
	v_add_lshl_u32 v13, v8, v0, 2
	ds_load_b32 v5, v3
	ds_load_b32 v4, v1 offset:256
	ds_load_b32 v6, v2 offset:512
	;; [unrolled: 1-line block ×7, first 2 shown]
	v_lshrrev_b32_e32 v12, 5, v37
	v_add_lshl_u32 v1, v14, v0, 2
	v_lshrrev_b32_e32 v13, 5, v36
	v_lshrrev_b32_e32 v14, 5, v35
	v_add_lshl_u32 v2, v15, v0, 2
	v_add_lshl_u32 v3, v16, v0, 2
	v_lshrrev_b32_e32 v15, 5, v34
	v_lshrrev_b32_e32 v16, 5, v33
	v_add_lshl_u32 v17, v12, v0, 2
	v_add_lshl_u32 v18, v13, v0, 2
	v_add_lshl_u32 v19, v14, v0, 2
	v_add_lshl_u32 v21, v15, v0, 2
	v_add_lshl_u32 v22, v16, v0, 2
	ds_load_b32 v12, v1 offset:2048
	ds_load_b32 v13, v2 offset:2304
	;; [unrolled: 1-line block ×8, first 2 shown]
	v_add_co_u32 v2, s2, s2, v20
	v_mov_b32_e32 v1, 0
	v_add_co_ci_u32_e64 v3, null, s3, 0, s2
	s_mov_b32 s2, exec_lo
	v_cmpx_gt_u32_e64 s14, v0
	s_cbranch_execnz .LBB83_147
; %bb.60:
	s_or_b32 exec_lo, exec_lo, s2
	s_delay_alu instid0(SALU_CYCLE_1)
	s_mov_b32 s2, exec_lo
	v_cmpx_gt_u32_e64 s14, v47
	s_cbranch_execnz .LBB83_148
.LBB83_61:
	s_or_b32 exec_lo, exec_lo, s2
	s_delay_alu instid0(SALU_CYCLE_1)
	s_mov_b32 s2, exec_lo
	v_cmpx_gt_u32_e64 s14, v46
	s_cbranch_execnz .LBB83_149
.LBB83_62:
	s_or_b32 exec_lo, exec_lo, s2
	s_delay_alu instid0(SALU_CYCLE_1)
	s_mov_b32 s2, exec_lo
	v_cmpx_gt_u32_e64 s14, v45
	s_cbranch_execnz .LBB83_150
.LBB83_63:
	s_or_b32 exec_lo, exec_lo, s2
	s_delay_alu instid0(SALU_CYCLE_1)
	s_mov_b32 s2, exec_lo
	v_cmpx_gt_u32_e64 s14, v44
	s_cbranch_execnz .LBB83_151
.LBB83_64:
	s_or_b32 exec_lo, exec_lo, s2
	s_delay_alu instid0(SALU_CYCLE_1)
	s_mov_b32 s2, exec_lo
	v_cmpx_gt_u32_e64 s14, v43
	s_cbranch_execnz .LBB83_152
.LBB83_65:
	s_or_b32 exec_lo, exec_lo, s2
	s_delay_alu instid0(SALU_CYCLE_1)
	s_mov_b32 s2, exec_lo
	v_cmpx_gt_u32_e64 s14, v42
	s_cbranch_execnz .LBB83_153
.LBB83_66:
	s_or_b32 exec_lo, exec_lo, s2
	s_delay_alu instid0(SALU_CYCLE_1)
	s_mov_b32 s2, exec_lo
	v_cmpx_gt_u32_e64 s14, v41
	s_cbranch_execnz .LBB83_154
.LBB83_67:
	s_or_b32 exec_lo, exec_lo, s2
	s_delay_alu instid0(SALU_CYCLE_1)
	s_mov_b32 s2, exec_lo
	v_cmpx_gt_u32_e64 s14, v40
	s_cbranch_execnz .LBB83_155
.LBB83_68:
	s_or_b32 exec_lo, exec_lo, s2
	s_delay_alu instid0(SALU_CYCLE_1)
	s_mov_b32 s2, exec_lo
	v_cmpx_gt_u32_e64 s14, v39
	s_cbranch_execnz .LBB83_156
.LBB83_69:
	s_or_b32 exec_lo, exec_lo, s2
	s_delay_alu instid0(SALU_CYCLE_1)
	s_mov_b32 s2, exec_lo
	v_cmpx_gt_u32_e64 s14, v38
	s_cbranch_execnz .LBB83_157
.LBB83_70:
	s_or_b32 exec_lo, exec_lo, s2
	s_delay_alu instid0(SALU_CYCLE_1)
	s_mov_b32 s2, exec_lo
	v_cmpx_gt_u32_e64 s14, v37
	s_cbranch_execnz .LBB83_158
.LBB83_71:
	s_or_b32 exec_lo, exec_lo, s2
	s_delay_alu instid0(SALU_CYCLE_1)
	s_mov_b32 s2, exec_lo
	v_cmpx_gt_u32_e64 s14, v36
	s_cbranch_execnz .LBB83_159
.LBB83_72:
	s_or_b32 exec_lo, exec_lo, s2
	s_delay_alu instid0(SALU_CYCLE_1)
	s_mov_b32 s2, exec_lo
	v_cmpx_gt_u32_e64 s14, v35
	s_cbranch_execnz .LBB83_160
.LBB83_73:
	s_or_b32 exec_lo, exec_lo, s2
	s_delay_alu instid0(SALU_CYCLE_1)
	s_mov_b32 s2, exec_lo
	v_cmpx_gt_u32_e64 s14, v34
	s_cbranch_execnz .LBB83_161
.LBB83_74:
	s_or_b32 exec_lo, exec_lo, s2
	s_delay_alu instid0(SALU_CYCLE_1)
	s_mov_b32 s2, exec_lo
	v_cmpx_gt_u32_e64 s14, v33
	s_cbranch_execz .LBB83_76
.LBB83_75:
	s_waitcnt lgkmcnt(0)
	v_cvt_f64_i32_e32 v[20:21], v19
	v_add_co_u32 v2, vcc_lo, 0x1000, v2
	v_add_co_ci_u32_e32 v3, vcc_lo, 0, v3, vcc_lo
	global_store_b64 v[2:3], v[20:21], off offset:3584
.LBB83_76:
	s_or_b32 exec_lo, exec_lo, s2
	s_load_b32 s0, s[0:1], 0x48
	s_waitcnt lgkmcnt(0)
	s_bfe_u32 s0, s0, 0x10008
	s_delay_alu instid0(SALU_CYCLE_1)
	s_cmp_eq_u32 s0, 0
	s_cbranch_scc1 .LBB83_131
; %bb.77:
	s_add_u32 s0, s14, -1
	s_addc_u32 s1, s33, -1
	s_delay_alu instid0(SALU_CYCLE_1)
	s_lshr_b64 s[2:3], s[0:1], 4
	s_mov_b32 s1, exec_lo
	v_cmpx_eq_u64_e64 s[2:3], v[0:1]
	s_cbranch_execz .LBB83_131
; %bb.78:
	s_and_b32 s0, s0, 15
	s_mov_b32 s1, 0
	s_delay_alu instid0(SALU_CYCLE_1) | instskip(NEXT) | instid1(VALU_DEP_1)
	v_cmp_lt_i64_e64 s2, s[0:1], 8
	s_and_b32 vcc_lo, exec_lo, s2
	s_mov_b32 s2, -1
	s_cbranch_vccnz .LBB83_105
; %bb.79:
	v_cmp_lt_i64_e64 s2, s[0:1], 12
	s_delay_alu instid0(VALU_DEP_1)
	s_and_b32 vcc_lo, exec_lo, s2
	s_mov_b32 s2, -1
	s_cbranch_vccnz .LBB83_92
; %bb.80:
	v_cmp_lt_i64_e64 s2, s[0:1], 14
	s_delay_alu instid0(VALU_DEP_1)
	s_and_b32 vcc_lo, exec_lo, s2
	s_mov_b32 s2, -1
	s_cbranch_vccnz .LBB83_86
; %bb.81:
	v_cmp_gt_i64_e64 s2, s[0:1], 14
	s_delay_alu instid0(VALU_DEP_1)
	s_and_b32 vcc_lo, exec_lo, s2
	s_mov_b32 s2, -1
	s_cbranch_vccz .LBB83_83
; %bb.82:
	v_mov_b32_e32 v0, 0
	s_mov_b32 s2, 0
	global_store_b32 v0, v19, s[10:11]
.LBB83_83:
	s_and_not1_b32 vcc_lo, exec_lo, s2
	s_cbranch_vccnz .LBB83_85
; %bb.84:
	v_mov_b32_e32 v0, 0
	global_store_b32 v0, v18, s[10:11]
.LBB83_85:
	s_mov_b32 s2, 0
.LBB83_86:
	s_delay_alu instid0(SALU_CYCLE_1)
	s_and_not1_b32 vcc_lo, exec_lo, s2
	s_cbranch_vccnz .LBB83_91
; %bb.87:
	v_cmp_gt_i64_e64 s2, s[0:1], 12
	s_delay_alu instid0(VALU_DEP_1)
	s_and_b32 vcc_lo, exec_lo, s2
	s_mov_b32 s2, -1
	s_cbranch_vccz .LBB83_89
; %bb.88:
	v_mov_b32_e32 v0, 0
	s_mov_b32 s2, 0
	global_store_b32 v0, v17, s[10:11]
.LBB83_89:
	s_and_not1_b32 vcc_lo, exec_lo, s2
	s_cbranch_vccnz .LBB83_91
; %bb.90:
	v_mov_b32_e32 v0, 0
	global_store_b32 v0, v16, s[10:11]
.LBB83_91:
	s_mov_b32 s2, 0
.LBB83_92:
	s_delay_alu instid0(SALU_CYCLE_1)
	s_and_not1_b32 vcc_lo, exec_lo, s2
	s_cbranch_vccnz .LBB83_104
; %bb.93:
	v_cmp_lt_i64_e64 s2, s[0:1], 10
	s_delay_alu instid0(VALU_DEP_1)
	s_and_b32 vcc_lo, exec_lo, s2
	s_mov_b32 s2, -1
	s_cbranch_vccnz .LBB83_99
; %bb.94:
	v_cmp_gt_i64_e64 s2, s[0:1], 10
	s_delay_alu instid0(VALU_DEP_1)
	s_and_b32 vcc_lo, exec_lo, s2
	s_mov_b32 s2, -1
	s_cbranch_vccz .LBB83_96
; %bb.95:
	v_mov_b32_e32 v0, 0
	s_mov_b32 s2, 0
	global_store_b32 v0, v15, s[10:11]
.LBB83_96:
	s_and_not1_b32 vcc_lo, exec_lo, s2
	s_cbranch_vccnz .LBB83_98
; %bb.97:
	v_mov_b32_e32 v0, 0
	global_store_b32 v0, v14, s[10:11]
.LBB83_98:
	s_mov_b32 s2, 0
.LBB83_99:
	s_delay_alu instid0(SALU_CYCLE_1)
	s_and_not1_b32 vcc_lo, exec_lo, s2
	s_cbranch_vccnz .LBB83_104
; %bb.100:
	v_cmp_gt_i64_e64 s2, s[0:1], 8
	s_delay_alu instid0(VALU_DEP_1)
	s_and_b32 vcc_lo, exec_lo, s2
	s_mov_b32 s2, -1
	s_cbranch_vccz .LBB83_102
; %bb.101:
	v_mov_b32_e32 v0, 0
	s_mov_b32 s2, 0
	global_store_b32 v0, v13, s[10:11]
.LBB83_102:
	s_and_not1_b32 vcc_lo, exec_lo, s2
	s_cbranch_vccnz .LBB83_104
; %bb.103:
	v_mov_b32_e32 v0, 0
	global_store_b32 v0, v12, s[10:11]
.LBB83_104:
	s_mov_b32 s2, 0
.LBB83_105:
	s_delay_alu instid0(SALU_CYCLE_1)
	s_and_not1_b32 vcc_lo, exec_lo, s2
	s_cbranch_vccnz .LBB83_131
; %bb.106:
	v_cmp_lt_i64_e64 s2, s[0:1], 4
	s_delay_alu instid0(VALU_DEP_1)
	s_and_b32 vcc_lo, exec_lo, s2
	s_mov_b32 s2, -1
	s_cbranch_vccnz .LBB83_119
; %bb.107:
	v_cmp_lt_i64_e64 s2, s[0:1], 6
	s_delay_alu instid0(VALU_DEP_1)
	s_and_b32 vcc_lo, exec_lo, s2
	s_mov_b32 s2, -1
	s_cbranch_vccnz .LBB83_113
; %bb.108:
	v_cmp_gt_i64_e64 s2, s[0:1], 6
	s_delay_alu instid0(VALU_DEP_1)
	s_and_b32 vcc_lo, exec_lo, s2
	s_mov_b32 s2, -1
	s_cbranch_vccz .LBB83_110
; %bb.109:
	v_mov_b32_e32 v0, 0
	s_mov_b32 s2, 0
	global_store_b32 v0, v11, s[10:11]
.LBB83_110:
	s_and_not1_b32 vcc_lo, exec_lo, s2
	s_cbranch_vccnz .LBB83_112
; %bb.111:
	v_mov_b32_e32 v0, 0
	global_store_b32 v0, v10, s[10:11]
.LBB83_112:
	s_mov_b32 s2, 0
.LBB83_113:
	s_delay_alu instid0(SALU_CYCLE_1)
	s_and_not1_b32 vcc_lo, exec_lo, s2
	s_cbranch_vccnz .LBB83_118
; %bb.114:
	v_cmp_gt_i64_e64 s2, s[0:1], 4
	s_delay_alu instid0(VALU_DEP_1)
	s_and_b32 vcc_lo, exec_lo, s2
	s_mov_b32 s2, -1
	s_cbranch_vccz .LBB83_116
; %bb.115:
	v_mov_b32_e32 v0, 0
	s_mov_b32 s2, 0
	global_store_b32 v0, v9, s[10:11]
.LBB83_116:
	s_and_not1_b32 vcc_lo, exec_lo, s2
	s_cbranch_vccnz .LBB83_118
; %bb.117:
	v_mov_b32_e32 v0, 0
	global_store_b32 v0, v8, s[10:11]
.LBB83_118:
	s_mov_b32 s2, 0
.LBB83_119:
	s_delay_alu instid0(SALU_CYCLE_1)
	s_and_not1_b32 vcc_lo, exec_lo, s2
	s_cbranch_vccnz .LBB83_131
; %bb.120:
	v_cmp_lt_i64_e64 s2, s[0:1], 2
	s_delay_alu instid0(VALU_DEP_1)
	s_and_b32 vcc_lo, exec_lo, s2
	s_mov_b32 s2, -1
	s_cbranch_vccnz .LBB83_126
; %bb.121:
	v_cmp_gt_i64_e64 s2, s[0:1], 2
	s_delay_alu instid0(VALU_DEP_1)
	s_and_b32 vcc_lo, exec_lo, s2
	s_mov_b32 s2, -1
	s_cbranch_vccz .LBB83_123
; %bb.122:
	v_mov_b32_e32 v0, 0
	s_mov_b32 s2, 0
	global_store_b32 v0, v7, s[10:11]
.LBB83_123:
	s_and_not1_b32 vcc_lo, exec_lo, s2
	s_cbranch_vccnz .LBB83_125
; %bb.124:
	v_mov_b32_e32 v0, 0
	global_store_b32 v0, v6, s[10:11]
.LBB83_125:
	s_mov_b32 s2, 0
.LBB83_126:
	s_delay_alu instid0(SALU_CYCLE_1)
	s_and_not1_b32 vcc_lo, exec_lo, s2
	s_cbranch_vccnz .LBB83_131
; %bb.127:
	s_cmp_eq_u64 s[0:1], 1
	s_mov_b32 s0, -1
	s_cbranch_scc1 .LBB83_129
; %bb.128:
	v_mov_b32_e32 v0, 0
	s_mov_b32 s0, 0
	global_store_b32 v0, v5, s[10:11]
.LBB83_129:
	s_and_not1_b32 vcc_lo, exec_lo, s0
	s_cbranch_vccnz .LBB83_131
; %bb.130:
	v_mov_b32_e32 v0, 0
	global_store_b32 v0, v4, s[10:11]
.LBB83_131:
	s_nop 0
	s_sendmsg sendmsg(MSG_DEALLOC_VGPRS)
	s_endpgm
.LBB83_132:
	global_load_b32 v21, v[17:18], off
	v_dual_mov_b32 v1, s16 :: v_dual_mov_b32 v2, s17
	v_dual_mov_b32 v3, s18 :: v_dual_mov_b32 v4, s19
	;; [unrolled: 1-line block ×8, first 2 shown]
                                        ; kill: def $vgpr1 killed $vgpr21 killed $exec
	s_or_b32 exec_lo, exec_lo, s3
	s_delay_alu instid0(SALU_CYCLE_1)
	s_mov_b32 s2, exec_lo
	v_cmpx_gt_u32_e64 s14, v47
	s_cbranch_execz .LBB83_5
.LBB83_133:
	global_load_b32 v2, v[17:18], off offset:256
	s_or_b32 exec_lo, exec_lo, s2
	s_delay_alu instid0(SALU_CYCLE_1)
	s_mov_b32 s2, exec_lo
	v_cmpx_gt_u32_e64 s14, v46
	s_cbranch_execz .LBB83_6
.LBB83_134:
	global_load_b32 v3, v[17:18], off offset:512
	s_or_b32 exec_lo, exec_lo, s2
	s_delay_alu instid0(SALU_CYCLE_1)
	s_mov_b32 s2, exec_lo
	v_cmpx_gt_u32_e64 s14, v45
	s_cbranch_execz .LBB83_7
.LBB83_135:
	global_load_b32 v4, v[17:18], off offset:768
	s_or_b32 exec_lo, exec_lo, s2
	s_delay_alu instid0(SALU_CYCLE_1)
	s_mov_b32 s2, exec_lo
	v_cmpx_gt_u32_e64 s14, v44
	s_cbranch_execz .LBB83_8
.LBB83_136:
	global_load_b32 v5, v[17:18], off offset:1024
	s_or_b32 exec_lo, exec_lo, s2
	s_delay_alu instid0(SALU_CYCLE_1)
	s_mov_b32 s2, exec_lo
	v_cmpx_gt_u32_e64 s14, v43
	s_cbranch_execz .LBB83_9
.LBB83_137:
	global_load_b32 v6, v[17:18], off offset:1280
	s_or_b32 exec_lo, exec_lo, s2
	s_delay_alu instid0(SALU_CYCLE_1)
	s_mov_b32 s2, exec_lo
	v_cmpx_gt_u32_e64 s14, v42
	s_cbranch_execz .LBB83_10
.LBB83_138:
	global_load_b32 v7, v[17:18], off offset:1536
	s_or_b32 exec_lo, exec_lo, s2
	s_delay_alu instid0(SALU_CYCLE_1)
	s_mov_b32 s2, exec_lo
	v_cmpx_gt_u32_e64 s14, v41
	s_cbranch_execz .LBB83_11
.LBB83_139:
	global_load_b32 v8, v[17:18], off offset:1792
	s_or_b32 exec_lo, exec_lo, s2
	s_delay_alu instid0(SALU_CYCLE_1)
	s_mov_b32 s2, exec_lo
	v_cmpx_gt_u32_e64 s14, v40
	s_cbranch_execz .LBB83_12
.LBB83_140:
	global_load_b32 v9, v[17:18], off offset:2048
	s_or_b32 exec_lo, exec_lo, s2
	s_delay_alu instid0(SALU_CYCLE_1)
	s_mov_b32 s2, exec_lo
	v_cmpx_gt_u32_e64 s14, v39
	s_cbranch_execz .LBB83_13
.LBB83_141:
	global_load_b32 v10, v[17:18], off offset:2304
	s_or_b32 exec_lo, exec_lo, s2
	s_delay_alu instid0(SALU_CYCLE_1)
	s_mov_b32 s2, exec_lo
	v_cmpx_gt_u32_e64 s14, v38
	s_cbranch_execz .LBB83_14
.LBB83_142:
	global_load_b32 v11, v[17:18], off offset:2560
	s_or_b32 exec_lo, exec_lo, s2
	s_delay_alu instid0(SALU_CYCLE_1)
	s_mov_b32 s2, exec_lo
	v_cmpx_gt_u32_e64 s14, v37
	s_cbranch_execz .LBB83_15
.LBB83_143:
	global_load_b32 v12, v[17:18], off offset:2816
	s_or_b32 exec_lo, exec_lo, s2
	s_delay_alu instid0(SALU_CYCLE_1)
	s_mov_b32 s2, exec_lo
	v_cmpx_gt_u32_e64 s14, v36
	s_cbranch_execz .LBB83_16
.LBB83_144:
	global_load_b32 v13, v[17:18], off offset:3072
	s_or_b32 exec_lo, exec_lo, s2
	s_delay_alu instid0(SALU_CYCLE_1)
	s_mov_b32 s2, exec_lo
	v_cmpx_gt_u32_e64 s14, v35
	s_cbranch_execz .LBB83_17
.LBB83_145:
	global_load_b32 v14, v[17:18], off offset:3328
	s_or_b32 exec_lo, exec_lo, s2
	s_delay_alu instid0(SALU_CYCLE_1)
	s_mov_b32 s2, exec_lo
	v_cmpx_gt_u32_e64 s14, v34
	s_cbranch_execz .LBB83_18
.LBB83_146:
	global_load_b32 v15, v[17:18], off offset:3584
	s_or_b32 exec_lo, exec_lo, s2
	s_delay_alu instid0(SALU_CYCLE_1)
	s_mov_b32 s2, exec_lo
	v_cmpx_gt_u32_e64 s14, v33
	s_cbranch_execnz .LBB83_19
	s_branch .LBB83_20
.LBB83_147:
	s_waitcnt lgkmcnt(15)
	v_cvt_f64_i32_e32 v[20:21], v5
	global_store_b64 v[2:3], v[20:21], off
	s_or_b32 exec_lo, exec_lo, s2
	s_delay_alu instid0(SALU_CYCLE_1)
	s_mov_b32 s2, exec_lo
	v_cmpx_gt_u32_e64 s14, v47
	s_cbranch_execz .LBB83_61
.LBB83_148:
	s_waitcnt lgkmcnt(14)
	v_cvt_f64_i32_e32 v[20:21], v4
	global_store_b64 v[2:3], v[20:21], off offset:512
	s_or_b32 exec_lo, exec_lo, s2
	s_delay_alu instid0(SALU_CYCLE_1)
	s_mov_b32 s2, exec_lo
	v_cmpx_gt_u32_e64 s14, v46
	s_cbranch_execz .LBB83_62
.LBB83_149:
	s_waitcnt lgkmcnt(13)
	v_cvt_f64_i32_e32 v[20:21], v6
	global_store_b64 v[2:3], v[20:21], off offset:1024
	s_or_b32 exec_lo, exec_lo, s2
	s_delay_alu instid0(SALU_CYCLE_1)
	s_mov_b32 s2, exec_lo
	v_cmpx_gt_u32_e64 s14, v45
	s_cbranch_execz .LBB83_63
.LBB83_150:
	s_waitcnt lgkmcnt(12)
	v_cvt_f64_i32_e32 v[20:21], v7
	global_store_b64 v[2:3], v[20:21], off offset:1536
	s_or_b32 exec_lo, exec_lo, s2
	s_delay_alu instid0(SALU_CYCLE_1)
	s_mov_b32 s2, exec_lo
	v_cmpx_gt_u32_e64 s14, v44
	s_cbranch_execz .LBB83_64
.LBB83_151:
	s_waitcnt lgkmcnt(11)
	v_cvt_f64_i32_e32 v[20:21], v8
	global_store_b64 v[2:3], v[20:21], off offset:2048
	s_or_b32 exec_lo, exec_lo, s2
	s_delay_alu instid0(SALU_CYCLE_1)
	s_mov_b32 s2, exec_lo
	v_cmpx_gt_u32_e64 s14, v43
	s_cbranch_execz .LBB83_65
.LBB83_152:
	s_waitcnt lgkmcnt(10)
	v_cvt_f64_i32_e32 v[20:21], v9
	global_store_b64 v[2:3], v[20:21], off offset:2560
	s_or_b32 exec_lo, exec_lo, s2
	s_delay_alu instid0(SALU_CYCLE_1)
	s_mov_b32 s2, exec_lo
	v_cmpx_gt_u32_e64 s14, v42
	s_cbranch_execz .LBB83_66
.LBB83_153:
	s_waitcnt lgkmcnt(9)
	v_cvt_f64_i32_e32 v[20:21], v10
	global_store_b64 v[2:3], v[20:21], off offset:3072
	s_or_b32 exec_lo, exec_lo, s2
	s_delay_alu instid0(SALU_CYCLE_1)
	s_mov_b32 s2, exec_lo
	v_cmpx_gt_u32_e64 s14, v41
	s_cbranch_execz .LBB83_67
.LBB83_154:
	s_waitcnt lgkmcnt(8)
	v_cvt_f64_i32_e32 v[20:21], v11
	global_store_b64 v[2:3], v[20:21], off offset:3584
	s_or_b32 exec_lo, exec_lo, s2
	s_delay_alu instid0(SALU_CYCLE_1)
	s_mov_b32 s2, exec_lo
	v_cmpx_gt_u32_e64 s14, v40
	s_cbranch_execz .LBB83_68
.LBB83_155:
	s_waitcnt lgkmcnt(7)
	v_cvt_f64_i32_e32 v[20:21], v12
	v_add_co_u32 v22, vcc_lo, 0x1000, v2
	v_add_co_ci_u32_e32 v23, vcc_lo, 0, v3, vcc_lo
	global_store_b64 v[22:23], v[20:21], off
	s_or_b32 exec_lo, exec_lo, s2
	s_delay_alu instid0(SALU_CYCLE_1)
	s_mov_b32 s2, exec_lo
	v_cmpx_gt_u32_e64 s14, v39
	s_cbranch_execz .LBB83_69
.LBB83_156:
	s_waitcnt lgkmcnt(6)
	v_cvt_f64_i32_e32 v[20:21], v13
	v_add_co_u32 v22, vcc_lo, 0x1000, v2
	v_add_co_ci_u32_e32 v23, vcc_lo, 0, v3, vcc_lo
	global_store_b64 v[22:23], v[20:21], off offset:512
	s_or_b32 exec_lo, exec_lo, s2
	s_delay_alu instid0(SALU_CYCLE_1)
	s_mov_b32 s2, exec_lo
	v_cmpx_gt_u32_e64 s14, v38
	s_cbranch_execz .LBB83_70
.LBB83_157:
	s_waitcnt lgkmcnt(5)
	v_cvt_f64_i32_e32 v[20:21], v14
	v_add_co_u32 v22, vcc_lo, 0x1000, v2
	v_add_co_ci_u32_e32 v23, vcc_lo, 0, v3, vcc_lo
	global_store_b64 v[22:23], v[20:21], off offset:1024
	s_or_b32 exec_lo, exec_lo, s2
	s_delay_alu instid0(SALU_CYCLE_1)
	s_mov_b32 s2, exec_lo
	v_cmpx_gt_u32_e64 s14, v37
	s_cbranch_execz .LBB83_71
.LBB83_158:
	s_waitcnt lgkmcnt(4)
	v_cvt_f64_i32_e32 v[20:21], v15
	v_add_co_u32 v22, vcc_lo, 0x1000, v2
	v_add_co_ci_u32_e32 v23, vcc_lo, 0, v3, vcc_lo
	global_store_b64 v[22:23], v[20:21], off offset:1536
	s_or_b32 exec_lo, exec_lo, s2
	s_delay_alu instid0(SALU_CYCLE_1)
	s_mov_b32 s2, exec_lo
	v_cmpx_gt_u32_e64 s14, v36
	s_cbranch_execz .LBB83_72
.LBB83_159:
	s_waitcnt lgkmcnt(3)
	v_cvt_f64_i32_e32 v[20:21], v16
	v_add_co_u32 v22, vcc_lo, 0x1000, v2
	v_add_co_ci_u32_e32 v23, vcc_lo, 0, v3, vcc_lo
	global_store_b64 v[22:23], v[20:21], off offset:2048
	s_or_b32 exec_lo, exec_lo, s2
	s_delay_alu instid0(SALU_CYCLE_1)
	s_mov_b32 s2, exec_lo
	v_cmpx_gt_u32_e64 s14, v35
	s_cbranch_execz .LBB83_73
.LBB83_160:
	s_waitcnt lgkmcnt(2)
	v_cvt_f64_i32_e32 v[20:21], v17
	v_add_co_u32 v22, vcc_lo, 0x1000, v2
	v_add_co_ci_u32_e32 v23, vcc_lo, 0, v3, vcc_lo
	global_store_b64 v[22:23], v[20:21], off offset:2560
	s_or_b32 exec_lo, exec_lo, s2
	s_delay_alu instid0(SALU_CYCLE_1)
	s_mov_b32 s2, exec_lo
	v_cmpx_gt_u32_e64 s14, v34
	s_cbranch_execz .LBB83_74
.LBB83_161:
	s_waitcnt lgkmcnt(1)
	v_cvt_f64_i32_e32 v[20:21], v18
	v_add_co_u32 v22, vcc_lo, 0x1000, v2
	v_add_co_ci_u32_e32 v23, vcc_lo, 0, v3, vcc_lo
	global_store_b64 v[22:23], v[20:21], off offset:3072
	s_or_b32 exec_lo, exec_lo, s2
	s_delay_alu instid0(SALU_CYCLE_1)
	s_mov_b32 s2, exec_lo
	v_cmpx_gt_u32_e64 s14, v33
	s_cbranch_execnz .LBB83_75
	s_branch .LBB83_76
	.section	.rodata,"a",@progbits
	.p2align	6, 0x0
	.amdhsa_kernel _ZN7rocprim6detail20lookback_scan_kernelILNS0_25lookback_scan_determinismE0ELb1ENS0_19wrapped_scan_configINS_14default_configEiEEN6hipcub22TransformInputIteratorIiNS6_6CastOpIiEEPilEEPdNS6_3SumEiiNS0_19lookback_scan_stateIiLb0ELb1EEEEEvT2_T3_mT5_T4_T7_jPT6_SM_bb
		.amdhsa_group_segment_fixed_size 4224
		.amdhsa_private_segment_fixed_size 0
		.amdhsa_kernarg_size 76
		.amdhsa_user_sgpr_count 15
		.amdhsa_user_sgpr_dispatch_ptr 0
		.amdhsa_user_sgpr_queue_ptr 0
		.amdhsa_user_sgpr_kernarg_segment_ptr 1
		.amdhsa_user_sgpr_dispatch_id 0
		.amdhsa_user_sgpr_private_segment_size 0
		.amdhsa_wavefront_size32 1
		.amdhsa_uses_dynamic_stack 0
		.amdhsa_enable_private_segment 0
		.amdhsa_system_sgpr_workgroup_id_x 1
		.amdhsa_system_sgpr_workgroup_id_y 0
		.amdhsa_system_sgpr_workgroup_id_z 0
		.amdhsa_system_sgpr_workgroup_info 0
		.amdhsa_system_vgpr_workitem_id 0
		.amdhsa_next_free_vgpr 70
		.amdhsa_next_free_sgpr 37
		.amdhsa_reserve_vcc 1
		.amdhsa_float_round_mode_32 0
		.amdhsa_float_round_mode_16_64 0
		.amdhsa_float_denorm_mode_32 3
		.amdhsa_float_denorm_mode_16_64 3
		.amdhsa_dx10_clamp 1
		.amdhsa_ieee_mode 1
		.amdhsa_fp16_overflow 0
		.amdhsa_workgroup_processor_mode 1
		.amdhsa_memory_ordered 1
		.amdhsa_forward_progress 0
		.amdhsa_shared_vgpr_count 0
		.amdhsa_exception_fp_ieee_invalid_op 0
		.amdhsa_exception_fp_denorm_src 0
		.amdhsa_exception_fp_ieee_div_zero 0
		.amdhsa_exception_fp_ieee_overflow 0
		.amdhsa_exception_fp_ieee_underflow 0
		.amdhsa_exception_fp_ieee_inexact 0
		.amdhsa_exception_int_div_zero 0
	.end_amdhsa_kernel
	.section	.text._ZN7rocprim6detail20lookback_scan_kernelILNS0_25lookback_scan_determinismE0ELb1ENS0_19wrapped_scan_configINS_14default_configEiEEN6hipcub22TransformInputIteratorIiNS6_6CastOpIiEEPilEEPdNS6_3SumEiiNS0_19lookback_scan_stateIiLb0ELb1EEEEEvT2_T3_mT5_T4_T7_jPT6_SM_bb,"axG",@progbits,_ZN7rocprim6detail20lookback_scan_kernelILNS0_25lookback_scan_determinismE0ELb1ENS0_19wrapped_scan_configINS_14default_configEiEEN6hipcub22TransformInputIteratorIiNS6_6CastOpIiEEPilEEPdNS6_3SumEiiNS0_19lookback_scan_stateIiLb0ELb1EEEEEvT2_T3_mT5_T4_T7_jPT6_SM_bb,comdat
.Lfunc_end83:
	.size	_ZN7rocprim6detail20lookback_scan_kernelILNS0_25lookback_scan_determinismE0ELb1ENS0_19wrapped_scan_configINS_14default_configEiEEN6hipcub22TransformInputIteratorIiNS6_6CastOpIiEEPilEEPdNS6_3SumEiiNS0_19lookback_scan_stateIiLb0ELb1EEEEEvT2_T3_mT5_T4_T7_jPT6_SM_bb, .Lfunc_end83-_ZN7rocprim6detail20lookback_scan_kernelILNS0_25lookback_scan_determinismE0ELb1ENS0_19wrapped_scan_configINS_14default_configEiEEN6hipcub22TransformInputIteratorIiNS6_6CastOpIiEEPilEEPdNS6_3SumEiiNS0_19lookback_scan_stateIiLb0ELb1EEEEEvT2_T3_mT5_T4_T7_jPT6_SM_bb
                                        ; -- End function
	.section	.AMDGPU.csdata,"",@progbits
; Kernel info:
; codeLenInByte = 7752
; NumSgprs: 39
; NumVgprs: 70
; ScratchSize: 0
; MemoryBound: 0
; FloatMode: 240
; IeeeMode: 1
; LDSByteSize: 4224 bytes/workgroup (compile time only)
; SGPRBlocks: 4
; VGPRBlocks: 8
; NumSGPRsForWavesPerEU: 39
; NumVGPRsForWavesPerEU: 70
; Occupancy: 16
; WaveLimiterHint : 1
; COMPUTE_PGM_RSRC2:SCRATCH_EN: 0
; COMPUTE_PGM_RSRC2:USER_SGPR: 15
; COMPUTE_PGM_RSRC2:TRAP_HANDLER: 0
; COMPUTE_PGM_RSRC2:TGID_X_EN: 1
; COMPUTE_PGM_RSRC2:TGID_Y_EN: 0
; COMPUTE_PGM_RSRC2:TGID_Z_EN: 0
; COMPUTE_PGM_RSRC2:TIDIG_COMP_CNT: 0
	.section	.text._ZN7rocprim6detail18single_scan_kernelILb1ENS0_19wrapped_scan_configINS_14default_configEiEEN6hipcub22TransformInputIteratorIiNS5_6CastOpIiEEPilEEPdNS5_3SumEiiEEvT1_mT4_T2_T3_,"axG",@progbits,_ZN7rocprim6detail18single_scan_kernelILb1ENS0_19wrapped_scan_configINS_14default_configEiEEN6hipcub22TransformInputIteratorIiNS5_6CastOpIiEEPilEEPdNS5_3SumEiiEEvT1_mT4_T2_T3_,comdat
	.protected	_ZN7rocprim6detail18single_scan_kernelILb1ENS0_19wrapped_scan_configINS_14default_configEiEEN6hipcub22TransformInputIteratorIiNS5_6CastOpIiEEPilEEPdNS5_3SumEiiEEvT1_mT4_T2_T3_ ; -- Begin function _ZN7rocprim6detail18single_scan_kernelILb1ENS0_19wrapped_scan_configINS_14default_configEiEEN6hipcub22TransformInputIteratorIiNS5_6CastOpIiEEPilEEPdNS5_3SumEiiEEvT1_mT4_T2_T3_
	.globl	_ZN7rocprim6detail18single_scan_kernelILb1ENS0_19wrapped_scan_configINS_14default_configEiEEN6hipcub22TransformInputIteratorIiNS5_6CastOpIiEEPilEEPdNS5_3SumEiiEEvT1_mT4_T2_T3_
	.p2align	8
	.type	_ZN7rocprim6detail18single_scan_kernelILb1ENS0_19wrapped_scan_configINS_14default_configEiEEN6hipcub22TransformInputIteratorIiNS5_6CastOpIiEEPilEEPdNS5_3SumEiiEEvT1_mT4_T2_T3_,@function
_ZN7rocprim6detail18single_scan_kernelILb1ENS0_19wrapped_scan_configINS_14default_configEiEEN6hipcub22TransformInputIteratorIiNS5_6CastOpIiEEPilEEPdNS5_3SumEiiEEvT1_mT4_T2_T3_: ; @_ZN7rocprim6detail18single_scan_kernelILb1ENS0_19wrapped_scan_configINS_14default_configEiEEN6hipcub22TransformInputIteratorIiNS5_6CastOpIiEEPilEEPdNS5_3SumEiiEEvT1_mT4_T2_T3_
; %bb.0:
	s_clause 0x1
	s_load_b64 s[2:3], s[0:1], 0x0
	s_load_b32 s20, s[0:1], 0x10
	s_waitcnt lgkmcnt(0)
	s_load_b32 s4, s[2:3], 0x0
	v_cmp_gt_u32_e32 vcc_lo, s20, v0
	s_waitcnt lgkmcnt(0)
	s_mov_b32 s5, s4
	s_mov_b32 s6, s4
	;; [unrolled: 1-line block ×15, first 2 shown]
	v_lshlrev_b32_e32 v19, 2, v0
	v_dual_mov_b32 v1, s4 :: v_dual_mov_b32 v4, s7
	v_dual_mov_b32 v2, s5 :: v_dual_mov_b32 v3, s6
	v_mov_b32_e32 v6, s9
	s_delay_alu instid0(VALU_DEP_4) | instskip(NEXT) | instid1(VALU_DEP_1)
	v_add_co_u32 v17, s2, s2, v19
	v_add_co_ci_u32_e64 v18, null, s3, 0, s2
	v_dual_mov_b32 v5, s8 :: v_dual_mov_b32 v8, s11
	v_dual_mov_b32 v7, s10 :: v_dual_mov_b32 v10, s13
	;; [unrolled: 1-line block ×6, first 2 shown]
	s_and_saveexec_b32 s2, vcc_lo
	s_cbranch_execz .LBB84_2
; %bb.1:
	global_load_b32 v20, v[17:18], off
	v_dual_mov_b32 v1, s4 :: v_dual_mov_b32 v2, s5
	v_dual_mov_b32 v3, s6 :: v_dual_mov_b32 v4, s7
	;; [unrolled: 1-line block ×8, first 2 shown]
                                        ; kill: def $vgpr1 killed $vgpr20 killed $exec
.LBB84_2:
	s_or_b32 exec_lo, exec_lo, s2
	v_or_b32_e32 v1, 64, v0
	s_delay_alu instid0(VALU_DEP_1) | instskip(NEXT) | instid1(VALU_DEP_1)
	v_cmp_gt_u32_e64 s2, s20, v1
	s_and_saveexec_b32 s3, s2
	s_cbranch_execz .LBB84_4
; %bb.3:
	global_load_b32 v2, v[17:18], off offset:256
.LBB84_4:
	s_or_b32 exec_lo, exec_lo, s3
	v_or_b32_e32 v21, 0x80, v0
	s_delay_alu instid0(VALU_DEP_1) | instskip(NEXT) | instid1(VALU_DEP_1)
	v_cmp_gt_u32_e64 s3, s20, v21
	s_and_saveexec_b32 s4, s3
	s_cbranch_execz .LBB84_6
; %bb.5:
	global_load_b32 v3, v[17:18], off offset:512
.LBB84_6:
	;; [unrolled: 9-line block ×15, first 2 shown]
	s_or_b32 exec_lo, exec_lo, s17
	v_lshrrev_b32_e32 v17, 3, v0
	v_lshrrev_b32_e32 v1, 3, v1
	;; [unrolled: 1-line block ×5, first 2 shown]
	v_and_b32_e32 v17, 4, v17
	v_and_b32_e32 v1, 12, v1
	v_lshrrev_b32_e32 v23, 3, v24
	v_and_b32_e32 v24, 28, v18
	v_and_b32_e32 v22, 60, v22
	v_add_nc_u32_e32 v17, v17, v19
	v_add_nc_u32_e32 v18, v1, v19
	v_and_b32_e32 v1, 28, v21
	v_add_nc_u32_e32 v21, v24, v19
	v_add_nc_u32_e32 v22, v22, v19
	s_waitcnt vmcnt(0)
	ds_store_b32 v17, v20
	ds_store_b32 v18, v2 offset:256
	v_and_b32_e32 v2, 60, v23
	v_add_nc_u32_e32 v20, v1, v19
	v_lshrrev_b32_e32 v1, 3, v25
	ds_store_b32 v21, v3 offset:512
	v_lshrrev_b32_e32 v3, 3, v27
	v_add_nc_u32_e32 v23, v2, v19
	v_lshrrev_b32_e32 v2, 3, v26
	v_and_b32_e32 v1, 60, v1
	ds_store_b32 v20, v4 offset:768
	ds_store_b32 v22, v5 offset:1024
	v_lshrrev_b32_e32 v4, 3, v28
	v_and_b32_e32 v3, 0x7c, v3
	ds_store_b32 v23, v6 offset:1280
	v_add_nc_u32_e32 v24, v1, v19
	v_and_b32_e32 v1, 60, v2
	v_lshrrev_b32_e32 v2, 3, v29
	v_and_b32_e32 v4, 0x7c, v4
	v_add_nc_u32_e32 v26, v3, v19
	v_lshrrev_b32_e32 v3, 3, v32
	v_add_nc_u32_e32 v25, v1, v19
	v_and_b32_e32 v1, 0x7c, v2
	v_lshrrev_b32_e32 v2, 3, v30
	v_add_nc_u32_e32 v27, v4, v19
	v_lshrrev_b32_e32 v4, 3, v33
	v_and_b32_e32 v3, 0x7c, v3
	v_add_nc_u32_e32 v28, v1, v19
	v_and_b32_e32 v1, 0x7c, v2
	v_lshrrev_b32_e32 v2, 3, v31
	v_and_b32_e32 v4, 0x7c, v4
	v_add_nc_u32_e32 v31, v3, v19
	v_lshrrev_b32_e32 v3, 1, v0
	v_add_nc_u32_e32 v29, v1, v19
	v_and_b32_e32 v1, 0x7c, v2
	v_lshrrev_b32_e32 v2, 3, v34
	v_add_nc_u32_e32 v32, v4, v19
	ds_store_b32 v24, v7 offset:1536
	ds_store_b32 v25, v8 offset:1792
	v_add_nc_u32_e32 v30, v1, v19
	v_and_b32_e32 v1, 0x7c, v2
	v_lshlrev_b32_e32 v2, 4, v0
	ds_store_b32 v26, v9 offset:2048
	ds_store_b32 v27, v10 offset:2304
	;; [unrolled: 1-line block ×4, first 2 shown]
	v_add_nc_u32_e32 v19, v1, v19
	v_add_lshl_u32 v33, v3, v2, 2
	ds_store_b32 v30, v13 offset:3072
	ds_store_b32 v31, v14 offset:3328
	;; [unrolled: 1-line block ×3, first 2 shown]
	s_mov_b32 s18, exec_lo
	ds_store_b32 v19, v16 offset:3840
	s_waitcnt lgkmcnt(0)
	s_barrier
	buffer_gl0_inv
	ds_load_2addr_b32 v[9:10], v33 offset1:1
	ds_load_2addr_b32 v[5:6], v33 offset0:2 offset1:3
	ds_load_2addr_b32 v[3:4], v33 offset0:4 offset1:5
	;; [unrolled: 1-line block ×5, first 2 shown]
	s_waitcnt lgkmcnt(5)
	v_add_nc_u32_e32 v7, v10, v9
	s_waitcnt lgkmcnt(4)
	s_delay_alu instid0(VALU_DEP_1) | instskip(SKIP_1) | instid1(VALU_DEP_1)
	v_add3_u32 v7, v7, v5, v6
	s_waitcnt lgkmcnt(3)
	v_add3_u32 v34, v7, v3, v4
	ds_load_2addr_b32 v[15:16], v33 offset0:12 offset1:13
	ds_load_2addr_b32 v[7:8], v33 offset0:14 offset1:15
	s_waitcnt lgkmcnt(0)
	s_barrier
	buffer_gl0_inv
	v_add3_u32 v34, v34, v1, v2
	s_delay_alu instid0(VALU_DEP_1) | instskip(NEXT) | instid1(VALU_DEP_1)
	v_add3_u32 v34, v34, v11, v12
	v_add3_u32 v34, v34, v13, v14
	s_delay_alu instid0(VALU_DEP_1) | instskip(NEXT) | instid1(VALU_DEP_1)
	v_add3_u32 v34, v34, v15, v16
	v_add3_u32 v8, v34, v7, v8
	ds_store_b32 v17, v8
	s_waitcnt lgkmcnt(0)
	s_barrier
	buffer_gl0_inv
	v_cmpx_gt_u32_e32 32, v0
	s_cbranch_execz .LBB84_34
; %bb.33:
	v_lshrrev_b32_e32 v34, 2, v0
	v_mbcnt_lo_u32_b32 v37, -1, 0
	s_delay_alu instid0(VALU_DEP_2) | instskip(NEXT) | instid1(VALU_DEP_2)
	v_and_b32_e32 v34, 12, v34
	v_and_b32_e32 v39, 15, v37
	v_add_nc_u32_e32 v41, -1, v37
	s_delay_alu instid0(VALU_DEP_3) | instskip(NEXT) | instid1(VALU_DEP_3)
	v_lshl_or_b32 v36, v0, 3, v34
	v_cmp_ne_u32_e64 s17, 0, v39
	ds_load_2addr_b32 v[34:35], v36 offset1:1
	s_waitcnt lgkmcnt(0)
	v_add_nc_u32_e32 v38, v35, v34
	s_delay_alu instid0(VALU_DEP_1) | instskip(NEXT) | instid1(VALU_DEP_1)
	v_mov_b32_dpp v40, v38 row_shr:1 row_mask:0xf bank_mask:0xf
	v_cndmask_b32_e64 v40, 0, v40, s17
	v_cmp_lt_u32_e64 s17, 1, v39
	s_delay_alu instid0(VALU_DEP_2) | instskip(NEXT) | instid1(VALU_DEP_1)
	v_add_nc_u32_e32 v38, v40, v38
	v_mov_b32_dpp v40, v38 row_shr:2 row_mask:0xf bank_mask:0xf
	s_delay_alu instid0(VALU_DEP_1) | instskip(SKIP_1) | instid1(VALU_DEP_2)
	v_cndmask_b32_e64 v40, 0, v40, s17
	v_cmp_lt_u32_e64 s17, 3, v39
	v_add_nc_u32_e32 v38, v38, v40
	s_delay_alu instid0(VALU_DEP_1) | instskip(NEXT) | instid1(VALU_DEP_1)
	v_mov_b32_dpp v40, v38 row_shr:4 row_mask:0xf bank_mask:0xf
	v_cndmask_b32_e64 v40, 0, v40, s17
	v_cmp_lt_u32_e64 s17, 7, v39
	s_delay_alu instid0(VALU_DEP_2) | instskip(NEXT) | instid1(VALU_DEP_1)
	v_add_nc_u32_e32 v38, v38, v40
	v_mov_b32_dpp v40, v38 row_shr:8 row_mask:0xf bank_mask:0xf
	s_delay_alu instid0(VALU_DEP_1) | instskip(SKIP_2) | instid1(VALU_DEP_3)
	v_cndmask_b32_e64 v39, 0, v40, s17
	v_bfe_i32 v40, v37, 4, 1
	v_cmp_gt_i32_e64 s17, 0, v41
	v_add_nc_u32_e32 v38, v38, v39
	s_delay_alu instid0(VALU_DEP_2)
	v_cndmask_b32_e64 v37, v41, v37, s17
	v_cmp_eq_u32_e64 s17, 0, v0
	ds_swizzle_b32 v39, v38 offset:swizzle(BROADCAST,32,15)
	v_lshlrev_b32_e32 v37, 2, v37
	s_waitcnt lgkmcnt(0)
	v_and_b32_e32 v39, v40, v39
	s_delay_alu instid0(VALU_DEP_1) | instskip(SKIP_3) | instid1(VALU_DEP_1)
	v_add_nc_u32_e32 v38, v38, v39
	ds_bpermute_b32 v37, v37, v38
	s_waitcnt lgkmcnt(0)
	v_add_nc_u32_e32 v34, v37, v34
	v_cndmask_b32_e64 v8, v34, v8, s17
	s_delay_alu instid0(VALU_DEP_1)
	v_add_nc_u32_e32 v34, v8, v35
	ds_store_2addr_b32 v36, v8, v34 offset1:1
.LBB84_34:
	s_or_b32 exec_lo, exec_lo, s18
	s_load_b32 s18, s[0:1], 0x18
	s_mov_b32 s19, exec_lo
	s_waitcnt lgkmcnt(0)
	s_barrier
	buffer_gl0_inv
	v_mov_b32_e32 v8, s18
	v_cmpx_ne_u32_e32 0, v0
	s_cbranch_execz .LBB84_36
; %bb.35:
	v_add_nc_u32_e32 v8, -1, v0
	s_delay_alu instid0(VALU_DEP_1) | instskip(NEXT) | instid1(VALU_DEP_1)
	v_lshrrev_b32_e32 v34, 5, v8
	v_add_lshl_u32 v8, v34, v8, 2
	ds_load_b32 v8, v8
	s_waitcnt lgkmcnt(0)
	v_add_nc_u32_e32 v8, s18, v8
.LBB84_36:
	s_or_b32 exec_lo, exec_lo, s19
	s_delay_alu instid0(VALU_DEP_1)
	v_add_nc_u32_e32 v9, v8, v9
	s_barrier
	buffer_gl0_inv
	s_load_b64 s[0:1], s[0:1], 0x20
	v_add_nc_u32_e32 v10, v9, v10
	v_lshlrev_b32_e32 v0, 3, v0
	s_delay_alu instid0(VALU_DEP_2) | instskip(NEXT) | instid1(VALU_DEP_1)
	v_add_nc_u32_e32 v5, v10, v5
	v_add_nc_u32_e32 v6, v5, v6
	s_delay_alu instid0(VALU_DEP_1) | instskip(SKIP_2) | instid1(VALU_DEP_2)
	v_add_nc_u32_e32 v3, v6, v3
	s_waitcnt lgkmcnt(0)
	v_add_co_u32 v0, s0, s0, v0
	v_add_nc_u32_e32 v4, v3, v4
	s_delay_alu instid0(VALU_DEP_1) | instskip(NEXT) | instid1(VALU_DEP_1)
	v_add_nc_u32_e32 v1, v4, v1
	v_add_nc_u32_e32 v2, v1, v2
	s_delay_alu instid0(VALU_DEP_1) | instskip(NEXT) | instid1(VALU_DEP_1)
	v_add_nc_u32_e32 v11, v2, v11
	;; [unrolled: 3-line block ×4, first 2 shown]
	v_add_nc_u32_e32 v16, v15, v16
	s_delay_alu instid0(VALU_DEP_1)
	v_add_nc_u32_e32 v7, v16, v7
	ds_store_2addr_b32 v33, v8, v9 offset1:1
	ds_store_2addr_b32 v33, v10, v5 offset0:2 offset1:3
	ds_store_2addr_b32 v33, v6, v3 offset0:4 offset1:5
	;; [unrolled: 1-line block ×7, first 2 shown]
	s_waitcnt lgkmcnt(0)
	s_barrier
	buffer_gl0_inv
	ds_load_b32 v16, v18 offset:256
	ds_load_b32 v15, v21 offset:512
	;; [unrolled: 1-line block ×15, first 2 shown]
	v_add_co_ci_u32_e64 v1, null, s1, 0, s0
	s_and_saveexec_b32 s0, vcc_lo
	s_cbranch_execnz .LBB84_53
; %bb.37:
	s_or_b32 exec_lo, exec_lo, s0
	s_and_saveexec_b32 s0, s2
	s_cbranch_execnz .LBB84_54
.LBB84_38:
	s_or_b32 exec_lo, exec_lo, s0
	s_and_saveexec_b32 s0, s3
	s_cbranch_execnz .LBB84_55
.LBB84_39:
	s_or_b32 exec_lo, exec_lo, s0
	s_and_saveexec_b32 s0, s4
	s_cbranch_execnz .LBB84_56
.LBB84_40:
	s_or_b32 exec_lo, exec_lo, s0
	s_and_saveexec_b32 s0, s5
	s_cbranch_execnz .LBB84_57
.LBB84_41:
	s_or_b32 exec_lo, exec_lo, s0
	s_and_saveexec_b32 s0, s6
	s_cbranch_execnz .LBB84_58
.LBB84_42:
	s_or_b32 exec_lo, exec_lo, s0
	s_and_saveexec_b32 s0, s7
	s_cbranch_execnz .LBB84_59
.LBB84_43:
	s_or_b32 exec_lo, exec_lo, s0
	s_and_saveexec_b32 s0, s8
	s_cbranch_execnz .LBB84_60
.LBB84_44:
	s_or_b32 exec_lo, exec_lo, s0
	s_and_saveexec_b32 s0, s9
	s_cbranch_execnz .LBB84_61
.LBB84_45:
	s_or_b32 exec_lo, exec_lo, s0
	s_and_saveexec_b32 s0, s10
	s_cbranch_execnz .LBB84_62
.LBB84_46:
	s_or_b32 exec_lo, exec_lo, s0
	s_and_saveexec_b32 s0, s11
	s_cbranch_execnz .LBB84_63
.LBB84_47:
	s_or_b32 exec_lo, exec_lo, s0
	s_and_saveexec_b32 s0, s12
	s_cbranch_execnz .LBB84_64
.LBB84_48:
	s_or_b32 exec_lo, exec_lo, s0
	s_and_saveexec_b32 s0, s13
	s_cbranch_execnz .LBB84_65
.LBB84_49:
	s_or_b32 exec_lo, exec_lo, s0
	s_and_saveexec_b32 s0, s14
	s_cbranch_execnz .LBB84_66
.LBB84_50:
	s_or_b32 exec_lo, exec_lo, s0
	s_and_saveexec_b32 s0, s15
	s_cbranch_execnz .LBB84_67
.LBB84_51:
	s_or_b32 exec_lo, exec_lo, s0
	s_and_saveexec_b32 s0, s16
	s_cbranch_execnz .LBB84_68
.LBB84_52:
	s_nop 0
	s_sendmsg sendmsg(MSG_DEALLOC_VGPRS)
	s_endpgm
.LBB84_53:
	ds_load_b32 v17, v17
	s_waitcnt lgkmcnt(0)
	v_cvt_f64_i32_e32 v[17:18], v17
	global_store_b64 v[0:1], v[17:18], off
	s_or_b32 exec_lo, exec_lo, s0
	s_and_saveexec_b32 s0, s2
	s_cbranch_execz .LBB84_38
.LBB84_54:
	s_waitcnt lgkmcnt(14)
	v_cvt_f64_i32_e32 v[16:17], v16
	global_store_b64 v[0:1], v[16:17], off offset:512
	s_or_b32 exec_lo, exec_lo, s0
	s_and_saveexec_b32 s0, s3
	s_cbranch_execz .LBB84_39
.LBB84_55:
	s_waitcnt lgkmcnt(13)
	v_cvt_f64_i32_e32 v[15:16], v15
	global_store_b64 v[0:1], v[15:16], off offset:1024
	s_or_b32 exec_lo, exec_lo, s0
	s_and_saveexec_b32 s0, s4
	s_cbranch_execz .LBB84_40
.LBB84_56:
	s_waitcnt lgkmcnt(12)
	v_cvt_f64_i32_e32 v[14:15], v14
	global_store_b64 v[0:1], v[14:15], off offset:1536
	s_or_b32 exec_lo, exec_lo, s0
	s_and_saveexec_b32 s0, s5
	s_cbranch_execz .LBB84_41
.LBB84_57:
	s_waitcnt lgkmcnt(11)
	v_cvt_f64_i32_e32 v[13:14], v13
	global_store_b64 v[0:1], v[13:14], off offset:2048
	s_or_b32 exec_lo, exec_lo, s0
	s_and_saveexec_b32 s0, s6
	s_cbranch_execz .LBB84_42
.LBB84_58:
	s_waitcnt lgkmcnt(10)
	v_cvt_f64_i32_e32 v[12:13], v12
	global_store_b64 v[0:1], v[12:13], off offset:2560
	s_or_b32 exec_lo, exec_lo, s0
	s_and_saveexec_b32 s0, s7
	s_cbranch_execz .LBB84_43
.LBB84_59:
	s_waitcnt lgkmcnt(9)
	v_cvt_f64_i32_e32 v[11:12], v11
	global_store_b64 v[0:1], v[11:12], off offset:3072
	s_or_b32 exec_lo, exec_lo, s0
	s_and_saveexec_b32 s0, s8
	s_cbranch_execz .LBB84_44
.LBB84_60:
	s_waitcnt lgkmcnt(8)
	v_cvt_f64_i32_e32 v[10:11], v10
	global_store_b64 v[0:1], v[10:11], off offset:3584
	s_or_b32 exec_lo, exec_lo, s0
	s_and_saveexec_b32 s0, s9
	s_cbranch_execz .LBB84_45
.LBB84_61:
	s_waitcnt lgkmcnt(7)
	v_cvt_f64_i32_e32 v[9:10], v9
	v_add_co_u32 v11, vcc_lo, 0x1000, v0
	v_add_co_ci_u32_e32 v12, vcc_lo, 0, v1, vcc_lo
	global_store_b64 v[11:12], v[9:10], off
	s_or_b32 exec_lo, exec_lo, s0
	s_and_saveexec_b32 s0, s10
	s_cbranch_execz .LBB84_46
.LBB84_62:
	s_waitcnt lgkmcnt(6)
	v_cvt_f64_i32_e32 v[8:9], v8
	v_add_co_u32 v10, vcc_lo, 0x1000, v0
	v_add_co_ci_u32_e32 v11, vcc_lo, 0, v1, vcc_lo
	global_store_b64 v[10:11], v[8:9], off offset:512
	s_or_b32 exec_lo, exec_lo, s0
	s_and_saveexec_b32 s0, s11
	s_cbranch_execz .LBB84_47
.LBB84_63:
	s_waitcnt lgkmcnt(5)
	v_cvt_f64_i32_e32 v[7:8], v7
	v_add_co_u32 v9, vcc_lo, 0x1000, v0
	v_add_co_ci_u32_e32 v10, vcc_lo, 0, v1, vcc_lo
	global_store_b64 v[9:10], v[7:8], off offset:1024
	s_or_b32 exec_lo, exec_lo, s0
	s_and_saveexec_b32 s0, s12
	s_cbranch_execz .LBB84_48
.LBB84_64:
	s_waitcnt lgkmcnt(4)
	v_cvt_f64_i32_e32 v[6:7], v6
	v_add_co_u32 v8, vcc_lo, 0x1000, v0
	v_add_co_ci_u32_e32 v9, vcc_lo, 0, v1, vcc_lo
	global_store_b64 v[8:9], v[6:7], off offset:1536
	s_or_b32 exec_lo, exec_lo, s0
	s_and_saveexec_b32 s0, s13
	s_cbranch_execz .LBB84_49
.LBB84_65:
	s_waitcnt lgkmcnt(3)
	v_cvt_f64_i32_e32 v[5:6], v5
	v_add_co_u32 v7, vcc_lo, 0x1000, v0
	v_add_co_ci_u32_e32 v8, vcc_lo, 0, v1, vcc_lo
	global_store_b64 v[7:8], v[5:6], off offset:2048
	s_or_b32 exec_lo, exec_lo, s0
	s_and_saveexec_b32 s0, s14
	s_cbranch_execz .LBB84_50
.LBB84_66:
	s_waitcnt lgkmcnt(2)
	v_cvt_f64_i32_e32 v[4:5], v4
	v_add_co_u32 v6, vcc_lo, 0x1000, v0
	v_add_co_ci_u32_e32 v7, vcc_lo, 0, v1, vcc_lo
	global_store_b64 v[6:7], v[4:5], off offset:2560
	s_or_b32 exec_lo, exec_lo, s0
	s_and_saveexec_b32 s0, s15
	s_cbranch_execz .LBB84_51
.LBB84_67:
	s_waitcnt lgkmcnt(1)
	v_cvt_f64_i32_e32 v[3:4], v3
	v_add_co_u32 v5, vcc_lo, 0x1000, v0
	v_add_co_ci_u32_e32 v6, vcc_lo, 0, v1, vcc_lo
	global_store_b64 v[5:6], v[3:4], off offset:3072
	s_or_b32 exec_lo, exec_lo, s0
	s_and_saveexec_b32 s0, s16
	s_cbranch_execz .LBB84_52
.LBB84_68:
	s_waitcnt lgkmcnt(0)
	v_cvt_f64_i32_e32 v[2:3], v2
	v_add_co_u32 v0, vcc_lo, 0x1000, v0
	v_add_co_ci_u32_e32 v1, vcc_lo, 0, v1, vcc_lo
	global_store_b64 v[0:1], v[2:3], off offset:3584
	s_nop 0
	s_sendmsg sendmsg(MSG_DEALLOC_VGPRS)
	s_endpgm
	.section	.rodata,"a",@progbits
	.p2align	6, 0x0
	.amdhsa_kernel _ZN7rocprim6detail18single_scan_kernelILb1ENS0_19wrapped_scan_configINS_14default_configEiEEN6hipcub22TransformInputIteratorIiNS5_6CastOpIiEEPilEEPdNS5_3SumEiiEEvT1_mT4_T2_T3_
		.amdhsa_group_segment_fixed_size 4224
		.amdhsa_private_segment_fixed_size 0
		.amdhsa_kernarg_size 44
		.amdhsa_user_sgpr_count 15
		.amdhsa_user_sgpr_dispatch_ptr 0
		.amdhsa_user_sgpr_queue_ptr 0
		.amdhsa_user_sgpr_kernarg_segment_ptr 1
		.amdhsa_user_sgpr_dispatch_id 0
		.amdhsa_user_sgpr_private_segment_size 0
		.amdhsa_wavefront_size32 1
		.amdhsa_uses_dynamic_stack 0
		.amdhsa_enable_private_segment 0
		.amdhsa_system_sgpr_workgroup_id_x 1
		.amdhsa_system_sgpr_workgroup_id_y 0
		.amdhsa_system_sgpr_workgroup_id_z 0
		.amdhsa_system_sgpr_workgroup_info 0
		.amdhsa_system_vgpr_workitem_id 0
		.amdhsa_next_free_vgpr 42
		.amdhsa_next_free_sgpr 21
		.amdhsa_reserve_vcc 1
		.amdhsa_float_round_mode_32 0
		.amdhsa_float_round_mode_16_64 0
		.amdhsa_float_denorm_mode_32 3
		.amdhsa_float_denorm_mode_16_64 3
		.amdhsa_dx10_clamp 1
		.amdhsa_ieee_mode 1
		.amdhsa_fp16_overflow 0
		.amdhsa_workgroup_processor_mode 1
		.amdhsa_memory_ordered 1
		.amdhsa_forward_progress 0
		.amdhsa_shared_vgpr_count 0
		.amdhsa_exception_fp_ieee_invalid_op 0
		.amdhsa_exception_fp_denorm_src 0
		.amdhsa_exception_fp_ieee_div_zero 0
		.amdhsa_exception_fp_ieee_overflow 0
		.amdhsa_exception_fp_ieee_underflow 0
		.amdhsa_exception_fp_ieee_inexact 0
		.amdhsa_exception_int_div_zero 0
	.end_amdhsa_kernel
	.section	.text._ZN7rocprim6detail18single_scan_kernelILb1ENS0_19wrapped_scan_configINS_14default_configEiEEN6hipcub22TransformInputIteratorIiNS5_6CastOpIiEEPilEEPdNS5_3SumEiiEEvT1_mT4_T2_T3_,"axG",@progbits,_ZN7rocprim6detail18single_scan_kernelILb1ENS0_19wrapped_scan_configINS_14default_configEiEEN6hipcub22TransformInputIteratorIiNS5_6CastOpIiEEPilEEPdNS5_3SumEiiEEvT1_mT4_T2_T3_,comdat
.Lfunc_end84:
	.size	_ZN7rocprim6detail18single_scan_kernelILb1ENS0_19wrapped_scan_configINS_14default_configEiEEN6hipcub22TransformInputIteratorIiNS5_6CastOpIiEEPilEEPdNS5_3SumEiiEEvT1_mT4_T2_T3_, .Lfunc_end84-_ZN7rocprim6detail18single_scan_kernelILb1ENS0_19wrapped_scan_configINS_14default_configEiEEN6hipcub22TransformInputIteratorIiNS5_6CastOpIiEEPilEEPdNS5_3SumEiiEEvT1_mT4_T2_T3_
                                        ; -- End function
	.section	.AMDGPU.csdata,"",@progbits
; Kernel info:
; codeLenInByte = 2960
; NumSgprs: 23
; NumVgprs: 42
; ScratchSize: 0
; MemoryBound: 0
; FloatMode: 240
; IeeeMode: 1
; LDSByteSize: 4224 bytes/workgroup (compile time only)
; SGPRBlocks: 2
; VGPRBlocks: 5
; NumSGPRsForWavesPerEU: 23
; NumVGPRsForWavesPerEU: 42
; Occupancy: 16
; WaveLimiterHint : 0
; COMPUTE_PGM_RSRC2:SCRATCH_EN: 0
; COMPUTE_PGM_RSRC2:USER_SGPR: 15
; COMPUTE_PGM_RSRC2:TRAP_HANDLER: 0
; COMPUTE_PGM_RSRC2:TGID_X_EN: 1
; COMPUTE_PGM_RSRC2:TGID_Y_EN: 0
; COMPUTE_PGM_RSRC2:TGID_Z_EN: 0
; COMPUTE_PGM_RSRC2:TIDIG_COMP_CNT: 0
	.section	.text._ZN7rocprim6detail20lookback_scan_kernelILNS0_25lookback_scan_determinismE0ELb1ENS0_19wrapped_scan_configINS_14default_configEsEEN6hipcub22TransformInputIteratorIsNS6_6CastOpIsEEPslEEPfNS6_3MaxEssNS0_19lookback_scan_stateIsLb1ELb1EEEEEvT2_T3_mT5_T4_T7_jPT6_SM_bb,"axG",@progbits,_ZN7rocprim6detail20lookback_scan_kernelILNS0_25lookback_scan_determinismE0ELb1ENS0_19wrapped_scan_configINS_14default_configEsEEN6hipcub22TransformInputIteratorIsNS6_6CastOpIsEEPslEEPfNS6_3MaxEssNS0_19lookback_scan_stateIsLb1ELb1EEEEEvT2_T3_mT5_T4_T7_jPT6_SM_bb,comdat
	.protected	_ZN7rocprim6detail20lookback_scan_kernelILNS0_25lookback_scan_determinismE0ELb1ENS0_19wrapped_scan_configINS_14default_configEsEEN6hipcub22TransformInputIteratorIsNS6_6CastOpIsEEPslEEPfNS6_3MaxEssNS0_19lookback_scan_stateIsLb1ELb1EEEEEvT2_T3_mT5_T4_T7_jPT6_SM_bb ; -- Begin function _ZN7rocprim6detail20lookback_scan_kernelILNS0_25lookback_scan_determinismE0ELb1ENS0_19wrapped_scan_configINS_14default_configEsEEN6hipcub22TransformInputIteratorIsNS6_6CastOpIsEEPslEEPfNS6_3MaxEssNS0_19lookback_scan_stateIsLb1ELb1EEEEEvT2_T3_mT5_T4_T7_jPT6_SM_bb
	.globl	_ZN7rocprim6detail20lookback_scan_kernelILNS0_25lookback_scan_determinismE0ELb1ENS0_19wrapped_scan_configINS_14default_configEsEEN6hipcub22TransformInputIteratorIsNS6_6CastOpIsEEPslEEPfNS6_3MaxEssNS0_19lookback_scan_stateIsLb1ELb1EEEEEvT2_T3_mT5_T4_T7_jPT6_SM_bb
	.p2align	8
	.type	_ZN7rocprim6detail20lookback_scan_kernelILNS0_25lookback_scan_determinismE0ELb1ENS0_19wrapped_scan_configINS_14default_configEsEEN6hipcub22TransformInputIteratorIsNS6_6CastOpIsEEPslEEPfNS6_3MaxEssNS0_19lookback_scan_stateIsLb1ELb1EEEEEvT2_T3_mT5_T4_T7_jPT6_SM_bb,@function
_ZN7rocprim6detail20lookback_scan_kernelILNS0_25lookback_scan_determinismE0ELb1ENS0_19wrapped_scan_configINS_14default_configEsEEN6hipcub22TransformInputIteratorIsNS6_6CastOpIsEEPslEEPfNS6_3MaxEssNS0_19lookback_scan_stateIsLb1ELb1EEEEEvT2_T3_mT5_T4_T7_jPT6_SM_bb: ; @_ZN7rocprim6detail20lookback_scan_kernelILNS0_25lookback_scan_determinismE0ELb1ENS0_19wrapped_scan_configINS_14default_configEsEEN6hipcub22TransformInputIteratorIsNS6_6CastOpIsEEPslEEPfNS6_3MaxEssNS0_19lookback_scan_stateIsLb1ELb1EEEEEvT2_T3_mT5_T4_T7_jPT6_SM_bb
; %bb.0:
	s_endpgm
	.section	.rodata,"a",@progbits
	.p2align	6, 0x0
	.amdhsa_kernel _ZN7rocprim6detail20lookback_scan_kernelILNS0_25lookback_scan_determinismE0ELb1ENS0_19wrapped_scan_configINS_14default_configEsEEN6hipcub22TransformInputIteratorIsNS6_6CastOpIsEEPslEEPfNS6_3MaxEssNS0_19lookback_scan_stateIsLb1ELb1EEEEEvT2_T3_mT5_T4_T7_jPT6_SM_bb
		.amdhsa_group_segment_fixed_size 0
		.amdhsa_private_segment_fixed_size 0
		.amdhsa_kernarg_size 76
		.amdhsa_user_sgpr_count 15
		.amdhsa_user_sgpr_dispatch_ptr 0
		.amdhsa_user_sgpr_queue_ptr 0
		.amdhsa_user_sgpr_kernarg_segment_ptr 1
		.amdhsa_user_sgpr_dispatch_id 0
		.amdhsa_user_sgpr_private_segment_size 0
		.amdhsa_wavefront_size32 1
		.amdhsa_uses_dynamic_stack 0
		.amdhsa_enable_private_segment 0
		.amdhsa_system_sgpr_workgroup_id_x 1
		.amdhsa_system_sgpr_workgroup_id_y 0
		.amdhsa_system_sgpr_workgroup_id_z 0
		.amdhsa_system_sgpr_workgroup_info 0
		.amdhsa_system_vgpr_workitem_id 0
		.amdhsa_next_free_vgpr 1
		.amdhsa_next_free_sgpr 1
		.amdhsa_reserve_vcc 0
		.amdhsa_float_round_mode_32 0
		.amdhsa_float_round_mode_16_64 0
		.amdhsa_float_denorm_mode_32 3
		.amdhsa_float_denorm_mode_16_64 3
		.amdhsa_dx10_clamp 1
		.amdhsa_ieee_mode 1
		.amdhsa_fp16_overflow 0
		.amdhsa_workgroup_processor_mode 1
		.amdhsa_memory_ordered 1
		.amdhsa_forward_progress 0
		.amdhsa_shared_vgpr_count 0
		.amdhsa_exception_fp_ieee_invalid_op 0
		.amdhsa_exception_fp_denorm_src 0
		.amdhsa_exception_fp_ieee_div_zero 0
		.amdhsa_exception_fp_ieee_overflow 0
		.amdhsa_exception_fp_ieee_underflow 0
		.amdhsa_exception_fp_ieee_inexact 0
		.amdhsa_exception_int_div_zero 0
	.end_amdhsa_kernel
	.section	.text._ZN7rocprim6detail20lookback_scan_kernelILNS0_25lookback_scan_determinismE0ELb1ENS0_19wrapped_scan_configINS_14default_configEsEEN6hipcub22TransformInputIteratorIsNS6_6CastOpIsEEPslEEPfNS6_3MaxEssNS0_19lookback_scan_stateIsLb1ELb1EEEEEvT2_T3_mT5_T4_T7_jPT6_SM_bb,"axG",@progbits,_ZN7rocprim6detail20lookback_scan_kernelILNS0_25lookback_scan_determinismE0ELb1ENS0_19wrapped_scan_configINS_14default_configEsEEN6hipcub22TransformInputIteratorIsNS6_6CastOpIsEEPslEEPfNS6_3MaxEssNS0_19lookback_scan_stateIsLb1ELb1EEEEEvT2_T3_mT5_T4_T7_jPT6_SM_bb,comdat
.Lfunc_end85:
	.size	_ZN7rocprim6detail20lookback_scan_kernelILNS0_25lookback_scan_determinismE0ELb1ENS0_19wrapped_scan_configINS_14default_configEsEEN6hipcub22TransformInputIteratorIsNS6_6CastOpIsEEPslEEPfNS6_3MaxEssNS0_19lookback_scan_stateIsLb1ELb1EEEEEvT2_T3_mT5_T4_T7_jPT6_SM_bb, .Lfunc_end85-_ZN7rocprim6detail20lookback_scan_kernelILNS0_25lookback_scan_determinismE0ELb1ENS0_19wrapped_scan_configINS_14default_configEsEEN6hipcub22TransformInputIteratorIsNS6_6CastOpIsEEPslEEPfNS6_3MaxEssNS0_19lookback_scan_stateIsLb1ELb1EEEEEvT2_T3_mT5_T4_T7_jPT6_SM_bb
                                        ; -- End function
	.section	.AMDGPU.csdata,"",@progbits
; Kernel info:
; codeLenInByte = 4
; NumSgprs: 0
; NumVgprs: 0
; ScratchSize: 0
; MemoryBound: 0
; FloatMode: 240
; IeeeMode: 1
; LDSByteSize: 0 bytes/workgroup (compile time only)
; SGPRBlocks: 0
; VGPRBlocks: 0
; NumSGPRsForWavesPerEU: 1
; NumVGPRsForWavesPerEU: 1
; Occupancy: 16
; WaveLimiterHint : 0
; COMPUTE_PGM_RSRC2:SCRATCH_EN: 0
; COMPUTE_PGM_RSRC2:USER_SGPR: 15
; COMPUTE_PGM_RSRC2:TRAP_HANDLER: 0
; COMPUTE_PGM_RSRC2:TGID_X_EN: 1
; COMPUTE_PGM_RSRC2:TGID_Y_EN: 0
; COMPUTE_PGM_RSRC2:TGID_Z_EN: 0
; COMPUTE_PGM_RSRC2:TIDIG_COMP_CNT: 0
	.section	.text._ZN7rocprim6detail20lookback_scan_kernelILNS0_25lookback_scan_determinismE0ELb1ENS0_19wrapped_scan_configINS_14default_configEsEEN6hipcub22TransformInputIteratorIsNS6_6CastOpIsEEPslEEPfNS6_3MaxEssNS0_19lookback_scan_stateIsLb0ELb1EEEEEvT2_T3_mT5_T4_T7_jPT6_SM_bb,"axG",@progbits,_ZN7rocprim6detail20lookback_scan_kernelILNS0_25lookback_scan_determinismE0ELb1ENS0_19wrapped_scan_configINS_14default_configEsEEN6hipcub22TransformInputIteratorIsNS6_6CastOpIsEEPslEEPfNS6_3MaxEssNS0_19lookback_scan_stateIsLb0ELb1EEEEEvT2_T3_mT5_T4_T7_jPT6_SM_bb,comdat
	.protected	_ZN7rocprim6detail20lookback_scan_kernelILNS0_25lookback_scan_determinismE0ELb1ENS0_19wrapped_scan_configINS_14default_configEsEEN6hipcub22TransformInputIteratorIsNS6_6CastOpIsEEPslEEPfNS6_3MaxEssNS0_19lookback_scan_stateIsLb0ELb1EEEEEvT2_T3_mT5_T4_T7_jPT6_SM_bb ; -- Begin function _ZN7rocprim6detail20lookback_scan_kernelILNS0_25lookback_scan_determinismE0ELb1ENS0_19wrapped_scan_configINS_14default_configEsEEN6hipcub22TransformInputIteratorIsNS6_6CastOpIsEEPslEEPfNS6_3MaxEssNS0_19lookback_scan_stateIsLb0ELb1EEEEEvT2_T3_mT5_T4_T7_jPT6_SM_bb
	.globl	_ZN7rocprim6detail20lookback_scan_kernelILNS0_25lookback_scan_determinismE0ELb1ENS0_19wrapped_scan_configINS_14default_configEsEEN6hipcub22TransformInputIteratorIsNS6_6CastOpIsEEPslEEPfNS6_3MaxEssNS0_19lookback_scan_stateIsLb0ELb1EEEEEvT2_T3_mT5_T4_T7_jPT6_SM_bb
	.p2align	8
	.type	_ZN7rocprim6detail20lookback_scan_kernelILNS0_25lookback_scan_determinismE0ELb1ENS0_19wrapped_scan_configINS_14default_configEsEEN6hipcub22TransformInputIteratorIsNS6_6CastOpIsEEPslEEPfNS6_3MaxEssNS0_19lookback_scan_stateIsLb0ELb1EEEEEvT2_T3_mT5_T4_T7_jPT6_SM_bb,@function
_ZN7rocprim6detail20lookback_scan_kernelILNS0_25lookback_scan_determinismE0ELb1ENS0_19wrapped_scan_configINS_14default_configEsEEN6hipcub22TransformInputIteratorIsNS6_6CastOpIsEEPslEEPfNS6_3MaxEssNS0_19lookback_scan_stateIsLb0ELb1EEEEEvT2_T3_mT5_T4_T7_jPT6_SM_bb: ; @_ZN7rocprim6detail20lookback_scan_kernelILNS0_25lookback_scan_determinismE0ELb1ENS0_19wrapped_scan_configINS_14default_configEsEEN6hipcub22TransformInputIteratorIsNS6_6CastOpIsEEPslEEPfNS6_3MaxEssNS0_19lookback_scan_stateIsLb0ELb1EEEEEvT2_T3_mT5_T4_T7_jPT6_SM_bb
; %bb.0:
	s_clause 0x2
	s_load_b32 s2, s[0:1], 0x30
	s_load_b128 s[8:11], s[0:1], 0x10
	s_load_b64 s[16:17], s[0:1], 0x0
	s_mov_b32 s13, 0
	s_mul_i32 s12, s15, 0x580
	v_lshlrev_b32_e32 v16, 1, v0
	s_waitcnt lgkmcnt(0)
	s_add_i32 s2, s2, -1
	s_delay_alu instid0(SALU_CYCLE_1) | instskip(NEXT) | instid1(SALU_CYCLE_1)
	s_mul_i32 s3, s2, 0x580
	s_sub_u32 s14, s10, s3
	s_subb_u32 s18, s11, 0
	s_cmp_lg_u32 s15, s2
	s_cselect_b32 s19, -1, 0
	s_lshl_b64 s[2:3], s[12:13], 1
	s_delay_alu instid0(SALU_CYCLE_1)
	s_add_u32 s4, s16, s2
	s_addc_u32 s5, s17, s3
	s_and_b32 vcc_lo, exec_lo, s19
	s_mov_b32 s3, -1
	s_cbranch_vccz .LBB86_2
; %bb.1:
	s_clause 0x15
	global_load_u16 v1, v16, s[4:5]
	global_load_u16 v2, v16, s[4:5] offset:128
	global_load_u16 v3, v16, s[4:5] offset:256
	;; [unrolled: 1-line block ×21, first 2 shown]
	s_mov_b32 s3, s13
	s_waitcnt vmcnt(21)
	ds_store_b16 v16, v1
	s_waitcnt vmcnt(20)
	ds_store_b16 v16, v2 offset:128
	s_waitcnt vmcnt(19)
	ds_store_b16 v16, v3 offset:256
	s_waitcnt vmcnt(18)
	ds_store_b16 v16, v4 offset:384
	s_waitcnt vmcnt(17)
	ds_store_b16 v16, v5 offset:512
	s_waitcnt vmcnt(16)
	ds_store_b16 v16, v6 offset:640
	s_waitcnt vmcnt(15)
	ds_store_b16 v16, v7 offset:768
	s_waitcnt vmcnt(14)
	ds_store_b16 v16, v8 offset:896
	s_waitcnt vmcnt(13)
	ds_store_b16 v16, v9 offset:1024
	s_waitcnt vmcnt(12)
	ds_store_b16 v16, v10 offset:1152
	s_waitcnt vmcnt(11)
	ds_store_b16 v16, v11 offset:1280
	s_waitcnt vmcnt(10)
	ds_store_b16 v16, v12 offset:1408
	s_waitcnt vmcnt(9)
	ds_store_b16 v16, v13 offset:1536
	s_waitcnt vmcnt(8)
	ds_store_b16 v16, v14 offset:1664
	s_waitcnt vmcnt(7)
	ds_store_b16 v16, v15 offset:1792
	s_waitcnt vmcnt(6)
	ds_store_b16 v16, v17 offset:1920
	s_waitcnt vmcnt(5)
	ds_store_b16 v16, v18 offset:2048
	s_waitcnt vmcnt(4)
	ds_store_b16 v16, v19 offset:2176
	s_waitcnt vmcnt(3)
	ds_store_b16 v16, v20 offset:2304
	s_waitcnt vmcnt(2)
	ds_store_b16 v16, v21 offset:2432
	s_waitcnt vmcnt(1)
	ds_store_b16 v16, v22 offset:2560
	s_waitcnt vmcnt(0)
	ds_store_b16 v16, v23 offset:2688
	s_waitcnt lgkmcnt(0)
	s_barrier
.LBB86_2:
	v_cmp_gt_u32_e64 s2, s14, v0
	s_and_not1_b32 vcc_lo, exec_lo, s3
	s_cbranch_vccnz .LBB86_48
; %bb.3:
	v_mov_b32_e32 v1, 0
	global_load_u16 v3, v1, s[4:5]
	v_add_co_u32 v1, s3, s4, v16
	s_delay_alu instid0(VALU_DEP_1)
	v_add_co_ci_u32_e64 v2, null, s5, 0, s3
	s_waitcnt vmcnt(0)
	v_mov_b32_e32 v4, v3
	s_and_saveexec_b32 s3, s2
	s_cbranch_execz .LBB86_5
; %bb.4:
	global_load_u16 v4, v[1:2], off
.LBB86_5:
	s_or_b32 exec_lo, exec_lo, s3
	v_or_b32_e32 v5, 64, v0
	s_delay_alu instid0(VALU_DEP_1)
	v_cmp_gt_u32_e32 vcc_lo, s14, v5
	v_mov_b32_e32 v5, v3
	s_and_saveexec_b32 s2, vcc_lo
	s_cbranch_execz .LBB86_7
; %bb.6:
	global_load_u16 v5, v[1:2], off offset:128
.LBB86_7:
	s_or_b32 exec_lo, exec_lo, s2
	v_or_b32_e32 v6, 0x80, v0
	s_delay_alu instid0(VALU_DEP_1)
	v_cmp_gt_u32_e32 vcc_lo, s14, v6
	v_mov_b32_e32 v6, v3
	s_and_saveexec_b32 s2, vcc_lo
	s_cbranch_execz .LBB86_9
; %bb.8:
	global_load_u16 v6, v[1:2], off offset:256
.LBB86_9:
	;; [unrolled: 10-line block ×20, first 2 shown]
	s_or_b32 exec_lo, exec_lo, s2
	v_or_b32_e32 v26, 0x540, v0
	s_mov_b32 s2, exec_lo
	s_delay_alu instid0(VALU_DEP_1)
	v_cmpx_gt_u32_e64 s14, v26
	s_cbranch_execz .LBB86_47
; %bb.46:
	global_load_u16 v3, v[1:2], off offset:2688
.LBB86_47:
	s_or_b32 exec_lo, exec_lo, s2
	s_waitcnt vmcnt(0)
	ds_store_b16 v16, v4
	ds_store_b16 v16, v5 offset:128
	ds_store_b16 v16, v6 offset:256
	;; [unrolled: 1-line block ×21, first 2 shown]
	s_waitcnt lgkmcnt(0)
	s_barrier
.LBB86_48:
	v_mul_u32_u24_e32 v15, 22, v0
	buffer_gl0_inv
	s_load_b64 s[10:11], s[0:1], 0x28
	v_lshrrev_b32_e32 v29, 5, v0
	v_cmp_gt_u32_e32 vcc_lo, 32, v0
	v_lshlrev_b32_e32 v17, 1, v15
	s_cmp_lg_u32 s15, 0
	ds_load_2addr_b32 v[9:10], v17 offset1:1
	ds_load_2addr_b32 v[7:8], v17 offset0:2 offset1:3
	ds_load_2addr_b32 v[5:6], v17 offset0:4 offset1:5
	;; [unrolled: 1-line block ×4, first 2 shown]
	ds_load_b32 v18, v17 offset:40
	s_waitcnt lgkmcnt(0)
	s_barrier
	buffer_gl0_inv
	v_lshrrev_b32_e32 v28, 16, v9
	v_lshrrev_b32_e32 v27, 16, v10
	;; [unrolled: 1-line block ×5, first 2 shown]
	v_max_i16 v11, v9, v28
	v_lshrrev_b32_e32 v23, 16, v6
	v_lshrrev_b32_e32 v21, 16, v3
	;; [unrolled: 1-line block ×6, first 2 shown]
	v_max3_i16 v31, v11, v10, v27
	s_cbranch_scc0 .LBB86_73
; %bb.49:
	s_delay_alu instid0(VALU_DEP_1) | instskip(SKIP_1) | instid1(VALU_DEP_2)
	v_max3_i16 v11, v31, v7, v26
	v_add_lshl_u32 v12, v29, v0, 1
	v_max3_i16 v11, v11, v8, v25
	s_delay_alu instid0(VALU_DEP_1) | instskip(NEXT) | instid1(VALU_DEP_1)
	v_max3_i16 v11, v11, v5, v24
	v_max3_i16 v11, v11, v6, v23
	s_delay_alu instid0(VALU_DEP_1) | instskip(NEXT) | instid1(VALU_DEP_1)
	v_max3_i16 v11, v11, v3, v21
	;; [unrolled: 3-line block ×3, first 2 shown]
	v_max3_i16 v11, v11, v2, v19
	s_delay_alu instid0(VALU_DEP_1)
	v_max3_i16 v32, v11, v18, v30
	ds_store_b16 v12, v32
	s_waitcnt lgkmcnt(0)
	s_barrier
	buffer_gl0_inv
	s_and_saveexec_b32 s3, vcc_lo
	s_cbranch_execz .LBB86_51
; %bb.50:
	v_lshrrev_b32_e32 v11, 3, v0
	v_mbcnt_lo_u32_b32 v34, -1, 0
	s_delay_alu instid0(VALU_DEP_2) | instskip(NEXT) | instid1(VALU_DEP_2)
	v_and_b32_e32 v11, 6, v11
	v_and_b32_e32 v35, 15, v34
	v_add_nc_u32_e32 v36, -1, v34
	s_delay_alu instid0(VALU_DEP_3) | instskip(NEXT) | instid1(VALU_DEP_3)
	v_lshl_or_b32 v11, v0, 2, v11
	v_cmp_eq_u32_e64 s2, 0, v35
	ds_load_u16 v12, v11
	ds_load_u16 v13, v11 offset:2
	s_waitcnt lgkmcnt(0)
	v_max_i16 v14, v12, v13
	s_delay_alu instid0(VALU_DEP_1) | instskip(NEXT) | instid1(VALU_DEP_1)
	v_and_b32_e32 v33, 0xffff, v14
	v_mov_b32_dpp v33, v33 row_shr:1 row_mask:0xf bank_mask:0xf
	s_delay_alu instid0(VALU_DEP_1) | instskip(NEXT) | instid1(VALU_DEP_1)
	v_max_i16 v33, v33, v14
	v_cndmask_b32_e64 v14, v33, v14, s2
	v_cmp_lt_u32_e64 s2, 1, v35
	s_delay_alu instid0(VALU_DEP_2) | instskip(NEXT) | instid1(VALU_DEP_1)
	v_and_b32_e32 v33, 0xffff, v14
	v_mov_b32_dpp v33, v33 row_shr:2 row_mask:0xf bank_mask:0xf
	s_delay_alu instid0(VALU_DEP_1) | instskip(NEXT) | instid1(VALU_DEP_1)
	v_max_i16 v33, v33, v14
	v_cndmask_b32_e64 v14, v14, v33, s2
	v_cmp_lt_u32_e64 s2, 3, v35
	s_delay_alu instid0(VALU_DEP_2) | instskip(NEXT) | instid1(VALU_DEP_1)
	v_and_b32_e32 v33, 0xffff, v14
	v_mov_b32_dpp v33, v33 row_shr:4 row_mask:0xf bank_mask:0xf
	s_delay_alu instid0(VALU_DEP_1) | instskip(NEXT) | instid1(VALU_DEP_1)
	v_max_i16 v33, v33, v14
	v_cndmask_b32_e64 v14, v14, v33, s2
	v_cmp_lt_u32_e64 s2, 7, v35
	v_and_b32_e32 v35, 16, v34
	s_delay_alu instid0(VALU_DEP_3) | instskip(NEXT) | instid1(VALU_DEP_1)
	v_and_b32_e32 v33, 0xffff, v14
	v_mov_b32_dpp v33, v33 row_shr:8 row_mask:0xf bank_mask:0xf
	s_delay_alu instid0(VALU_DEP_1) | instskip(NEXT) | instid1(VALU_DEP_1)
	v_max_i16 v33, v33, v14
	v_cndmask_b32_e64 v14, v14, v33, s2
	v_cmp_eq_u32_e64 s2, 0, v35
	s_delay_alu instid0(VALU_DEP_2) | instskip(SKIP_3) | instid1(VALU_DEP_1)
	v_and_b32_e32 v33, 0xffff, v14
	ds_swizzle_b32 v33, v33 offset:swizzle(BROADCAST,32,15)
	s_waitcnt lgkmcnt(0)
	v_max_i16 v33, v33, v14
	v_cndmask_b32_e64 v14, v33, v14, s2
	v_cmp_gt_i32_e64 s2, 0, v36
	s_delay_alu instid0(VALU_DEP_2) | instskip(NEXT) | instid1(VALU_DEP_2)
	v_and_b32_e32 v14, 0xffff, v14
	v_cndmask_b32_e64 v33, v36, v34, s2
	v_cmp_eq_u32_e64 s2, 0, v0
	s_delay_alu instid0(VALU_DEP_2) | instskip(SKIP_3) | instid1(VALU_DEP_1)
	v_lshlrev_b32_e32 v33, 2, v33
	ds_bpermute_b32 v14, v33, v14
	s_waitcnt lgkmcnt(0)
	v_max_i16 v12, v14, v12
	v_cndmask_b32_e64 v12, v12, v32, s2
	s_delay_alu instid0(VALU_DEP_1)
	v_max_i16 v13, v12, v13
	ds_store_b16 v11, v12
	ds_store_b16 v11, v13 offset:2
.LBB86_51:
	s_or_b32 exec_lo, exec_lo, s3
	v_cmp_eq_u32_e64 s2, 0, v0
	s_mov_b32 s4, exec_lo
	s_waitcnt lgkmcnt(0)
	s_barrier
	buffer_gl0_inv
	v_cmpx_ne_u32_e32 0, v0
	s_cbranch_execz .LBB86_53
; %bb.52:
	v_add_nc_u32_e32 v11, -1, v0
	s_delay_alu instid0(VALU_DEP_1) | instskip(NEXT) | instid1(VALU_DEP_1)
	v_lshrrev_b32_e32 v12, 5, v11
	v_add_lshl_u32 v11, v12, v11, 1
	ds_load_u16 v32, v11
.LBB86_53:
	s_or_b32 exec_lo, exec_lo, s4
	s_and_saveexec_b32 s6, vcc_lo
	s_cbranch_execz .LBB86_72
; %bb.54:
	v_mov_b32_e32 v13, 0
	v_mbcnt_lo_u32_b32 v14, -1, 0
	s_mov_b32 s5, 0
	ds_load_u16 v33, v13 offset:128
	v_cmp_eq_u32_e64 s3, 0, v14
	s_delay_alu instid0(VALU_DEP_1)
	s_and_saveexec_b32 s7, s3
	s_cbranch_execz .LBB86_56
; %bb.55:
	s_add_i32 s4, s15, 32
	s_waitcnt lgkmcnt(0)
	v_or_b32_e32 v11, 0x10000, v33
	s_lshl_b64 s[4:5], s[4:5], 2
	s_delay_alu instid0(SALU_CYCLE_1)
	s_add_u32 s4, s10, s4
	s_addc_u32 s5, s11, s5
	global_store_b32 v13, v11, s[4:5]
.LBB86_56:
	s_or_b32 exec_lo, exec_lo, s7
	v_xad_u32 v11, v14, -1, s15
	s_mov_b32 s4, exec_lo
	s_delay_alu instid0(VALU_DEP_1) | instskip(NEXT) | instid1(VALU_DEP_1)
	v_add_nc_u32_e32 v12, 32, v11
	v_lshlrev_b64 v[12:13], 2, v[12:13]
	s_delay_alu instid0(VALU_DEP_1) | instskip(NEXT) | instid1(VALU_DEP_2)
	v_add_co_u32 v12, vcc_lo, s10, v12
	v_add_co_ci_u32_e32 v13, vcc_lo, s11, v13, vcc_lo
	global_load_b32 v39, v[12:13], off glc
	s_waitcnt vmcnt(0)
	v_lshrrev_b32_e32 v34, 16, v39
	s_delay_alu instid0(VALU_DEP_1) | instskip(NEXT) | instid1(VALU_DEP_1)
	v_and_b32_e32 v35, 0xff, v34
	v_cmpx_eq_u16_e32 0, v35
	s_cbranch_execz .LBB86_60
; %bb.57:
	s_mov_b32 s5, 0
.LBB86_58:                              ; =>This Inner Loop Header: Depth=1
	global_load_b32 v39, v[12:13], off glc
	s_waitcnt vmcnt(0)
	v_lshrrev_b32_e32 v34, 16, v39
	s_delay_alu instid0(VALU_DEP_1) | instskip(NEXT) | instid1(VALU_DEP_1)
	v_and_b32_e32 v35, 0xff, v34
	v_cmp_ne_u16_e32 vcc_lo, 0, v35
	s_or_b32 s5, vcc_lo, s5
	s_delay_alu instid0(SALU_CYCLE_1)
	s_and_not1_b32 exec_lo, exec_lo, s5
	s_cbranch_execnz .LBB86_58
; %bb.59:
	s_or_b32 exec_lo, exec_lo, s5
.LBB86_60:
	s_delay_alu instid0(SALU_CYCLE_1)
	s_or_b32 exec_lo, exec_lo, s4
	v_cmp_ne_u32_e32 vcc_lo, 31, v14
	v_and_b32_e32 v37, 0xff, v34
	v_lshlrev_b32_e64 v36, v14, -1
	v_and_b32_e32 v13, 0xffff, v39
	v_cmp_gt_u32_e64 s4, 30, v14
	v_add_co_ci_u32_e32 v12, vcc_lo, 0, v14, vcc_lo
	v_cmp_eq_u16_e32 vcc_lo, 2, v37
	v_add_nc_u32_e32 v37, 1, v14
	s_delay_alu instid0(VALU_DEP_4) | instskip(SKIP_1) | instid1(VALU_DEP_1)
	v_cndmask_b32_e64 v38, 0, 1, s4
	v_and_or_b32 v40, vcc_lo, v36, 0x80000000
	v_ctz_i32_b32_e32 v43, v40
	s_delay_alu instid0(VALU_DEP_1) | instskip(SKIP_4) | instid1(VALU_DEP_1)
	v_cmp_gt_u32_e32 vcc_lo, v37, v43
	v_lshlrev_b32_e32 v35, 2, v12
	ds_bpermute_b32 v12, v35, v13
	s_waitcnt lgkmcnt(0)
	v_max_i16 v12, v12, v39
	v_and_b32_e32 v40, 0xffff, v12
	v_lshlrev_b32_e32 v38, 1, v38
	v_cndmask_b32_e32 v12, v12, v39, vcc_lo
	s_delay_alu instid0(VALU_DEP_3) | instskip(NEXT) | instid1(VALU_DEP_3)
	v_cndmask_b32_e32 v13, v40, v13, vcc_lo
	v_add_lshl_u32 v38, v38, v14, 2
	v_cmp_gt_u32_e32 vcc_lo, 28, v14
	ds_bpermute_b32 v40, v38, v13
	v_cndmask_b32_e64 v39, 0, 1, vcc_lo
	s_waitcnt lgkmcnt(0)
	v_max_i16 v41, v40, v12
	s_delay_alu instid0(VALU_DEP_2) | instskip(SKIP_1) | instid1(VALU_DEP_3)
	v_lshlrev_b32_e32 v40, 2, v39
	v_add_nc_u32_e32 v39, 2, v14
	v_and_b32_e32 v42, 0xffff, v41
	s_delay_alu instid0(VALU_DEP_3) | instskip(NEXT) | instid1(VALU_DEP_3)
	v_add_lshl_u32 v40, v40, v14, 2
	v_cmp_gt_u32_e32 vcc_lo, v39, v43
	s_delay_alu instid0(VALU_DEP_3)
	v_dual_cndmask_b32 v13, v42, v13 :: v_dual_cndmask_b32 v12, v41, v12
	v_cmp_gt_u32_e32 vcc_lo, 24, v14
	ds_bpermute_b32 v42, v40, v13
	v_cndmask_b32_e64 v41, 0, 1, vcc_lo
	s_waitcnt lgkmcnt(0)
	v_max_i16 v44, v42, v12
	s_delay_alu instid0(VALU_DEP_2) | instskip(SKIP_1) | instid1(VALU_DEP_3)
	v_lshlrev_b32_e32 v42, 3, v41
	v_add_nc_u32_e32 v41, 4, v14
	v_and_b32_e32 v45, 0xffff, v44
	s_delay_alu instid0(VALU_DEP_3) | instskip(NEXT) | instid1(VALU_DEP_3)
	v_add_lshl_u32 v42, v42, v14, 2
	v_cmp_gt_u32_e32 vcc_lo, v41, v43
	s_delay_alu instid0(VALU_DEP_3)
	v_dual_cndmask_b32 v13, v45, v13 :: v_dual_cndmask_b32 v12, v44, v12
	v_cmp_gt_u32_e32 vcc_lo, 16, v14
	ds_bpermute_b32 v45, v42, v13
	v_cndmask_b32_e64 v44, 0, 1, vcc_lo
	s_waitcnt lgkmcnt(0)
	v_max_i16 v46, v45, v12
	s_delay_alu instid0(VALU_DEP_2) | instskip(NEXT) | instid1(VALU_DEP_2)
	v_lshlrev_b32_e32 v45, 4, v44
	v_and_b32_e32 v47, 0xffff, v46
	v_add_nc_u32_e32 v44, 8, v14
	s_delay_alu instid0(VALU_DEP_3) | instskip(NEXT) | instid1(VALU_DEP_2)
	v_add_lshl_u32 v45, v45, v14, 2
	v_cmp_gt_u32_e32 vcc_lo, v44, v43
	s_delay_alu instid0(VALU_DEP_4)
	v_dual_cndmask_b32 v13, v47, v13 :: v_dual_cndmask_b32 v12, v46, v12
	v_add_nc_u32_e32 v46, 16, v14
	ds_bpermute_b32 v13, v45, v13
	v_cmp_gt_u32_e32 vcc_lo, v46, v43
	s_waitcnt lgkmcnt(0)
	v_max_i16 v13, v13, v12
	s_delay_alu instid0(VALU_DEP_1)
	v_dual_cndmask_b32 v13, v13, v12 :: v_dual_mov_b32 v12, 0
	s_branch .LBB86_62
.LBB86_61:                              ;   in Loop: Header=BB86_62 Depth=1
	s_or_b32 exec_lo, exec_lo, s4
	v_and_b32_e32 v13, 0xffff, v47
	v_subrev_nc_u32_e32 v11, 32, v11
	ds_bpermute_b32 v14, v35, v13
	s_waitcnt lgkmcnt(0)
	v_max_i16 v14, v14, v47
	s_delay_alu instid0(VALU_DEP_1) | instskip(SKIP_1) | instid1(VALU_DEP_1)
	v_and_b32_e32 v49, 0xffff, v14
	v_and_b32_e32 v48, 0xff, v34
	v_cmp_eq_u16_e32 vcc_lo, 2, v48
	v_and_or_b32 v48, vcc_lo, v36, 0x80000000
	s_delay_alu instid0(VALU_DEP_1) | instskip(NEXT) | instid1(VALU_DEP_1)
	v_ctz_i32_b32_e32 v48, v48
	v_cmp_gt_u32_e32 vcc_lo, v37, v48
	v_dual_cndmask_b32 v14, v14, v47 :: v_dual_cndmask_b32 v13, v49, v13
	v_cmp_gt_u32_e32 vcc_lo, v39, v48
	ds_bpermute_b32 v49, v38, v13
	s_waitcnt lgkmcnt(0)
	v_max_i16 v47, v49, v14
	s_delay_alu instid0(VALU_DEP_1) | instskip(NEXT) | instid1(VALU_DEP_1)
	v_dual_cndmask_b32 v14, v47, v14 :: v_dual_and_b32 v49, 0xffff, v47
	v_cndmask_b32_e32 v13, v49, v13, vcc_lo
	v_cmp_gt_u32_e32 vcc_lo, v41, v48
	ds_bpermute_b32 v49, v40, v13
	s_waitcnt lgkmcnt(0)
	v_max_i16 v47, v49, v14
	s_delay_alu instid0(VALU_DEP_1) | instskip(NEXT) | instid1(VALU_DEP_1)
	v_dual_cndmask_b32 v14, v47, v14 :: v_dual_and_b32 v49, 0xffff, v47
	v_cndmask_b32_e32 v13, v49, v13, vcc_lo
	;; [unrolled: 7-line block ×3, first 2 shown]
	v_cmp_gt_u32_e32 vcc_lo, v46, v48
	ds_bpermute_b32 v13, v45, v13
	s_waitcnt lgkmcnt(0)
	v_max_i16 v13, v13, v14
	s_delay_alu instid0(VALU_DEP_1) | instskip(NEXT) | instid1(VALU_DEP_1)
	v_cndmask_b32_e32 v13, v13, v14, vcc_lo
	v_max_i16 v13, v13, v43
.LBB86_62:                              ; =>This Loop Header: Depth=1
                                        ;     Child Loop BB86_65 Depth 2
	s_delay_alu instid0(VALU_DEP_1) | instskip(NEXT) | instid1(VALU_DEP_1)
	v_dual_mov_b32 v43, v13 :: v_dual_and_b32 v14, 0xff, v34
	v_cmp_ne_u16_e32 vcc_lo, 2, v14
	v_cndmask_b32_e64 v14, 0, 1, vcc_lo
	;;#ASMSTART
	;;#ASMEND
	s_delay_alu instid0(VALU_DEP_1)
	v_cmp_ne_u32_e32 vcc_lo, 0, v14
	s_cmp_lg_u32 vcc_lo, exec_lo
	s_cbranch_scc1 .LBB86_67
; %bb.63:                               ;   in Loop: Header=BB86_62 Depth=1
	v_lshlrev_b64 v[13:14], 2, v[11:12]
	s_mov_b32 s4, exec_lo
	s_delay_alu instid0(VALU_DEP_1) | instskip(NEXT) | instid1(VALU_DEP_2)
	v_add_co_u32 v13, vcc_lo, s10, v13
	v_add_co_ci_u32_e32 v14, vcc_lo, s11, v14, vcc_lo
	global_load_b32 v47, v[13:14], off glc
	s_waitcnt vmcnt(0)
	v_lshrrev_b32_e32 v34, 16, v47
	s_delay_alu instid0(VALU_DEP_1) | instskip(NEXT) | instid1(VALU_DEP_1)
	v_and_b32_e32 v48, 0xff, v34
	v_cmpx_eq_u16_e32 0, v48
	s_cbranch_execz .LBB86_61
; %bb.64:                               ;   in Loop: Header=BB86_62 Depth=1
	s_mov_b32 s5, 0
.LBB86_65:                              ;   Parent Loop BB86_62 Depth=1
                                        ; =>  This Inner Loop Header: Depth=2
	global_load_b32 v47, v[13:14], off glc
	s_waitcnt vmcnt(0)
	v_lshrrev_b32_e32 v34, 16, v47
	s_delay_alu instid0(VALU_DEP_1) | instskip(NEXT) | instid1(VALU_DEP_1)
	v_and_b32_e32 v48, 0xff, v34
	v_cmp_ne_u16_e32 vcc_lo, 0, v48
	s_or_b32 s5, vcc_lo, s5
	s_delay_alu instid0(SALU_CYCLE_1)
	s_and_not1_b32 exec_lo, exec_lo, s5
	s_cbranch_execnz .LBB86_65
; %bb.66:                               ;   in Loop: Header=BB86_62 Depth=1
	s_or_b32 exec_lo, exec_lo, s5
	s_branch .LBB86_61
.LBB86_67:                              ;   in Loop: Header=BB86_62 Depth=1
                                        ; implicit-def: $vgpr13
                                        ; implicit-def: $vgpr34
	s_cbranch_execz .LBB86_62
; %bb.68:
	s_and_saveexec_b32 s4, s3
	s_cbranch_execz .LBB86_70
; %bb.69:
	v_max_i16 v11, v43, v33
	s_add_i32 s20, s15, 32
	s_mov_b32 s21, 0
	v_mov_b32_e32 v12, 0
	s_lshl_b64 s[20:21], s[20:21], 2
	v_and_b32_e32 v11, 0xffff, v11
	s_add_u32 s20, s10, s20
	s_addc_u32 s21, s11, s21
	s_delay_alu instid0(VALU_DEP_1)
	v_or_b32_e32 v11, 0x20000, v11
	global_store_b32 v12, v11, s[20:21]
.LBB86_70:
	s_or_b32 exec_lo, exec_lo, s4
	s_delay_alu instid0(SALU_CYCLE_1)
	s_and_b32 exec_lo, exec_lo, s2
	s_cbranch_execz .LBB86_72
; %bb.71:
	v_mov_b32_e32 v11, 0
	ds_store_b16 v11, v43
.LBB86_72:
	s_or_b32 exec_lo, exec_lo, s6
	v_mov_b32_e32 v11, 0
	s_waitcnt lgkmcnt(0)
	s_waitcnt_vscnt null, 0x0
	s_barrier
	buffer_gl0_inv
	ds_load_u16 v11, v11
	s_waitcnt lgkmcnt(0)
	v_max_i16 v12, v11, v32
	s_delay_alu instid0(VALU_DEP_1) | instskip(NEXT) | instid1(VALU_DEP_1)
	v_cndmask_b32_e64 v11, v12, v11, s2
	v_max_i16 v12, v11, v9
	s_delay_alu instid0(VALU_DEP_1) | instskip(NEXT) | instid1(VALU_DEP_1)
	v_max_i16 v13, v12, v28
	v_max_i16 v14, v13, v10
	s_delay_alu instid0(VALU_DEP_1) | instskip(NEXT) | instid1(VALU_DEP_1)
	v_max_i16 v32, v14, v27
	;; [unrolled: 3-line block ×10, first 2 shown]
	v_max_i16 v49, v48, v18
	s_load_b128 s[4:7], s[0:1], 0x38
	s_branch .LBB86_83
.LBB86_73:
                                        ; implicit-def: $vgpr11
                                        ; implicit-def: $vgpr12
                                        ; implicit-def: $vgpr13
                                        ; implicit-def: $vgpr14
                                        ; implicit-def: $vgpr32
                                        ; implicit-def: $vgpr33
                                        ; implicit-def: $vgpr34
                                        ; implicit-def: $vgpr35
                                        ; implicit-def: $vgpr36
                                        ; implicit-def: $vgpr37
                                        ; implicit-def: $vgpr38
                                        ; implicit-def: $vgpr39
                                        ; implicit-def: $vgpr40
                                        ; implicit-def: $vgpr41
                                        ; implicit-def: $vgpr42
                                        ; implicit-def: $vgpr43
                                        ; implicit-def: $vgpr44
                                        ; implicit-def: $vgpr45
                                        ; implicit-def: $vgpr46
                                        ; implicit-def: $vgpr47
                                        ; implicit-def: $vgpr48
                                        ; implicit-def: $vgpr49
	s_load_b128 s[4:7], s[0:1], 0x38
	s_cbranch_execz .LBB86_83
; %bb.74:
	s_clause 0x1
	s_load_b32 s2, s[0:1], 0x20
	s_load_b32 s3, s[0:1], 0x48
	s_waitcnt lgkmcnt(0)
	v_mov_b32_e32 v49, s2
	s_bitcmp0_b32 s3, 0
	s_cbranch_scc1 .LBB86_76
; %bb.75:
	v_mov_b32_e32 v11, 0
	s_clause 0x1
	global_load_u16 v12, v11, s[16:17] offset:-2
	global_load_u16 v11, v11, s[4:5]
	s_waitcnt vmcnt(0)
	v_max_i16 v49, v11, v12
.LBB86_76:
	v_max3_i16 v11, v31, v7, v26
	v_add_lshl_u32 v12, v29, v0, 1
	s_mov_b32 s2, exec_lo
	s_delay_alu instid0(VALU_DEP_2) | instskip(NEXT) | instid1(VALU_DEP_1)
	v_max3_i16 v11, v11, v8, v25
	v_max3_i16 v11, v11, v5, v24
	s_delay_alu instid0(VALU_DEP_1) | instskip(NEXT) | instid1(VALU_DEP_1)
	v_max3_i16 v11, v11, v6, v23
	v_max3_i16 v11, v11, v3, v21
	s_delay_alu instid0(VALU_DEP_1) | instskip(NEXT) | instid1(VALU_DEP_1)
	;; [unrolled: 3-line block ×3, first 2 shown]
	v_max3_i16 v11, v11, v2, v19
	v_max3_i16 v11, v11, v18, v30
	ds_store_b16 v12, v11
	s_waitcnt lgkmcnt(0)
	s_barrier
	buffer_gl0_inv
	v_cmpx_gt_u32_e32 32, v0
	s_cbranch_execz .LBB86_78
; %bb.77:
	v_mbcnt_lo_u32_b32 v31, -1, 0
	v_lshrrev_b32_e32 v12, 3, v0
	s_delay_alu instid0(VALU_DEP_2) | instskip(SKIP_1) | instid1(VALU_DEP_2)
	v_and_b32_e32 v32, 15, v31
	v_add_nc_u32_e32 v33, -1, v31
	v_cmp_eq_u32_e32 vcc_lo, 0, v32
	s_delay_alu instid0(VALU_DEP_4) | instskip(NEXT) | instid1(VALU_DEP_1)
	v_and_b32_e32 v12, 6, v12
	v_lshl_or_b32 v12, v0, 2, v12
	ds_load_u16 v13, v12
	ds_load_u16 v14, v12 offset:2
	s_waitcnt lgkmcnt(0)
	v_max_i16 v29, v13, v14
	s_delay_alu instid0(VALU_DEP_1) | instskip(NEXT) | instid1(VALU_DEP_1)
	v_and_b32_e32 v30, 0xffff, v29
	v_mov_b32_dpp v30, v30 row_shr:1 row_mask:0xf bank_mask:0xf
	s_delay_alu instid0(VALU_DEP_1) | instskip(NEXT) | instid1(VALU_DEP_1)
	v_max_i16 v30, v30, v29
	v_cndmask_b32_e32 v29, v30, v29, vcc_lo
	v_cmp_lt_u32_e32 vcc_lo, 1, v32
	s_delay_alu instid0(VALU_DEP_2) | instskip(NEXT) | instid1(VALU_DEP_1)
	v_and_b32_e32 v30, 0xffff, v29
	v_mov_b32_dpp v30, v30 row_shr:2 row_mask:0xf bank_mask:0xf
	s_delay_alu instid0(VALU_DEP_1) | instskip(NEXT) | instid1(VALU_DEP_1)
	v_max_i16 v30, v30, v29
	v_cndmask_b32_e32 v29, v29, v30, vcc_lo
	v_cmp_lt_u32_e32 vcc_lo, 3, v32
	s_delay_alu instid0(VALU_DEP_2) | instskip(NEXT) | instid1(VALU_DEP_1)
	v_and_b32_e32 v30, 0xffff, v29
	v_mov_b32_dpp v30, v30 row_shr:4 row_mask:0xf bank_mask:0xf
	s_delay_alu instid0(VALU_DEP_1) | instskip(NEXT) | instid1(VALU_DEP_1)
	v_max_i16 v30, v30, v29
	v_cndmask_b32_e32 v29, v29, v30, vcc_lo
	v_cmp_lt_u32_e32 vcc_lo, 7, v32
	v_and_b32_e32 v32, 16, v31
	s_delay_alu instid0(VALU_DEP_3) | instskip(NEXT) | instid1(VALU_DEP_1)
	v_and_b32_e32 v30, 0xffff, v29
	v_mov_b32_dpp v30, v30 row_shr:8 row_mask:0xf bank_mask:0xf
	s_delay_alu instid0(VALU_DEP_1) | instskip(NEXT) | instid1(VALU_DEP_1)
	v_max_i16 v30, v30, v29
	v_cndmask_b32_e32 v29, v29, v30, vcc_lo
	v_cmp_eq_u32_e32 vcc_lo, 0, v32
	s_delay_alu instid0(VALU_DEP_2) | instskip(SKIP_3) | instid1(VALU_DEP_1)
	v_and_b32_e32 v30, 0xffff, v29
	ds_swizzle_b32 v30, v30 offset:swizzle(BROADCAST,32,15)
	s_waitcnt lgkmcnt(0)
	v_max_i16 v30, v30, v29
	v_cndmask_b32_e32 v29, v30, v29, vcc_lo
	v_cmp_gt_i32_e32 vcc_lo, 0, v33
	s_delay_alu instid0(VALU_DEP_2) | instskip(SKIP_1) | instid1(VALU_DEP_2)
	v_dual_cndmask_b32 v30, v33, v31 :: v_dual_and_b32 v29, 0xffff, v29
	v_cmp_eq_u32_e32 vcc_lo, 0, v0
	v_lshlrev_b32_e32 v30, 2, v30
	ds_bpermute_b32 v29, v30, v29
	s_waitcnt lgkmcnt(0)
	v_max_i16 v13, v29, v13
	s_delay_alu instid0(VALU_DEP_1) | instskip(NEXT) | instid1(VALU_DEP_1)
	v_cndmask_b32_e32 v11, v13, v11, vcc_lo
	v_max_i16 v13, v11, v14
	ds_store_b16 v12, v11
	ds_store_b16 v12, v13 offset:2
.LBB86_78:
	s_or_b32 exec_lo, exec_lo, s2
	v_cmp_eq_u32_e32 vcc_lo, 0, v0
	v_mov_b32_e32 v11, v49
	s_mov_b32 s3, exec_lo
	s_waitcnt lgkmcnt(0)
	s_barrier
	buffer_gl0_inv
	v_cmpx_ne_u32_e32 0, v0
	s_cbranch_execz .LBB86_80
; %bb.79:
	v_add_nc_u32_e32 v11, -1, v0
	s_delay_alu instid0(VALU_DEP_1) | instskip(NEXT) | instid1(VALU_DEP_1)
	v_lshrrev_b32_e32 v12, 5, v11
	v_add_lshl_u32 v11, v12, v11, 1
	ds_load_u16 v11, v11
	s_waitcnt lgkmcnt(0)
	v_max_i16 v11, v49, v11
.LBB86_80:
	s_or_b32 exec_lo, exec_lo, s3
	s_delay_alu instid0(VALU_DEP_1) | instskip(NEXT) | instid1(VALU_DEP_1)
	v_max_i16 v12, v11, v9
	v_max_i16 v13, v12, v28
	s_delay_alu instid0(VALU_DEP_1) | instskip(NEXT) | instid1(VALU_DEP_1)
	v_max_i16 v14, v13, v10
	v_max_i16 v32, v14, v27
	;; [unrolled: 3-line block ×10, first 2 shown]
	s_and_saveexec_b32 s2, vcc_lo
	s_cbranch_execz .LBB86_82
; %bb.81:
	v_mov_b32_e32 v1, 0
	ds_load_u16 v2, v1 offset:128
	s_waitcnt lgkmcnt(0)
	v_max_i16 v2, v49, v2
	s_delay_alu instid0(VALU_DEP_1) | instskip(NEXT) | instid1(VALU_DEP_1)
	v_and_b32_e32 v2, 0xffff, v2
	v_or_b32_e32 v2, 0x20000, v2
	global_store_b32 v1, v2, s[10:11] offset:128
.LBB86_82:
	s_or_b32 exec_lo, exec_lo, s2
	s_delay_alu instid0(VALU_DEP_1)
	v_max_i16 v49, v48, v18
.LBB86_83:
	s_lshl_b64 s[2:3], s[12:13], 2
	v_perm_b32 v5, v14, v13, 0x5040100
	v_perm_b32 v6, v12, v11, 0x5040100
	;; [unrolled: 1-line block ×11, first 2 shown]
	v_lshlrev_b32_e32 v2, 2, v0
	s_add_u32 s2, s8, s2
	s_addc_u32 s3, s9, s3
	s_and_b32 vcc_lo, exec_lo, s19
	s_waitcnt lgkmcnt(0)
	s_mov_b32 s4, -1
	s_waitcnt_vscnt null, 0x0
	s_barrier
	buffer_gl0_inv
	s_cbranch_vccz .LBB86_85
; %bb.84:
	ds_store_2addr_b32 v17, v6, v5 offset1:1
	ds_store_2addr_b32 v17, v8, v7 offset0:2 offset1:3
	ds_store_2addr_b32 v17, v10, v9 offset0:4 offset1:5
	;; [unrolled: 1-line block ×4, first 2 shown]
	ds_store_b32 v17, v4 offset:40
	s_waitcnt lgkmcnt(0)
	s_barrier
	buffer_gl0_inv
	ds_load_i16 v13, v16
	ds_load_i16 v14, v16 offset:128
	ds_load_i16 v18, v16 offset:256
	;; [unrolled: 1-line block ×21, first 2 shown]
	s_waitcnt lgkmcnt(20)
	v_cvt_f32_i32_e32 v14, v14
	v_cvt_f32_i32_e32 v39, v13
	s_waitcnt lgkmcnt(19)
	v_cvt_f32_i32_e32 v13, v18
	s_waitcnt lgkmcnt(17)
	;; [unrolled: 2-line block ×3, first 2 shown]
	v_cvt_f32_i32_e32 v20, v22
	global_store_b32 v2, v14, s[2:3] offset:256
	v_cvt_f32_i32_e32 v14, v19
	v_cvt_f32_i32_e32 v19, v21
	v_add_co_u32 v37, s5, s2, v2
	s_waitcnt lgkmcnt(14)
	v_cvt_f32_i32_e32 v21, v23
	s_waitcnt lgkmcnt(13)
	v_cvt_f32_i32_e32 v22, v24
	;; [unrolled: 2-line block ×3, first 2 shown]
	s_clause 0x7
	global_store_b32 v2, v13, s[2:3] offset:512
	global_store_b32 v2, v14, s[2:3] offset:768
	;; [unrolled: 1-line block ×8, first 2 shown]
	s_waitcnt lgkmcnt(11)
	v_cvt_f32_i32_e32 v13, v26
	s_waitcnt lgkmcnt(10)
	v_cvt_f32_i32_e32 v14, v27
	v_add_co_ci_u32_e64 v38, null, s3, 0, s5
	s_waitcnt lgkmcnt(9)
	v_cvt_f32_i32_e32 v18, v28
	s_waitcnt lgkmcnt(8)
	v_cvt_f32_i32_e32 v19, v29
	;; [unrolled: 2-line block ×4, first 2 shown]
	s_clause 0x5
	global_store_b32 v2, v13, s[2:3] offset:2560
	global_store_b32 v2, v14, s[2:3] offset:2816
	;; [unrolled: 1-line block ×6, first 2 shown]
	v_add_co_u32 v13, vcc_lo, 0x1000, v37
	s_waitcnt lgkmcnt(5)
	v_cvt_f32_i32_e32 v18, v32
	v_add_co_ci_u32_e32 v14, vcc_lo, 0, v38, vcc_lo
	s_waitcnt lgkmcnt(4)
	v_cvt_f32_i32_e32 v19, v33
	s_waitcnt lgkmcnt(3)
	v_cvt_f32_i32_e32 v20, v34
	;; [unrolled: 2-line block ×4, first 2 shown]
	s_mov_b32 s4, 0
	s_waitcnt lgkmcnt(0)
	v_cvt_f32_i32_e32 v16, v16
	s_clause 0x6
	global_store_b32 v[13:14], v18, off
	global_store_b32 v[13:14], v19, off offset:256
	global_store_b32 v[13:14], v20, off offset:512
	;; [unrolled: 1-line block ×4, first 2 shown]
	global_store_b32 v2, v39, s[2:3]
	global_store_b32 v[13:14], v16, off offset:1280
.LBB86_85:
	s_and_not1_b32 vcc_lo, exec_lo, s4
	s_cbranch_vccnz .LBB86_212
; %bb.86:
	v_mad_i32_i24 v26, 0xffffffd6, v0, v17
	ds_store_2addr_b32 v17, v6, v5 offset1:1
	ds_store_2addr_b32 v17, v8, v7 offset0:2 offset1:3
	ds_store_2addr_b32 v17, v10, v9 offset0:4 offset1:5
	;; [unrolled: 1-line block ×4, first 2 shown]
	ds_store_b32 v17, v4 offset:40
	s_waitcnt lgkmcnt(0)
	s_waitcnt_vscnt null, 0x0
	s_barrier
	buffer_gl0_inv
	ds_load_u16 v5, v26
	ds_load_u16 v4, v26 offset:128
	ds_load_u16 v7, v26 offset:256
	ds_load_u16 v8, v26 offset:384
	ds_load_u16 v6, v26 offset:512
	ds_load_u16 v9, v26 offset:640
	ds_load_u16 v10, v26 offset:768
	ds_load_u16 v11, v26 offset:896
	ds_load_u16 v14, v26 offset:1024
	ds_load_u16 v16, v26 offset:1152
	ds_load_u16 v13, v26 offset:1280
	ds_load_u16 v12, v26 offset:1408
	ds_load_u16 v18, v26 offset:1536
	ds_load_u16 v21, v26 offset:1664
	ds_load_u16 v17, v26 offset:1792
	ds_load_u16 v23, v26 offset:1920
	ds_load_u16 v22, v26 offset:2048
	ds_load_u16 v19, v26 offset:2176
	ds_load_u16 v24, v26 offset:2304
	ds_load_u16 v25, v26 offset:2432
	ds_load_u16 v20, v26 offset:2560
	ds_load_u16 v26, v26 offset:2688
	v_add_co_u32 v2, s2, s2, v2
	v_mov_b32_e32 v1, 0
	v_add_co_ci_u32_e64 v3, null, s3, 0, s2
	s_mov_b32 s2, exec_lo
	v_cmpx_gt_u32_e64 s14, v0
	s_cbranch_execz .LBB86_88
; %bb.87:
	s_waitcnt lgkmcnt(21)
	v_bfe_i32 v27, v5, 0, 16
	s_delay_alu instid0(VALU_DEP_1)
	v_cvt_f32_i32_e32 v27, v27
	global_store_b32 v[2:3], v27, off
.LBB86_88:
	s_or_b32 exec_lo, exec_lo, s2
	v_or_b32_e32 v27, 64, v0
	s_mov_b32 s2, exec_lo
	s_delay_alu instid0(VALU_DEP_1)
	v_cmpx_gt_u32_e64 s14, v27
	s_cbranch_execz .LBB86_90
; %bb.89:
	s_waitcnt lgkmcnt(20)
	v_bfe_i32 v27, v4, 0, 16
	s_delay_alu instid0(VALU_DEP_1)
	v_cvt_f32_i32_e32 v27, v27
	global_store_b32 v[2:3], v27, off offset:256
.LBB86_90:
	s_or_b32 exec_lo, exec_lo, s2
	v_or_b32_e32 v27, 0x80, v0
	s_mov_b32 s2, exec_lo
	s_delay_alu instid0(VALU_DEP_1)
	v_cmpx_gt_u32_e64 s14, v27
	s_cbranch_execz .LBB86_92
; %bb.91:
	s_waitcnt lgkmcnt(19)
	v_bfe_i32 v27, v7, 0, 16
	s_delay_alu instid0(VALU_DEP_1)
	v_cvt_f32_i32_e32 v27, v27
	global_store_b32 v[2:3], v27, off offset:512
.LBB86_92:
	;; [unrolled: 13-line block ×15, first 2 shown]
	s_or_b32 exec_lo, exec_lo, s2
	v_or_b32_e32 v27, 0x400, v0
	s_mov_b32 s2, exec_lo
	s_delay_alu instid0(VALU_DEP_1)
	v_cmpx_gt_u32_e64 s14, v27
	s_cbranch_execz .LBB86_120
; %bb.119:
	s_waitcnt lgkmcnt(5)
	v_bfe_i32 v27, v22, 0, 16
	s_delay_alu instid0(VALU_DEP_1)
	v_cvt_f32_i32_e32 v29, v27
	v_add_co_u32 v27, vcc_lo, 0x1000, v2
	v_add_co_ci_u32_e32 v28, vcc_lo, 0, v3, vcc_lo
	global_store_b32 v[27:28], v29, off
.LBB86_120:
	s_or_b32 exec_lo, exec_lo, s2
	v_or_b32_e32 v27, 0x440, v0
	s_mov_b32 s2, exec_lo
	s_delay_alu instid0(VALU_DEP_1)
	v_cmpx_gt_u32_e64 s14, v27
	s_cbranch_execz .LBB86_122
; %bb.121:
	s_waitcnt lgkmcnt(4)
	v_bfe_i32 v27, v19, 0, 16
	s_delay_alu instid0(VALU_DEP_1)
	v_cvt_f32_i32_e32 v29, v27
	v_add_co_u32 v27, vcc_lo, 0x1000, v2
	v_add_co_ci_u32_e32 v28, vcc_lo, 0, v3, vcc_lo
	global_store_b32 v[27:28], v29, off offset:256
.LBB86_122:
	s_or_b32 exec_lo, exec_lo, s2
	v_or_b32_e32 v27, 0x480, v0
	s_mov_b32 s2, exec_lo
	s_delay_alu instid0(VALU_DEP_1)
	v_cmpx_gt_u32_e64 s14, v27
	s_cbranch_execz .LBB86_124
; %bb.123:
	s_waitcnt lgkmcnt(3)
	v_bfe_i32 v27, v24, 0, 16
	s_delay_alu instid0(VALU_DEP_1)
	v_cvt_f32_i32_e32 v29, v27
	v_add_co_u32 v27, vcc_lo, 0x1000, v2
	v_add_co_ci_u32_e32 v28, vcc_lo, 0, v3, vcc_lo
	global_store_b32 v[27:28], v29, off offset:512
.LBB86_124:
	;; [unrolled: 15-line block ×4, first 2 shown]
	s_or_b32 exec_lo, exec_lo, s2
	v_or_b32_e32 v27, 0x540, v0
	s_mov_b32 s2, exec_lo
	s_delay_alu instid0(VALU_DEP_1)
	v_cmpx_gt_u32_e64 s14, v27
	s_cbranch_execz .LBB86_130
; %bb.129:
	s_waitcnt lgkmcnt(0)
	v_bfe_i32 v27, v26, 0, 16
	v_add_co_u32 v2, vcc_lo, 0x1000, v2
	v_add_co_ci_u32_e32 v3, vcc_lo, 0, v3, vcc_lo
	s_delay_alu instid0(VALU_DEP_3)
	v_cvt_f32_i32_e32 v27, v27
	global_store_b32 v[2:3], v27, off offset:1280
.LBB86_130:
	s_or_b32 exec_lo, exec_lo, s2
	s_load_b32 s0, s[0:1], 0x48
	s_waitcnt lgkmcnt(0)
	s_bfe_u32 s0, s0, 0x10008
	s_delay_alu instid0(SALU_CYCLE_1)
	s_cmp_eq_u32 s0, 0
	s_cbranch_scc1 .LBB86_212
; %bb.131:
	s_add_u32 s0, s14, -1
	s_addc_u32 s1, s18, -1
	s_add_u32 s2, 0, 0x2e8b0a00
	s_addc_u32 s3, 0, 42
	s_mul_hi_u32 s5, s2, 0xffffffea
	s_add_i32 s3, s3, 0xba2e890
	s_sub_i32 s5, s5, s2
	s_mul_i32 s8, s3, 0xffffffea
	s_mul_i32 s4, s2, 0xffffffea
	s_add_i32 s5, s5, s8
	s_mul_hi_u32 s9, s3, s4
	s_mul_i32 s8, s3, s4
	s_mul_i32 s10, s2, s5
	s_mul_hi_u32 s4, s2, s4
	s_mul_hi_u32 s11, s2, s5
	s_add_u32 s4, s4, s10
	s_addc_u32 s10, 0, s11
	s_mul_hi_u32 s11, s3, s5
	s_add_u32 s4, s4, s8
	s_addc_u32 s4, s10, s9
	s_mul_i32 s5, s3, s5
	s_addc_u32 s8, s11, 0
	s_add_u32 s4, s4, s5
	s_delay_alu instid0(SALU_CYCLE_1) | instskip(SKIP_2) | instid1(VALU_DEP_1)
	v_add_co_u32 v2, s2, s2, s4
	s_addc_u32 s4, 0, s8
	s_cmp_lg_u32 s2, 0
	v_readfirstlane_b32 s2, v2
	s_addc_u32 s3, s3, s4
	s_delay_alu instid0(SALU_CYCLE_1) | instskip(SKIP_1) | instid1(VALU_DEP_1)
	s_mul_i32 s4, s0, s3
	s_mul_hi_u32 s8, s0, s3
	s_mul_hi_u32 s5, s0, s2
	s_mul_i32 s9, s1, s2
	s_add_u32 s4, s5, s4
	s_addc_u32 s5, 0, s8
	s_mul_hi_u32 s2, s1, s2
	s_mul_hi_u32 s8, s1, s3
	s_add_u32 s4, s4, s9
	s_addc_u32 s2, s5, s2
	s_mul_i32 s3, s1, s3
	s_addc_u32 s4, s8, 0
	s_add_u32 s2, s2, s3
	s_addc_u32 s3, 0, s4
	s_mul_i32 s5, s2, 22
	s_add_u32 s4, s2, 1
	v_sub_co_u32 v2, s5, s0, s5
	s_addc_u32 s8, s3, 0
	s_mul_i32 s10, s3, 22
	s_mul_hi_u32 s12, s2, 22
	s_delay_alu instid0(VALU_DEP_1)
	v_sub_co_u32 v3, s11, v2, 22
	s_add_u32 s9, s2, 2
	s_addc_u32 s13, s3, 0
	s_add_i32 s12, s12, s10
	s_cmp_lg_u32 s5, 0
	v_readfirstlane_b32 s5, v3
	s_subb_u32 s10, s1, s12
	s_cmp_lg_u32 s11, 0
	s_subb_u32 s11, s10, 0
	s_delay_alu instid0(VALU_DEP_1) | instskip(SKIP_4) | instid1(SALU_CYCLE_1)
	s_cmp_gt_u32 s5, 21
	s_cselect_b32 s5, -1, 0
	s_cmp_eq_u32 s11, 0
	v_readfirstlane_b32 s11, v2
	s_cselect_b32 s5, s5, -1
	s_cmp_lg_u32 s5, 0
	s_cselect_b32 s4, s9, s4
	s_cselect_b32 s5, s13, s8
	s_cmp_gt_u32 s11, 21
	s_cselect_b32 s8, -1, 0
	s_cmp_eq_u32 s10, 0
	s_cselect_b32 s8, s8, -1
	s_delay_alu instid0(SALU_CYCLE_1) | instskip(SKIP_2) | instid1(SALU_CYCLE_1)
	s_cmp_lg_u32 s8, 0
	s_cselect_b32 s3, s5, s3
	s_cselect_b32 s2, s4, s2
	v_cmp_eq_u64_e32 vcc_lo, s[2:3], v[0:1]
	s_and_saveexec_b32 s2, vcc_lo
	s_cbranch_execz .LBB86_212
; %bb.132:
	v_mul_hi_u32_u24_e32 v1, 22, v0
	v_sub_co_u32 v0, vcc_lo, s0, v15
	s_mov_b32 s0, 0
	s_mov_b32 s2, 0
	s_delay_alu instid0(VALU_DEP_2) | instskip(SKIP_1) | instid1(VALU_DEP_1)
	v_sub_co_ci_u32_e32 v1, vcc_lo, s1, v1, vcc_lo
	s_mov_b32 s1, exec_lo
	v_cmpx_lt_i64_e32 10, v[0:1]
	s_xor_b32 s1, exec_lo, s1
	s_cbranch_execnz .LBB86_136
; %bb.133:
	s_or_saveexec_b32 s1, s1
	s_mov_b32 s3, 0
	s_xor_b32 exec_lo, exec_lo, s1
	s_cbranch_execnz .LBB86_177
.LBB86_134:
	s_or_b32 exec_lo, exec_lo, s1
	s_and_saveexec_b32 s1, s2
	s_cbranch_execnz .LBB86_188
.LBB86_135:
	s_or_b32 exec_lo, exec_lo, s1
	s_and_saveexec_b32 s1, s0
	s_cbranch_execnz .LBB86_189
	s_branch .LBB86_193
.LBB86_136:
	s_mov_b32 s3, 0
	s_mov_b32 s2, exec_lo
	v_cmpx_lt_i64_e32 15, v[0:1]
	s_xor_b32 s2, exec_lo, s2
	s_cbranch_execz .LBB86_158
; %bb.137:
	s_mov_b32 s4, exec_lo
                                        ; implicit-def: $vgpr12
	v_cmpx_lt_i64_e32 18, v[0:1]
	s_xor_b32 s4, exec_lo, s4
	s_cbranch_execz .LBB86_147
; %bb.138:
	s_mov_b32 s5, 0
	s_mov_b32 s3, exec_lo
                                        ; implicit-def: $vgpr12
	v_cmpx_lt_i64_e32 19, v[0:1]
	s_xor_b32 s3, exec_lo, s3
	s_cbranch_execz .LBB86_144
; %bb.139:
	s_mov_b32 s5, exec_lo
	v_cmpx_lt_i64_e32 20, v[0:1]
	s_xor_b32 s5, exec_lo, s5
	s_cbranch_execz .LBB86_141
; %bb.140:
	v_mov_b32_e32 v2, 0
                                        ; implicit-def: $vgpr20
	global_store_b16 v2, v26, s[6:7]
.LBB86_141:
	s_or_saveexec_b32 s5, s5
	s_mov_b32 s8, 0
	s_xor_b32 exec_lo, exec_lo, s5
; %bb.142:
	s_delay_alu instid0(SALU_CYCLE_1)
	s_mov_b32 s8, exec_lo
; %bb.143:
	s_or_b32 exec_lo, exec_lo, s5
	v_mov_b32_e32 v12, v20
	s_and_b32 s5, s8, exec_lo
                                        ; implicit-def: $vgpr25
.LBB86_144:
	s_and_not1_saveexec_b32 s3, s3
	s_cbranch_execz .LBB86_146
; %bb.145:
	v_mov_b32_e32 v2, 0
                                        ; implicit-def: $vgpr12
	global_store_b16 v2, v25, s[6:7]
.LBB86_146:
	s_or_b32 exec_lo, exec_lo, s3
	s_delay_alu instid0(SALU_CYCLE_1)
	s_and_b32 s3, s5, exec_lo
                                        ; implicit-def: $vgpr22
                                        ; implicit-def: $vgpr19
                                        ; implicit-def: $vgpr24
.LBB86_147:
	s_and_not1_saveexec_b32 s4, s4
	s_cbranch_execz .LBB86_157
; %bb.148:
	s_mov_b32 s5, exec_lo
	v_cmpx_lt_i64_e32 16, v[0:1]
	s_xor_b32 s5, exec_lo, s5
	s_cbranch_execz .LBB86_154
; %bb.149:
	s_mov_b32 s8, exec_lo
	v_cmpx_lt_i64_e32 17, v[0:1]
	s_xor_b32 s8, exec_lo, s8
	s_cbranch_execz .LBB86_151
; %bb.150:
	v_mov_b32_e32 v2, 0
                                        ; implicit-def: $vgpr19
	global_store_b16 v2, v24, s[6:7]
.LBB86_151:
	s_and_not1_saveexec_b32 s8, s8
	s_cbranch_execz .LBB86_153
; %bb.152:
	v_mov_b32_e32 v2, 0
	global_store_b16 v2, v19, s[6:7]
.LBB86_153:
	s_or_b32 exec_lo, exec_lo, s8
                                        ; implicit-def: $vgpr22
.LBB86_154:
	s_and_not1_saveexec_b32 s5, s5
	s_cbranch_execz .LBB86_156
; %bb.155:
	v_mov_b32_e32 v2, 0
	global_store_b16 v2, v22, s[6:7]
.LBB86_156:
	s_or_b32 exec_lo, exec_lo, s5
                                        ; implicit-def: $vgpr12
.LBB86_157:
	s_delay_alu instid0(SALU_CYCLE_1) | instskip(NEXT) | instid1(SALU_CYCLE_1)
	s_or_b32 exec_lo, exec_lo, s4
	s_and_b32 s3, s3, exec_lo
                                        ; implicit-def: $vgpr21
                                        ; implicit-def: $vgpr18
                                        ; implicit-def: $vgpr17
                                        ; implicit-def: $vgpr23
.LBB86_158:
	s_and_not1_saveexec_b32 s2, s2
	s_cbranch_execz .LBB86_176
; %bb.159:
	s_mov_b32 s4, exec_lo
	v_cmpx_lt_i64_e32 12, v[0:1]
	s_xor_b32 s4, exec_lo, s4
	s_cbranch_execz .LBB86_169
; %bb.160:
	s_mov_b32 s5, exec_lo
	v_cmpx_lt_i64_e32 13, v[0:1]
	s_xor_b32 s5, exec_lo, s5
	;; [unrolled: 5-line block ×3, first 2 shown]
	s_cbranch_execz .LBB86_163
; %bb.162:
	v_mov_b32_e32 v2, 0
                                        ; implicit-def: $vgpr17
	global_store_b16 v2, v23, s[6:7]
.LBB86_163:
	s_and_not1_saveexec_b32 s8, s8
	s_cbranch_execz .LBB86_165
; %bb.164:
	v_mov_b32_e32 v2, 0
	global_store_b16 v2, v17, s[6:7]
.LBB86_165:
	s_or_b32 exec_lo, exec_lo, s8
                                        ; implicit-def: $vgpr21
.LBB86_166:
	s_and_not1_saveexec_b32 s5, s5
	s_cbranch_execz .LBB86_168
; %bb.167:
	v_mov_b32_e32 v2, 0
	global_store_b16 v2, v21, s[6:7]
.LBB86_168:
	s_or_b32 exec_lo, exec_lo, s5
                                        ; implicit-def: $vgpr12
                                        ; implicit-def: $vgpr18
.LBB86_169:
	s_or_saveexec_b32 s4, s4
	s_mov_b32 s5, s3
	s_xor_b32 exec_lo, exec_lo, s4
	s_cbranch_execz .LBB86_175
; %bb.170:
	s_mov_b32 s5, exec_lo
	v_cmpx_lt_i64_e32 11, v[0:1]
	s_xor_b32 s5, exec_lo, s5
	s_cbranch_execz .LBB86_172
; %bb.171:
	v_mov_b32_e32 v2, 0
                                        ; implicit-def: $vgpr12
	global_store_b16 v2, v18, s[6:7]
.LBB86_172:
	s_or_saveexec_b32 s5, s5
	s_mov_b32 s8, s3
	s_xor_b32 exec_lo, exec_lo, s5
; %bb.173:
	s_delay_alu instid0(SALU_CYCLE_1)
	s_or_b32 s8, s3, exec_lo
; %bb.174:
	s_or_b32 exec_lo, exec_lo, s5
	s_delay_alu instid0(SALU_CYCLE_1) | instskip(SKIP_1) | instid1(SALU_CYCLE_1)
	s_and_not1_b32 s5, s3, exec_lo
	s_and_b32 s8, s8, exec_lo
	s_or_b32 s5, s5, s8
.LBB86_175:
	s_or_b32 exec_lo, exec_lo, s4
	s_delay_alu instid0(SALU_CYCLE_1) | instskip(SKIP_1) | instid1(SALU_CYCLE_1)
	s_and_not1_b32 s3, s3, exec_lo
	s_and_b32 s4, s5, exec_lo
	s_or_b32 s3, s3, s4
.LBB86_176:
	s_or_b32 exec_lo, exec_lo, s2
	s_delay_alu instid0(SALU_CYCLE_1)
	s_and_b32 s2, s3, exec_lo
                                        ; implicit-def: $vgpr14
                                        ; implicit-def: $vgpr16
                                        ; implicit-def: $vgpr13
	s_or_saveexec_b32 s1, s1
	s_mov_b32 s3, 0
	s_xor_b32 exec_lo, exec_lo, s1
	s_cbranch_execz .LBB86_134
.LBB86_177:
	s_mov_b32 s4, 0
	s_mov_b32 s3, -1
	s_mov_b32 s5, s2
	s_mov_b32 s0, exec_lo
                                        ; implicit-def: $vgpr12
	v_cmpx_lt_i64_e32 5, v[0:1]
	s_cbranch_execz .LBB86_187
; %bb.178:
	s_mov_b32 s4, -1
	s_mov_b32 s5, s2
	s_mov_b32 s3, exec_lo
	v_cmpx_lt_i64_e32 7, v[0:1]
	s_cbranch_execz .LBB86_186
; %bb.179:
	s_mov_b32 s4, exec_lo
	v_cmpx_lt_i64_e32 8, v[0:1]
	s_cbranch_execz .LBB86_185
; %bb.180:
	s_mov_b32 s5, exec_lo
	v_cmpx_lt_i64_e32 9, v[0:1]
	s_xor_b32 s5, exec_lo, s5
; %bb.181:
                                        ; implicit-def: $vgpr16
; %bb.182:
	s_delay_alu instid0(SALU_CYCLE_1)
	s_and_not1_saveexec_b32 s5, s5
; %bb.183:
	v_mov_b32_e32 v13, v16
; %bb.184:
	s_or_b32 exec_lo, exec_lo, s5
	s_delay_alu instid0(VALU_DEP_1)
	v_mov_b32_e32 v14, v13
.LBB86_185:
	s_or_b32 exec_lo, exec_lo, s4
	s_delay_alu instid0(SALU_CYCLE_1)
	s_xor_b32 s4, exec_lo, -1
	s_or_b32 s5, s2, exec_lo
.LBB86_186:
	s_or_b32 exec_lo, exec_lo, s3
	v_mov_b32_e32 v12, v14
	s_and_not1_b32 s8, s2, exec_lo
	s_and_b32 s5, s5, exec_lo
	s_xor_b32 s3, exec_lo, -1
	s_and_b32 s4, s4, exec_lo
	s_or_b32 s5, s8, s5
.LBB86_187:
	s_or_b32 exec_lo, exec_lo, s0
	s_delay_alu instid0(SALU_CYCLE_1)
	s_and_not1_b32 s2, s2, exec_lo
	s_and_b32 s5, s5, exec_lo
	s_and_b32 s3, s3, exec_lo
	;; [unrolled: 1-line block ×3, first 2 shown]
	s_or_b32 s2, s2, s5
	s_or_b32 exec_lo, exec_lo, s1
	s_and_saveexec_b32 s1, s2
	s_cbranch_execz .LBB86_135
.LBB86_188:
	v_mov_b32_e32 v2, 0
	global_store_b16 v2, v12, s[6:7]
	s_or_b32 exec_lo, exec_lo, s1
	s_and_saveexec_b32 s1, s0
	s_cbranch_execz .LBB86_193
.LBB86_189:
	s_mov_b32 s0, exec_lo
	v_cmpx_lt_i64_e32 6, v[0:1]
	s_xor_b32 s0, exec_lo, s0
	s_cbranch_execz .LBB86_191
; %bb.190:
	v_mov_b32_e32 v2, 0
                                        ; implicit-def: $vgpr10
	global_store_b16 v2, v11, s[6:7]
.LBB86_191:
	s_and_not1_saveexec_b32 s0, s0
	s_cbranch_execz .LBB86_193
; %bb.192:
	v_mov_b32_e32 v2, 0
	global_store_b16 v2, v10, s[6:7]
.LBB86_193:
	s_or_b32 exec_lo, exec_lo, s1
	s_delay_alu instid0(SALU_CYCLE_1)
	s_and_b32 exec_lo, exec_lo, s3
	s_cbranch_execz .LBB86_212
; %bb.194:
	s_mov_b32 s0, exec_lo
	v_cmpx_lt_i64_e32 2, v[0:1]
	s_xor_b32 s0, exec_lo, s0
	s_cbranch_execz .LBB86_204
; %bb.195:
	s_mov_b32 s1, exec_lo
	v_cmpx_lt_i64_e32 3, v[0:1]
	s_xor_b32 s1, exec_lo, s1
	;; [unrolled: 5-line block ×3, first 2 shown]
	s_cbranch_execz .LBB86_198
; %bb.197:
	v_mov_b32_e32 v0, 0
                                        ; implicit-def: $vgpr6
	global_store_b16 v0, v9, s[6:7]
.LBB86_198:
	s_and_not1_saveexec_b32 s2, s2
	s_cbranch_execz .LBB86_200
; %bb.199:
	v_mov_b32_e32 v0, 0
	global_store_b16 v0, v6, s[6:7]
.LBB86_200:
	s_or_b32 exec_lo, exec_lo, s2
                                        ; implicit-def: $vgpr8
.LBB86_201:
	s_and_not1_saveexec_b32 s1, s1
	s_cbranch_execz .LBB86_203
; %bb.202:
	v_mov_b32_e32 v0, 0
	global_store_b16 v0, v8, s[6:7]
.LBB86_203:
	s_or_b32 exec_lo, exec_lo, s1
                                        ; implicit-def: $vgpr0_vgpr1
                                        ; implicit-def: $vgpr7
                                        ; implicit-def: $vgpr4
                                        ; implicit-def: $vgpr5
.LBB86_204:
	s_and_not1_saveexec_b32 s0, s0
	s_cbranch_execz .LBB86_212
; %bb.205:
	s_mov_b32 s0, exec_lo
	v_cmpx_lt_i64_e32 1, v[0:1]
	s_xor_b32 s0, exec_lo, s0
	s_cbranch_execz .LBB86_207
; %bb.206:
	v_mov_b32_e32 v0, 0
                                        ; implicit-def: $vgpr4
                                        ; implicit-def: $vgpr5
	global_store_b16 v0, v7, s[6:7]
                                        ; implicit-def: $vgpr0_vgpr1
.LBB86_207:
	s_and_not1_saveexec_b32 s0, s0
	s_cbranch_execz .LBB86_212
; %bb.208:
	s_mov_b32 s0, exec_lo
	v_cmpx_ne_u64_e32 1, v[0:1]
	s_xor_b32 s0, exec_lo, s0
	s_cbranch_execz .LBB86_210
; %bb.209:
	v_mov_b32_e32 v0, 0
                                        ; implicit-def: $vgpr4
	global_store_b16 v0, v5, s[6:7]
.LBB86_210:
	s_and_not1_saveexec_b32 s0, s0
	s_cbranch_execz .LBB86_212
; %bb.211:
	v_mov_b32_e32 v0, 0
	global_store_b16 v0, v4, s[6:7]
.LBB86_212:
	s_nop 0
	s_sendmsg sendmsg(MSG_DEALLOC_VGPRS)
	s_endpgm
	.section	.rodata,"a",@progbits
	.p2align	6, 0x0
	.amdhsa_kernel _ZN7rocprim6detail20lookback_scan_kernelILNS0_25lookback_scan_determinismE0ELb1ENS0_19wrapped_scan_configINS_14default_configEsEEN6hipcub22TransformInputIteratorIsNS6_6CastOpIsEEPslEEPfNS6_3MaxEssNS0_19lookback_scan_stateIsLb0ELb1EEEEEvT2_T3_mT5_T4_T7_jPT6_SM_bb
		.amdhsa_group_segment_fixed_size 2816
		.amdhsa_private_segment_fixed_size 0
		.amdhsa_kernarg_size 76
		.amdhsa_user_sgpr_count 15
		.amdhsa_user_sgpr_dispatch_ptr 0
		.amdhsa_user_sgpr_queue_ptr 0
		.amdhsa_user_sgpr_kernarg_segment_ptr 1
		.amdhsa_user_sgpr_dispatch_id 0
		.amdhsa_user_sgpr_private_segment_size 0
		.amdhsa_wavefront_size32 1
		.amdhsa_uses_dynamic_stack 0
		.amdhsa_enable_private_segment 0
		.amdhsa_system_sgpr_workgroup_id_x 1
		.amdhsa_system_sgpr_workgroup_id_y 0
		.amdhsa_system_sgpr_workgroup_id_z 0
		.amdhsa_system_sgpr_workgroup_info 0
		.amdhsa_system_vgpr_workitem_id 0
		.amdhsa_next_free_vgpr 50
		.amdhsa_next_free_sgpr 22
		.amdhsa_reserve_vcc 1
		.amdhsa_float_round_mode_32 0
		.amdhsa_float_round_mode_16_64 0
		.amdhsa_float_denorm_mode_32 3
		.amdhsa_float_denorm_mode_16_64 3
		.amdhsa_dx10_clamp 1
		.amdhsa_ieee_mode 1
		.amdhsa_fp16_overflow 0
		.amdhsa_workgroup_processor_mode 1
		.amdhsa_memory_ordered 1
		.amdhsa_forward_progress 0
		.amdhsa_shared_vgpr_count 0
		.amdhsa_exception_fp_ieee_invalid_op 0
		.amdhsa_exception_fp_denorm_src 0
		.amdhsa_exception_fp_ieee_div_zero 0
		.amdhsa_exception_fp_ieee_overflow 0
		.amdhsa_exception_fp_ieee_underflow 0
		.amdhsa_exception_fp_ieee_inexact 0
		.amdhsa_exception_int_div_zero 0
	.end_amdhsa_kernel
	.section	.text._ZN7rocprim6detail20lookback_scan_kernelILNS0_25lookback_scan_determinismE0ELb1ENS0_19wrapped_scan_configINS_14default_configEsEEN6hipcub22TransformInputIteratorIsNS6_6CastOpIsEEPslEEPfNS6_3MaxEssNS0_19lookback_scan_stateIsLb0ELb1EEEEEvT2_T3_mT5_T4_T7_jPT6_SM_bb,"axG",@progbits,_ZN7rocprim6detail20lookback_scan_kernelILNS0_25lookback_scan_determinismE0ELb1ENS0_19wrapped_scan_configINS_14default_configEsEEN6hipcub22TransformInputIteratorIsNS6_6CastOpIsEEPslEEPfNS6_3MaxEssNS0_19lookback_scan_stateIsLb0ELb1EEEEEvT2_T3_mT5_T4_T7_jPT6_SM_bb,comdat
.Lfunc_end86:
	.size	_ZN7rocprim6detail20lookback_scan_kernelILNS0_25lookback_scan_determinismE0ELb1ENS0_19wrapped_scan_configINS_14default_configEsEEN6hipcub22TransformInputIteratorIsNS6_6CastOpIsEEPslEEPfNS6_3MaxEssNS0_19lookback_scan_stateIsLb0ELb1EEEEEvT2_T3_mT5_T4_T7_jPT6_SM_bb, .Lfunc_end86-_ZN7rocprim6detail20lookback_scan_kernelILNS0_25lookback_scan_determinismE0ELb1ENS0_19wrapped_scan_configINS_14default_configEsEEN6hipcub22TransformInputIteratorIsNS6_6CastOpIsEEPslEEPfNS6_3MaxEssNS0_19lookback_scan_stateIsLb0ELb1EEEEEvT2_T3_mT5_T4_T7_jPT6_SM_bb
                                        ; -- End function
	.section	.AMDGPU.csdata,"",@progbits
; Kernel info:
; codeLenInByte = 8796
; NumSgprs: 24
; NumVgprs: 50
; ScratchSize: 0
; MemoryBound: 0
; FloatMode: 240
; IeeeMode: 1
; LDSByteSize: 2816 bytes/workgroup (compile time only)
; SGPRBlocks: 2
; VGPRBlocks: 6
; NumSGPRsForWavesPerEU: 24
; NumVGPRsForWavesPerEU: 50
; Occupancy: 16
; WaveLimiterHint : 1
; COMPUTE_PGM_RSRC2:SCRATCH_EN: 0
; COMPUTE_PGM_RSRC2:USER_SGPR: 15
; COMPUTE_PGM_RSRC2:TRAP_HANDLER: 0
; COMPUTE_PGM_RSRC2:TGID_X_EN: 1
; COMPUTE_PGM_RSRC2:TGID_Y_EN: 0
; COMPUTE_PGM_RSRC2:TGID_Z_EN: 0
; COMPUTE_PGM_RSRC2:TIDIG_COMP_CNT: 0
	.section	.text._ZN7rocprim6detail18single_scan_kernelILb1ENS0_19wrapped_scan_configINS_14default_configEsEEN6hipcub22TransformInputIteratorIsNS5_6CastOpIsEEPslEEPfNS5_3MaxEssEEvT1_mT4_T2_T3_,"axG",@progbits,_ZN7rocprim6detail18single_scan_kernelILb1ENS0_19wrapped_scan_configINS_14default_configEsEEN6hipcub22TransformInputIteratorIsNS5_6CastOpIsEEPslEEPfNS5_3MaxEssEEvT1_mT4_T2_T3_,comdat
	.protected	_ZN7rocprim6detail18single_scan_kernelILb1ENS0_19wrapped_scan_configINS_14default_configEsEEN6hipcub22TransformInputIteratorIsNS5_6CastOpIsEEPslEEPfNS5_3MaxEssEEvT1_mT4_T2_T3_ ; -- Begin function _ZN7rocprim6detail18single_scan_kernelILb1ENS0_19wrapped_scan_configINS_14default_configEsEEN6hipcub22TransformInputIteratorIsNS5_6CastOpIsEEPslEEPfNS5_3MaxEssEEvT1_mT4_T2_T3_
	.globl	_ZN7rocprim6detail18single_scan_kernelILb1ENS0_19wrapped_scan_configINS_14default_configEsEEN6hipcub22TransformInputIteratorIsNS5_6CastOpIsEEPslEEPfNS5_3MaxEssEEvT1_mT4_T2_T3_
	.p2align	8
	.type	_ZN7rocprim6detail18single_scan_kernelILb1ENS0_19wrapped_scan_configINS_14default_configEsEEN6hipcub22TransformInputIteratorIsNS5_6CastOpIsEEPslEEPfNS5_3MaxEssEEvT1_mT4_T2_T3_,@function
_ZN7rocprim6detail18single_scan_kernelILb1ENS0_19wrapped_scan_configINS_14default_configEsEEN6hipcub22TransformInputIteratorIsNS5_6CastOpIsEEPslEEPfNS5_3MaxEssEEvT1_mT4_T2_T3_: ; @_ZN7rocprim6detail18single_scan_kernelILb1ENS0_19wrapped_scan_configINS_14default_configEsEEN6hipcub22TransformInputIteratorIsNS5_6CastOpIsEEPslEEPfNS5_3MaxEssEEvT1_mT4_T2_T3_
; %bb.0:
	s_clause 0x1
	s_load_b64 s[2:3], s[0:1], 0x0
	s_load_b32 s16, s[0:1], 0x10
	v_mov_b32_e32 v1, 0
	v_lshlrev_b32_e32 v11, 1, v0
	s_waitcnt lgkmcnt(0)
	global_load_u16 v3, v1, s[2:3]
	v_add_co_u32 v1, s2, s2, v11
	s_delay_alu instid0(VALU_DEP_1)
	v_add_co_ci_u32_e64 v2, null, s3, 0, s2
	v_cmp_gt_u32_e32 vcc_lo, s16, v0
	s_waitcnt vmcnt(0)
	v_mov_b32_e32 v4, v3
	s_and_saveexec_b32 s2, vcc_lo
	s_cbranch_execz .LBB87_2
; %bb.1:
	global_load_u16 v4, v[1:2], off
.LBB87_2:
	s_or_b32 exec_lo, exec_lo, s2
	v_or_b32_e32 v5, 64, v0
	s_delay_alu instid0(VALU_DEP_1) | instskip(SKIP_1) | instid1(VALU_DEP_2)
	v_cmp_gt_u32_e64 s2, s16, v5
	v_mov_b32_e32 v5, v3
	s_and_saveexec_b32 s3, s2
	s_cbranch_execz .LBB87_4
; %bb.3:
	global_load_u16 v5, v[1:2], off offset:128
.LBB87_4:
	s_or_b32 exec_lo, exec_lo, s3
	v_or_b32_e32 v6, 0x80, v0
	s_delay_alu instid0(VALU_DEP_1) | instskip(SKIP_1) | instid1(VALU_DEP_2)
	v_cmp_gt_u32_e64 s3, s16, v6
	v_mov_b32_e32 v6, v3
	s_and_saveexec_b32 s4, s3
	s_cbranch_execz .LBB87_6
; %bb.5:
	global_load_u16 v6, v[1:2], off offset:256
.LBB87_6:
	;; [unrolled: 10-line block ×20, first 2 shown]
	s_or_b32 exec_lo, exec_lo, s23
	v_or_b32_e32 v26, 0x540, v0
	s_delay_alu instid0(VALU_DEP_1) | instskip(NEXT) | instid1(VALU_DEP_1)
	v_cmp_gt_u32_e64 s16, s16, v26
	s_and_saveexec_b32 s23, s16
	s_cbranch_execz .LBB87_44
; %bb.43:
	global_load_u16 v3, v[1:2], off offset:2688
.LBB87_44:
	s_or_b32 exec_lo, exec_lo, s23
	s_waitcnt vmcnt(0)
	ds_store_b16 v11, v4
	ds_store_b16 v11, v5 offset:128
	ds_store_b16 v11, v6 offset:256
	;; [unrolled: 1-line block ×15, first 2 shown]
	v_mad_u32_u24 v12, v0, 42, v11
	ds_store_b16 v11, v21 offset:2048
	ds_store_b16 v11, v22 offset:2176
	;; [unrolled: 1-line block ×6, first 2 shown]
	s_waitcnt lgkmcnt(0)
	s_barrier
	buffer_gl0_inv
	ds_load_2addr_b32 v[7:8], v12 offset1:1
	ds_load_2addr_b32 v[5:6], v12 offset0:2 offset1:3
	ds_load_2addr_b32 v[3:4], v12 offset0:4 offset1:5
	ds_load_2addr_b32 v[1:2], v12 offset0:6 offset1:7
	v_lshrrev_b32_e32 v25, 4, v0
	s_mov_b32 s24, exec_lo
	s_delay_alu instid0(VALU_DEP_1) | instskip(NEXT) | instid1(VALU_DEP_1)
	v_and_b32_e32 v25, 2, v25
	v_add_nc_u32_e32 v25, v11, v25
	s_waitcnt lgkmcnt(3)
	v_lshrrev_b32_e32 v16, 16, v7
	v_lshrrev_b32_e32 v15, 16, v8
	s_waitcnt lgkmcnt(2)
	v_lshrrev_b32_e32 v17, 16, v5
	v_lshrrev_b32_e32 v18, 16, v6
	s_waitcnt lgkmcnt(1)
	v_lshrrev_b32_e32 v19, 16, v3
	v_max_i16 v9, v7, v16
	v_lshrrev_b32_e32 v20, 16, v4
	s_waitcnt lgkmcnt(0)
	v_lshrrev_b32_e32 v21, 16, v1
	v_lshrrev_b32_e32 v22, 16, v2
	v_max3_i16 v9, v9, v8, v15
	s_delay_alu instid0(VALU_DEP_1) | instskip(SKIP_2) | instid1(VALU_DEP_1)
	v_max3_i16 v13, v9, v5, v17
	ds_load_2addr_b32 v[9:10], v12 offset0:8 offset1:9
	v_max3_i16 v13, v13, v6, v18
	v_max3_i16 v14, v13, v3, v19
	ds_load_b32 v13, v12 offset:40
	s_waitcnt lgkmcnt(0)
	s_barrier
	buffer_gl0_inv
	v_max3_i16 v14, v14, v4, v20
	s_delay_alu instid0(VALU_DEP_1) | instskip(SKIP_1) | instid1(VALU_DEP_2)
	v_max3_i16 v14, v14, v1, v21
	v_lshrrev_b32_e32 v23, 16, v9
	v_max3_i16 v24, v14, v2, v22
	v_lshrrev_b32_e32 v14, 16, v10
	s_delay_alu instid0(VALU_DEP_2) | instskip(SKIP_1) | instid1(VALU_DEP_2)
	v_max3_i16 v24, v24, v9, v23
	v_lshrrev_b32_e32 v26, 16, v13
	v_max3_i16 v24, v24, v10, v14
	s_delay_alu instid0(VALU_DEP_1)
	v_max3_i16 v24, v24, v13, v26
	ds_store_b16 v25, v24
	s_waitcnt lgkmcnt(0)
	s_barrier
	buffer_gl0_inv
	v_cmpx_gt_u32_e32 32, v0
	s_cbranch_execz .LBB87_46
; %bb.45:
	v_lshrrev_b32_e32 v25, 3, v0
	v_mbcnt_lo_u32_b32 v30, -1, 0
	s_delay_alu instid0(VALU_DEP_2) | instskip(NEXT) | instid1(VALU_DEP_2)
	v_and_b32_e32 v25, 6, v25
	v_and_b32_e32 v31, 15, v30
	v_add_nc_u32_e32 v32, -1, v30
	s_delay_alu instid0(VALU_DEP_3) | instskip(NEXT) | instid1(VALU_DEP_3)
	v_lshl_or_b32 v25, v0, 2, v25
	v_cmp_eq_u32_e64 s23, 0, v31
	ds_load_u16 v26, v25
	ds_load_u16 v27, v25 offset:2
	s_waitcnt lgkmcnt(0)
	v_max_i16 v28, v26, v27
	s_delay_alu instid0(VALU_DEP_1) | instskip(NEXT) | instid1(VALU_DEP_1)
	v_and_b32_e32 v29, 0xffff, v28
	v_mov_b32_dpp v29, v29 row_shr:1 row_mask:0xf bank_mask:0xf
	s_delay_alu instid0(VALU_DEP_1) | instskip(NEXT) | instid1(VALU_DEP_1)
	v_max_i16 v29, v29, v28
	v_cndmask_b32_e64 v28, v29, v28, s23
	v_cmp_lt_u32_e64 s23, 1, v31
	s_delay_alu instid0(VALU_DEP_2) | instskip(NEXT) | instid1(VALU_DEP_1)
	v_and_b32_e32 v29, 0xffff, v28
	v_mov_b32_dpp v29, v29 row_shr:2 row_mask:0xf bank_mask:0xf
	s_delay_alu instid0(VALU_DEP_1) | instskip(NEXT) | instid1(VALU_DEP_1)
	v_max_i16 v29, v29, v28
	v_cndmask_b32_e64 v28, v28, v29, s23
	v_cmp_lt_u32_e64 s23, 3, v31
	s_delay_alu instid0(VALU_DEP_2) | instskip(NEXT) | instid1(VALU_DEP_1)
	v_and_b32_e32 v29, 0xffff, v28
	v_mov_b32_dpp v29, v29 row_shr:4 row_mask:0xf bank_mask:0xf
	s_delay_alu instid0(VALU_DEP_1) | instskip(NEXT) | instid1(VALU_DEP_1)
	v_max_i16 v29, v29, v28
	v_cndmask_b32_e64 v28, v28, v29, s23
	v_cmp_lt_u32_e64 s23, 7, v31
	v_and_b32_e32 v31, 16, v30
	s_delay_alu instid0(VALU_DEP_3) | instskip(NEXT) | instid1(VALU_DEP_1)
	v_and_b32_e32 v29, 0xffff, v28
	v_mov_b32_dpp v29, v29 row_shr:8 row_mask:0xf bank_mask:0xf
	s_delay_alu instid0(VALU_DEP_1) | instskip(NEXT) | instid1(VALU_DEP_1)
	v_max_i16 v29, v29, v28
	v_cndmask_b32_e64 v28, v28, v29, s23
	v_cmp_eq_u32_e64 s23, 0, v31
	s_delay_alu instid0(VALU_DEP_2) | instskip(SKIP_3) | instid1(VALU_DEP_1)
	v_and_b32_e32 v29, 0xffff, v28
	ds_swizzle_b32 v29, v29 offset:swizzle(BROADCAST,32,15)
	s_waitcnt lgkmcnt(0)
	v_max_i16 v29, v29, v28
	v_cndmask_b32_e64 v28, v29, v28, s23
	v_cmp_gt_i32_e64 s23, 0, v32
	s_delay_alu instid0(VALU_DEP_2) | instskip(NEXT) | instid1(VALU_DEP_2)
	v_and_b32_e32 v28, 0xffff, v28
	v_cndmask_b32_e64 v29, v32, v30, s23
	v_cmp_eq_u32_e64 s23, 0, v0
	s_delay_alu instid0(VALU_DEP_2) | instskip(SKIP_3) | instid1(VALU_DEP_1)
	v_lshlrev_b32_e32 v29, 2, v29
	ds_bpermute_b32 v28, v29, v28
	s_waitcnt lgkmcnt(0)
	v_max_i16 v26, v28, v26
	v_cndmask_b32_e64 v24, v26, v24, s23
	s_delay_alu instid0(VALU_DEP_1)
	v_max_i16 v26, v24, v27
	ds_store_b16 v25, v24
	ds_store_b16 v25, v26 offset:2
.LBB87_46:
	s_or_b32 exec_lo, exec_lo, s24
	s_load_b32 s24, s[0:1], 0x18
	s_mov_b32 s25, exec_lo
	s_waitcnt lgkmcnt(0)
	s_barrier
	buffer_gl0_inv
	v_mov_b32_e32 v24, s24
	v_cmpx_ne_u32_e32 0, v0
	s_cbranch_execz .LBB87_48
; %bb.47:
	v_add_nc_u32_e32 v24, -1, v0
	s_delay_alu instid0(VALU_DEP_1) | instskip(NEXT) | instid1(VALU_DEP_1)
	v_lshrrev_b32_e32 v25, 5, v24
	v_add_lshl_u32 v24, v25, v24, 1
	ds_load_u16 v24, v24
	s_waitcnt lgkmcnt(0)
	v_max_i16 v24, s24, v24
.LBB87_48:
	s_or_b32 exec_lo, exec_lo, s25
	s_delay_alu instid0(VALU_DEP_1)
	v_max_i16 v7, v24, v7
	v_mad_i32_i24 v25, 0xffffffd6, v0, v12
	s_barrier
	buffer_gl0_inv
	v_max_i16 v16, v7, v16
	v_perm_b32 v7, v7, v24, 0x5040100
	s_load_b64 s[0:1], s[0:1], 0x20
	v_lshlrev_b32_e32 v0, 2, v0
	s_delay_alu instid0(VALU_DEP_3) | instskip(NEXT) | instid1(VALU_DEP_1)
	v_max_i16 v8, v16, v8
	v_max_i16 v15, v8, v15
	v_perm_b32 v8, v8, v16, 0x5040100
	s_delay_alu instid0(VALU_DEP_2) | instskip(NEXT) | instid1(VALU_DEP_1)
	v_max_i16 v5, v15, v5
	v_max_i16 v17, v5, v17
	v_perm_b32 v5, v5, v15, 0x5040100
	s_waitcnt lgkmcnt(0)
	v_add_co_u32 v0, s0, s0, v0
	s_delay_alu instid0(VALU_DEP_3) | instskip(NEXT) | instid1(VALU_DEP_1)
	v_max_i16 v6, v17, v6
	v_max_i16 v18, v6, v18
	v_perm_b32 v6, v6, v17, 0x5040100
	s_delay_alu instid0(VALU_DEP_2) | instskip(NEXT) | instid1(VALU_DEP_1)
	v_max_i16 v3, v18, v3
	v_max_i16 v19, v3, v19
	v_perm_b32 v3, v3, v18, 0x5040100
	s_delay_alu instid0(VALU_DEP_2) | instskip(NEXT) | instid1(VALU_DEP_1)
	;; [unrolled: 4-line block ×7, first 2 shown]
	v_max_i16 v13, v14, v13
	v_perm_b32 v13, v13, v14, 0x5040100
	ds_store_2addr_b32 v12, v7, v8 offset1:1
	ds_store_2addr_b32 v12, v5, v6 offset0:2 offset1:3
	ds_store_2addr_b32 v12, v3, v4 offset0:4 offset1:5
	;; [unrolled: 1-line block ×4, first 2 shown]
	ds_store_b32 v12, v13 offset:40
	s_waitcnt lgkmcnt(0)
	s_barrier
	buffer_gl0_inv
	ds_load_u16 v22, v25 offset:256
	ds_load_u16 v21, v25 offset:384
	;; [unrolled: 1-line block ×21, first 2 shown]
	v_add_co_ci_u32_e64 v1, null, s1, 0, s0
	s_and_saveexec_b32 s0, vcc_lo
	s_cbranch_execnz .LBB87_71
; %bb.49:
	s_or_b32 exec_lo, exec_lo, s0
	s_and_saveexec_b32 s0, s2
	s_cbranch_execnz .LBB87_72
.LBB87_50:
	s_or_b32 exec_lo, exec_lo, s0
	s_and_saveexec_b32 s0, s3
	s_cbranch_execnz .LBB87_73
.LBB87_51:
	s_or_b32 exec_lo, exec_lo, s0
	s_and_saveexec_b32 s0, s4
	s_cbranch_execnz .LBB87_74
.LBB87_52:
	s_or_b32 exec_lo, exec_lo, s0
	s_and_saveexec_b32 s0, s5
	s_cbranch_execnz .LBB87_75
.LBB87_53:
	s_or_b32 exec_lo, exec_lo, s0
	s_and_saveexec_b32 s0, s6
	s_cbranch_execnz .LBB87_76
.LBB87_54:
	s_or_b32 exec_lo, exec_lo, s0
	s_and_saveexec_b32 s0, s7
	s_cbranch_execnz .LBB87_77
.LBB87_55:
	s_or_b32 exec_lo, exec_lo, s0
	s_and_saveexec_b32 s0, s8
	s_cbranch_execnz .LBB87_78
.LBB87_56:
	s_or_b32 exec_lo, exec_lo, s0
	s_and_saveexec_b32 s0, s9
	s_cbranch_execnz .LBB87_79
.LBB87_57:
	s_or_b32 exec_lo, exec_lo, s0
	s_and_saveexec_b32 s0, s10
	s_cbranch_execnz .LBB87_80
.LBB87_58:
	s_or_b32 exec_lo, exec_lo, s0
	s_and_saveexec_b32 s0, s11
	s_cbranch_execnz .LBB87_81
.LBB87_59:
	s_or_b32 exec_lo, exec_lo, s0
	s_and_saveexec_b32 s0, s12
	s_cbranch_execnz .LBB87_82
.LBB87_60:
	s_or_b32 exec_lo, exec_lo, s0
	s_and_saveexec_b32 s0, s13
	s_cbranch_execnz .LBB87_83
.LBB87_61:
	s_or_b32 exec_lo, exec_lo, s0
	s_and_saveexec_b32 s0, s14
	s_cbranch_execnz .LBB87_84
.LBB87_62:
	s_or_b32 exec_lo, exec_lo, s0
	s_and_saveexec_b32 s0, s15
	s_cbranch_execnz .LBB87_85
.LBB87_63:
	s_or_b32 exec_lo, exec_lo, s0
	s_and_saveexec_b32 s0, s18
	s_cbranch_execnz .LBB87_86
.LBB87_64:
	s_or_b32 exec_lo, exec_lo, s0
	s_and_saveexec_b32 s0, s22
	s_cbranch_execnz .LBB87_87
.LBB87_65:
	s_or_b32 exec_lo, exec_lo, s0
	s_and_saveexec_b32 s0, s21
	s_cbranch_execnz .LBB87_88
.LBB87_66:
	s_or_b32 exec_lo, exec_lo, s0
	s_and_saveexec_b32 s0, s20
	s_cbranch_execnz .LBB87_89
.LBB87_67:
	s_or_b32 exec_lo, exec_lo, s0
	s_and_saveexec_b32 s0, s19
	s_cbranch_execnz .LBB87_90
.LBB87_68:
	s_or_b32 exec_lo, exec_lo, s0
	s_and_saveexec_b32 s0, s17
	s_cbranch_execnz .LBB87_91
.LBB87_69:
	s_or_b32 exec_lo, exec_lo, s0
	s_and_saveexec_b32 s0, s16
	s_cbranch_execnz .LBB87_92
.LBB87_70:
	s_nop 0
	s_sendmsg sendmsg(MSG_DEALLOC_VGPRS)
	s_endpgm
.LBB87_71:
	ds_load_i16 v11, v11
	s_waitcnt lgkmcnt(0)
	v_cvt_f32_i32_e32 v11, v11
	global_store_b32 v[0:1], v11, off
	s_or_b32 exec_lo, exec_lo, s0
	s_and_saveexec_b32 s0, s2
	s_cbranch_execz .LBB87_50
.LBB87_72:
	s_waitcnt lgkmcnt(6)
	v_bfe_i32 v11, v23, 0, 16
	s_delay_alu instid0(VALU_DEP_1)
	v_cvt_f32_i32_e32 v11, v11
	global_store_b32 v[0:1], v11, off offset:256
	s_or_b32 exec_lo, exec_lo, s0
	s_and_saveexec_b32 s0, s3
	s_cbranch_execz .LBB87_51
.LBB87_73:
	s_waitcnt lgkmcnt(20)
	v_bfe_i32 v11, v22, 0, 16
	s_delay_alu instid0(VALU_DEP_1)
	v_cvt_f32_i32_e32 v11, v11
	global_store_b32 v[0:1], v11, off offset:512
	s_or_b32 exec_lo, exec_lo, s0
	s_and_saveexec_b32 s0, s4
	s_cbranch_execz .LBB87_52
.LBB87_74:
	s_waitcnt lgkmcnt(19)
	v_bfe_i32 v11, v21, 0, 16
	s_delay_alu instid0(VALU_DEP_1)
	v_cvt_f32_i32_e32 v11, v11
	global_store_b32 v[0:1], v11, off offset:768
	s_or_b32 exec_lo, exec_lo, s0
	s_and_saveexec_b32 s0, s5
	s_cbranch_execz .LBB87_53
.LBB87_75:
	s_waitcnt lgkmcnt(18)
	v_bfe_i32 v11, v20, 0, 16
	s_delay_alu instid0(VALU_DEP_1)
	v_cvt_f32_i32_e32 v11, v11
	global_store_b32 v[0:1], v11, off offset:1024
	s_or_b32 exec_lo, exec_lo, s0
	s_and_saveexec_b32 s0, s6
	s_cbranch_execz .LBB87_54
.LBB87_76:
	s_waitcnt lgkmcnt(17)
	v_bfe_i32 v11, v19, 0, 16
	s_delay_alu instid0(VALU_DEP_1)
	v_cvt_f32_i32_e32 v11, v11
	global_store_b32 v[0:1], v11, off offset:1280
	s_or_b32 exec_lo, exec_lo, s0
	s_and_saveexec_b32 s0, s7
	s_cbranch_execz .LBB87_55
.LBB87_77:
	s_waitcnt lgkmcnt(16)
	v_bfe_i32 v11, v18, 0, 16
	s_delay_alu instid0(VALU_DEP_1)
	v_cvt_f32_i32_e32 v11, v11
	global_store_b32 v[0:1], v11, off offset:1536
	s_or_b32 exec_lo, exec_lo, s0
	s_and_saveexec_b32 s0, s8
	s_cbranch_execz .LBB87_56
.LBB87_78:
	s_waitcnt lgkmcnt(15)
	v_bfe_i32 v11, v17, 0, 16
	s_delay_alu instid0(VALU_DEP_1)
	v_cvt_f32_i32_e32 v11, v11
	global_store_b32 v[0:1], v11, off offset:1792
	s_or_b32 exec_lo, exec_lo, s0
	s_and_saveexec_b32 s0, s9
	s_cbranch_execz .LBB87_57
.LBB87_79:
	s_waitcnt lgkmcnt(14)
	v_bfe_i32 v11, v16, 0, 16
	s_delay_alu instid0(VALU_DEP_1)
	v_cvt_f32_i32_e32 v11, v11
	global_store_b32 v[0:1], v11, off offset:2048
	s_or_b32 exec_lo, exec_lo, s0
	s_and_saveexec_b32 s0, s10
	s_cbranch_execz .LBB87_58
.LBB87_80:
	s_waitcnt lgkmcnt(13)
	v_bfe_i32 v11, v15, 0, 16
	s_delay_alu instid0(VALU_DEP_1)
	v_cvt_f32_i32_e32 v11, v11
	global_store_b32 v[0:1], v11, off offset:2304
	s_or_b32 exec_lo, exec_lo, s0
	s_and_saveexec_b32 s0, s11
	s_cbranch_execz .LBB87_59
.LBB87_81:
	s_waitcnt lgkmcnt(12)
	v_bfe_i32 v11, v14, 0, 16
	s_delay_alu instid0(VALU_DEP_1)
	v_cvt_f32_i32_e32 v11, v11
	global_store_b32 v[0:1], v11, off offset:2560
	s_or_b32 exec_lo, exec_lo, s0
	s_and_saveexec_b32 s0, s12
	s_cbranch_execz .LBB87_60
.LBB87_82:
	s_waitcnt lgkmcnt(11)
	v_bfe_i32 v11, v13, 0, 16
	s_delay_alu instid0(VALU_DEP_1)
	v_cvt_f32_i32_e32 v11, v11
	global_store_b32 v[0:1], v11, off offset:2816
	s_or_b32 exec_lo, exec_lo, s0
	s_and_saveexec_b32 s0, s13
	s_cbranch_execz .LBB87_61
.LBB87_83:
	s_waitcnt lgkmcnt(10)
	v_bfe_i32 v11, v12, 0, 16
	s_delay_alu instid0(VALU_DEP_1)
	v_cvt_f32_i32_e32 v11, v11
	global_store_b32 v[0:1], v11, off offset:3072
	s_or_b32 exec_lo, exec_lo, s0
	s_and_saveexec_b32 s0, s14
	s_cbranch_execz .LBB87_62
.LBB87_84:
	s_waitcnt lgkmcnt(9)
	v_bfe_i32 v10, v10, 0, 16
	s_delay_alu instid0(VALU_DEP_1)
	v_cvt_f32_i32_e32 v10, v10
	global_store_b32 v[0:1], v10, off offset:3328
	s_or_b32 exec_lo, exec_lo, s0
	s_and_saveexec_b32 s0, s15
	s_cbranch_execz .LBB87_63
.LBB87_85:
	s_waitcnt lgkmcnt(8)
	v_bfe_i32 v9, v9, 0, 16
	s_delay_alu instid0(VALU_DEP_1)
	v_cvt_f32_i32_e32 v9, v9
	global_store_b32 v[0:1], v9, off offset:3584
	s_or_b32 exec_lo, exec_lo, s0
	s_and_saveexec_b32 s0, s18
	s_cbranch_execz .LBB87_64
.LBB87_86:
	s_waitcnt lgkmcnt(7)
	v_bfe_i32 v8, v8, 0, 16
	s_delay_alu instid0(VALU_DEP_1)
	v_cvt_f32_i32_e32 v8, v8
	global_store_b32 v[0:1], v8, off offset:3840
	s_or_b32 exec_lo, exec_lo, s0
	s_and_saveexec_b32 s0, s22
	s_cbranch_execz .LBB87_65
.LBB87_87:
	s_waitcnt lgkmcnt(5)
	v_bfe_i32 v7, v7, 0, 16
	s_delay_alu instid0(VALU_DEP_1)
	v_cvt_f32_i32_e32 v9, v7
	v_add_co_u32 v7, vcc_lo, 0x1000, v0
	v_add_co_ci_u32_e32 v8, vcc_lo, 0, v1, vcc_lo
	global_store_b32 v[7:8], v9, off
	s_or_b32 exec_lo, exec_lo, s0
	s_and_saveexec_b32 s0, s21
	s_cbranch_execz .LBB87_66
.LBB87_88:
	s_waitcnt lgkmcnt(4)
	v_bfe_i32 v6, v6, 0, 16
	s_delay_alu instid0(VALU_DEP_1)
	v_cvt_f32_i32_e32 v8, v6
	v_add_co_u32 v6, vcc_lo, 0x1000, v0
	v_add_co_ci_u32_e32 v7, vcc_lo, 0, v1, vcc_lo
	global_store_b32 v[6:7], v8, off offset:256
	s_or_b32 exec_lo, exec_lo, s0
	s_and_saveexec_b32 s0, s20
	s_cbranch_execz .LBB87_67
.LBB87_89:
	s_waitcnt lgkmcnt(3)
	v_bfe_i32 v5, v5, 0, 16
	s_delay_alu instid0(VALU_DEP_1)
	v_cvt_f32_i32_e32 v7, v5
	v_add_co_u32 v5, vcc_lo, 0x1000, v0
	v_add_co_ci_u32_e32 v6, vcc_lo, 0, v1, vcc_lo
	global_store_b32 v[5:6], v7, off offset:512
	s_or_b32 exec_lo, exec_lo, s0
	s_and_saveexec_b32 s0, s19
	s_cbranch_execz .LBB87_68
.LBB87_90:
	s_waitcnt lgkmcnt(2)
	v_bfe_i32 v4, v4, 0, 16
	s_delay_alu instid0(VALU_DEP_1)
	v_cvt_f32_i32_e32 v6, v4
	v_add_co_u32 v4, vcc_lo, 0x1000, v0
	v_add_co_ci_u32_e32 v5, vcc_lo, 0, v1, vcc_lo
	global_store_b32 v[4:5], v6, off offset:768
	s_or_b32 exec_lo, exec_lo, s0
	s_and_saveexec_b32 s0, s17
	s_cbranch_execz .LBB87_69
.LBB87_91:
	s_waitcnt lgkmcnt(1)
	v_bfe_i32 v3, v3, 0, 16
	s_delay_alu instid0(VALU_DEP_1)
	v_cvt_f32_i32_e32 v5, v3
	v_add_co_u32 v3, vcc_lo, 0x1000, v0
	v_add_co_ci_u32_e32 v4, vcc_lo, 0, v1, vcc_lo
	global_store_b32 v[3:4], v5, off offset:1024
	s_or_b32 exec_lo, exec_lo, s0
	s_and_saveexec_b32 s0, s16
	s_cbranch_execz .LBB87_70
.LBB87_92:
	s_waitcnt lgkmcnt(0)
	v_bfe_i32 v2, v2, 0, 16
	v_add_co_u32 v0, vcc_lo, 0x1000, v0
	v_add_co_ci_u32_e32 v1, vcc_lo, 0, v1, vcc_lo
	s_delay_alu instid0(VALU_DEP_3)
	v_cvt_f32_i32_e32 v2, v2
	global_store_b32 v[0:1], v2, off offset:1280
	s_nop 0
	s_sendmsg sendmsg(MSG_DEALLOC_VGPRS)
	s_endpgm
	.section	.rodata,"a",@progbits
	.p2align	6, 0x0
	.amdhsa_kernel _ZN7rocprim6detail18single_scan_kernelILb1ENS0_19wrapped_scan_configINS_14default_configEsEEN6hipcub22TransformInputIteratorIsNS5_6CastOpIsEEPslEEPfNS5_3MaxEssEEvT1_mT4_T2_T3_
		.amdhsa_group_segment_fixed_size 2816
		.amdhsa_private_segment_fixed_size 0
		.amdhsa_kernarg_size 44
		.amdhsa_user_sgpr_count 15
		.amdhsa_user_sgpr_dispatch_ptr 0
		.amdhsa_user_sgpr_queue_ptr 0
		.amdhsa_user_sgpr_kernarg_segment_ptr 1
		.amdhsa_user_sgpr_dispatch_id 0
		.amdhsa_user_sgpr_private_segment_size 0
		.amdhsa_wavefront_size32 1
		.amdhsa_uses_dynamic_stack 0
		.amdhsa_enable_private_segment 0
		.amdhsa_system_sgpr_workgroup_id_x 1
		.amdhsa_system_sgpr_workgroup_id_y 0
		.amdhsa_system_sgpr_workgroup_id_z 0
		.amdhsa_system_sgpr_workgroup_info 0
		.amdhsa_system_vgpr_workitem_id 0
		.amdhsa_next_free_vgpr 33
		.amdhsa_next_free_sgpr 26
		.amdhsa_reserve_vcc 1
		.amdhsa_float_round_mode_32 0
		.amdhsa_float_round_mode_16_64 0
		.amdhsa_float_denorm_mode_32 3
		.amdhsa_float_denorm_mode_16_64 3
		.amdhsa_dx10_clamp 1
		.amdhsa_ieee_mode 1
		.amdhsa_fp16_overflow 0
		.amdhsa_workgroup_processor_mode 1
		.amdhsa_memory_ordered 1
		.amdhsa_forward_progress 0
		.amdhsa_shared_vgpr_count 0
		.amdhsa_exception_fp_ieee_invalid_op 0
		.amdhsa_exception_fp_denorm_src 0
		.amdhsa_exception_fp_ieee_div_zero 0
		.amdhsa_exception_fp_ieee_overflow 0
		.amdhsa_exception_fp_ieee_underflow 0
		.amdhsa_exception_fp_ieee_inexact 0
		.amdhsa_exception_int_div_zero 0
	.end_amdhsa_kernel
	.section	.text._ZN7rocprim6detail18single_scan_kernelILb1ENS0_19wrapped_scan_configINS_14default_configEsEEN6hipcub22TransformInputIteratorIsNS5_6CastOpIsEEPslEEPfNS5_3MaxEssEEvT1_mT4_T2_T3_,"axG",@progbits,_ZN7rocprim6detail18single_scan_kernelILb1ENS0_19wrapped_scan_configINS_14default_configEsEEN6hipcub22TransformInputIteratorIsNS5_6CastOpIsEEPslEEPfNS5_3MaxEssEEvT1_mT4_T2_T3_,comdat
.Lfunc_end87:
	.size	_ZN7rocprim6detail18single_scan_kernelILb1ENS0_19wrapped_scan_configINS_14default_configEsEEN6hipcub22TransformInputIteratorIsNS5_6CastOpIsEEPslEEPfNS5_3MaxEssEEvT1_mT4_T2_T3_, .Lfunc_end87-_ZN7rocprim6detail18single_scan_kernelILb1ENS0_19wrapped_scan_configINS_14default_configEsEEN6hipcub22TransformInputIteratorIsNS5_6CastOpIsEEPslEEPfNS5_3MaxEssEEvT1_mT4_T2_T3_
                                        ; -- End function
	.section	.AMDGPU.csdata,"",@progbits
; Kernel info:
; codeLenInByte = 3868
; NumSgprs: 28
; NumVgprs: 33
; ScratchSize: 0
; MemoryBound: 0
; FloatMode: 240
; IeeeMode: 1
; LDSByteSize: 2816 bytes/workgroup (compile time only)
; SGPRBlocks: 3
; VGPRBlocks: 4
; NumSGPRsForWavesPerEU: 28
; NumVGPRsForWavesPerEU: 33
; Occupancy: 16
; WaveLimiterHint : 0
; COMPUTE_PGM_RSRC2:SCRATCH_EN: 0
; COMPUTE_PGM_RSRC2:USER_SGPR: 15
; COMPUTE_PGM_RSRC2:TRAP_HANDLER: 0
; COMPUTE_PGM_RSRC2:TGID_X_EN: 1
; COMPUTE_PGM_RSRC2:TGID_Y_EN: 0
; COMPUTE_PGM_RSRC2:TGID_Z_EN: 0
; COMPUTE_PGM_RSRC2:TIDIG_COMP_CNT: 0
	.section	.text._ZN7rocprim6detail20lookback_scan_kernelILNS0_25lookback_scan_determinismE0ELb1ENS0_19wrapped_scan_configINS_14default_configEmEEPmS6_N6hipcub3SumEmmNS0_19lookback_scan_stateImLb1ELb1EEEEEvT2_T3_mT5_T4_T7_jPT6_SH_bb,"axG",@progbits,_ZN7rocprim6detail20lookback_scan_kernelILNS0_25lookback_scan_determinismE0ELb1ENS0_19wrapped_scan_configINS_14default_configEmEEPmS6_N6hipcub3SumEmmNS0_19lookback_scan_stateImLb1ELb1EEEEEvT2_T3_mT5_T4_T7_jPT6_SH_bb,comdat
	.protected	_ZN7rocprim6detail20lookback_scan_kernelILNS0_25lookback_scan_determinismE0ELb1ENS0_19wrapped_scan_configINS_14default_configEmEEPmS6_N6hipcub3SumEmmNS0_19lookback_scan_stateImLb1ELb1EEEEEvT2_T3_mT5_T4_T7_jPT6_SH_bb ; -- Begin function _ZN7rocprim6detail20lookback_scan_kernelILNS0_25lookback_scan_determinismE0ELb1ENS0_19wrapped_scan_configINS_14default_configEmEEPmS6_N6hipcub3SumEmmNS0_19lookback_scan_stateImLb1ELb1EEEEEvT2_T3_mT5_T4_T7_jPT6_SH_bb
	.globl	_ZN7rocprim6detail20lookback_scan_kernelILNS0_25lookback_scan_determinismE0ELb1ENS0_19wrapped_scan_configINS_14default_configEmEEPmS6_N6hipcub3SumEmmNS0_19lookback_scan_stateImLb1ELb1EEEEEvT2_T3_mT5_T4_T7_jPT6_SH_bb
	.p2align	8
	.type	_ZN7rocprim6detail20lookback_scan_kernelILNS0_25lookback_scan_determinismE0ELb1ENS0_19wrapped_scan_configINS_14default_configEmEEPmS6_N6hipcub3SumEmmNS0_19lookback_scan_stateImLb1ELb1EEEEEvT2_T3_mT5_T4_T7_jPT6_SH_bb,@function
_ZN7rocprim6detail20lookback_scan_kernelILNS0_25lookback_scan_determinismE0ELb1ENS0_19wrapped_scan_configINS_14default_configEmEEPmS6_N6hipcub3SumEmmNS0_19lookback_scan_stateImLb1ELb1EEEEEvT2_T3_mT5_T4_T7_jPT6_SH_bb: ; @_ZN7rocprim6detail20lookback_scan_kernelILNS0_25lookback_scan_determinismE0ELb1ENS0_19wrapped_scan_configINS_14default_configEmEEPmS6_N6hipcub3SumEmmNS0_19lookback_scan_stateImLb1ELb1EEEEEvT2_T3_mT5_T4_T7_jPT6_SH_bb
; %bb.0:
	s_endpgm
	.section	.rodata,"a",@progbits
	.p2align	6, 0x0
	.amdhsa_kernel _ZN7rocprim6detail20lookback_scan_kernelILNS0_25lookback_scan_determinismE0ELb1ENS0_19wrapped_scan_configINS_14default_configEmEEPmS6_N6hipcub3SumEmmNS0_19lookback_scan_stateImLb1ELb1EEEEEvT2_T3_mT5_T4_T7_jPT6_SH_bb
		.amdhsa_group_segment_fixed_size 0
		.amdhsa_private_segment_fixed_size 0
		.amdhsa_kernarg_size 76
		.amdhsa_user_sgpr_count 15
		.amdhsa_user_sgpr_dispatch_ptr 0
		.amdhsa_user_sgpr_queue_ptr 0
		.amdhsa_user_sgpr_kernarg_segment_ptr 1
		.amdhsa_user_sgpr_dispatch_id 0
		.amdhsa_user_sgpr_private_segment_size 0
		.amdhsa_wavefront_size32 1
		.amdhsa_uses_dynamic_stack 0
		.amdhsa_enable_private_segment 0
		.amdhsa_system_sgpr_workgroup_id_x 1
		.amdhsa_system_sgpr_workgroup_id_y 0
		.amdhsa_system_sgpr_workgroup_id_z 0
		.amdhsa_system_sgpr_workgroup_info 0
		.amdhsa_system_vgpr_workitem_id 0
		.amdhsa_next_free_vgpr 1
		.amdhsa_next_free_sgpr 1
		.amdhsa_reserve_vcc 0
		.amdhsa_float_round_mode_32 0
		.amdhsa_float_round_mode_16_64 0
		.amdhsa_float_denorm_mode_32 3
		.amdhsa_float_denorm_mode_16_64 3
		.amdhsa_dx10_clamp 1
		.amdhsa_ieee_mode 1
		.amdhsa_fp16_overflow 0
		.amdhsa_workgroup_processor_mode 1
		.amdhsa_memory_ordered 1
		.amdhsa_forward_progress 0
		.amdhsa_shared_vgpr_count 0
		.amdhsa_exception_fp_ieee_invalid_op 0
		.amdhsa_exception_fp_denorm_src 0
		.amdhsa_exception_fp_ieee_div_zero 0
		.amdhsa_exception_fp_ieee_overflow 0
		.amdhsa_exception_fp_ieee_underflow 0
		.amdhsa_exception_fp_ieee_inexact 0
		.amdhsa_exception_int_div_zero 0
	.end_amdhsa_kernel
	.section	.text._ZN7rocprim6detail20lookback_scan_kernelILNS0_25lookback_scan_determinismE0ELb1ENS0_19wrapped_scan_configINS_14default_configEmEEPmS6_N6hipcub3SumEmmNS0_19lookback_scan_stateImLb1ELb1EEEEEvT2_T3_mT5_T4_T7_jPT6_SH_bb,"axG",@progbits,_ZN7rocprim6detail20lookback_scan_kernelILNS0_25lookback_scan_determinismE0ELb1ENS0_19wrapped_scan_configINS_14default_configEmEEPmS6_N6hipcub3SumEmmNS0_19lookback_scan_stateImLb1ELb1EEEEEvT2_T3_mT5_T4_T7_jPT6_SH_bb,comdat
.Lfunc_end88:
	.size	_ZN7rocprim6detail20lookback_scan_kernelILNS0_25lookback_scan_determinismE0ELb1ENS0_19wrapped_scan_configINS_14default_configEmEEPmS6_N6hipcub3SumEmmNS0_19lookback_scan_stateImLb1ELb1EEEEEvT2_T3_mT5_T4_T7_jPT6_SH_bb, .Lfunc_end88-_ZN7rocprim6detail20lookback_scan_kernelILNS0_25lookback_scan_determinismE0ELb1ENS0_19wrapped_scan_configINS_14default_configEmEEPmS6_N6hipcub3SumEmmNS0_19lookback_scan_stateImLb1ELb1EEEEEvT2_T3_mT5_T4_T7_jPT6_SH_bb
                                        ; -- End function
	.section	.AMDGPU.csdata,"",@progbits
; Kernel info:
; codeLenInByte = 4
; NumSgprs: 0
; NumVgprs: 0
; ScratchSize: 0
; MemoryBound: 0
; FloatMode: 240
; IeeeMode: 1
; LDSByteSize: 0 bytes/workgroup (compile time only)
; SGPRBlocks: 0
; VGPRBlocks: 0
; NumSGPRsForWavesPerEU: 1
; NumVGPRsForWavesPerEU: 1
; Occupancy: 16
; WaveLimiterHint : 0
; COMPUTE_PGM_RSRC2:SCRATCH_EN: 0
; COMPUTE_PGM_RSRC2:USER_SGPR: 15
; COMPUTE_PGM_RSRC2:TRAP_HANDLER: 0
; COMPUTE_PGM_RSRC2:TGID_X_EN: 1
; COMPUTE_PGM_RSRC2:TGID_Y_EN: 0
; COMPUTE_PGM_RSRC2:TGID_Z_EN: 0
; COMPUTE_PGM_RSRC2:TIDIG_COMP_CNT: 0
	.section	.text._ZN7rocprim6detail20lookback_scan_kernelILNS0_25lookback_scan_determinismE0ELb1ENS0_19wrapped_scan_configINS_14default_configEmEEPmS6_N6hipcub3SumEmmNS0_19lookback_scan_stateImLb0ELb1EEEEEvT2_T3_mT5_T4_T7_jPT6_SH_bb,"axG",@progbits,_ZN7rocprim6detail20lookback_scan_kernelILNS0_25lookback_scan_determinismE0ELb1ENS0_19wrapped_scan_configINS_14default_configEmEEPmS6_N6hipcub3SumEmmNS0_19lookback_scan_stateImLb0ELb1EEEEEvT2_T3_mT5_T4_T7_jPT6_SH_bb,comdat
	.protected	_ZN7rocprim6detail20lookback_scan_kernelILNS0_25lookback_scan_determinismE0ELb1ENS0_19wrapped_scan_configINS_14default_configEmEEPmS6_N6hipcub3SumEmmNS0_19lookback_scan_stateImLb0ELb1EEEEEvT2_T3_mT5_T4_T7_jPT6_SH_bb ; -- Begin function _ZN7rocprim6detail20lookback_scan_kernelILNS0_25lookback_scan_determinismE0ELb1ENS0_19wrapped_scan_configINS_14default_configEmEEPmS6_N6hipcub3SumEmmNS0_19lookback_scan_stateImLb0ELb1EEEEEvT2_T3_mT5_T4_T7_jPT6_SH_bb
	.globl	_ZN7rocprim6detail20lookback_scan_kernelILNS0_25lookback_scan_determinismE0ELb1ENS0_19wrapped_scan_configINS_14default_configEmEEPmS6_N6hipcub3SumEmmNS0_19lookback_scan_stateImLb0ELb1EEEEEvT2_T3_mT5_T4_T7_jPT6_SH_bb
	.p2align	8
	.type	_ZN7rocprim6detail20lookback_scan_kernelILNS0_25lookback_scan_determinismE0ELb1ENS0_19wrapped_scan_configINS_14default_configEmEEPmS6_N6hipcub3SumEmmNS0_19lookback_scan_stateImLb0ELb1EEEEEvT2_T3_mT5_T4_T7_jPT6_SH_bb,@function
_ZN7rocprim6detail20lookback_scan_kernelILNS0_25lookback_scan_determinismE0ELb1ENS0_19wrapped_scan_configINS_14default_configEmEEPmS6_N6hipcub3SumEmmNS0_19lookback_scan_stateImLb0ELb1EEEEEvT2_T3_mT5_T4_T7_jPT6_SH_bb: ; @_ZN7rocprim6detail20lookback_scan_kernelILNS0_25lookback_scan_determinismE0ELb1ENS0_19wrapped_scan_configINS_14default_configEmEEPmS6_N6hipcub3SumEmmNS0_19lookback_scan_stateImLb0ELb1EEEEEvT2_T3_mT5_T4_T7_jPT6_SH_bb
; %bb.0:
	s_clause 0x1
	s_load_b32 s12, s[0:1], 0x30
	s_load_b256 s[4:11], s[0:1], 0x0
	s_lshl_b32 s2, s15, 12
	s_mov_b32 s3, 0
	v_lshlrev_b32_e32 v80, 3, v0
	v_lshrrev_b32_e32 v37, 2, v0
	v_or_b32_e32 v79, 0x100, v0
	v_or_b32_e32 v78, 0x200, v0
	v_or_b32_e32 v77, 0x300, v0
	v_or_b32_e32 v76, 0x400, v0
	v_or_b32_e32 v75, 0x500, v0
	v_or_b32_e32 v74, 0x600, v0
	v_or_b32_e32 v73, 0x700, v0
	v_or_b32_e32 v72, 0x800, v0
	v_or_b32_e32 v71, 0x900, v0
	v_or_b32_e32 v70, 0xa00, v0
	v_or_b32_e32 v69, 0xb00, v0
	v_or_b32_e32 v68, 0xc00, v0
	v_or_b32_e32 v67, 0xd00, v0
	v_or_b32_e32 v66, 0xe00, v0
	s_waitcnt lgkmcnt(0)
	s_add_i32 s12, s12, -1
	v_or_b32_e32 v65, 0xf00, v0
	s_lshl_b32 s13, s12, 12
	s_delay_alu instid0(SALU_CYCLE_1)
	s_sub_u32 s18, s8, s13
	s_subb_u32 s19, s9, 0
	s_cmp_lg_u32 s15, s12
	s_cselect_b32 s20, -1, 0
	s_lshl_b64 s[8:9], s[2:3], 3
	s_mov_b32 s3, -1
	s_add_u32 s12, s4, s8
	s_addc_u32 s13, s5, s9
	s_and_b32 vcc_lo, exec_lo, s20
	s_cbranch_vccz .LBB89_2
; %bb.1:
	v_add_co_u32 v27, s2, s12, v80
	s_delay_alu instid0(VALU_DEP_1)
	v_add_co_ci_u32_e64 v28, null, s13, 0, s2
	s_clause 0x1
	global_load_b64 v[1:2], v80, s[12:13]
	global_load_b64 v[3:4], v80, s[12:13] offset:2048
	v_add_co_u32 v5, vcc_lo, 0x1000, v27
	v_add_co_ci_u32_e32 v6, vcc_lo, 0, v28, vcc_lo
	v_add_co_u32 v7, vcc_lo, v27, 0x2000
	v_add_co_ci_u32_e32 v8, vcc_lo, 0, v28, vcc_lo
	;; [unrolled: 2-line block ×10, first 2 shown]
	s_clause 0xd
	global_load_b64 v[17:18], v[7:8], off offset:-4096
	global_load_b64 v[7:8], v[7:8], off
	global_load_b64 v[19:20], v[13:14], off offset:-4096
	global_load_b64 v[13:14], v[13:14], off
	global_load_b64 v[5:6], v[5:6], off offset:2048
	global_load_b64 v[9:10], v[9:10], off offset:2048
	global_load_b64 v[11:12], v[11:12], off offset:2048
	global_load_b64 v[15:16], v[15:16], off offset:2048
	global_load_b64 v[29:30], v[23:24], off offset:-4096
	global_load_b64 v[21:22], v[21:22], off offset:2048
	global_load_b64 v[23:24], v[23:24], off
	global_load_b64 v[25:26], v[25:26], off offset:2048
	global_load_b64 v[31:32], v[27:28], off
	global_load_b64 v[27:28], v[27:28], off offset:2048
	v_lshrrev_b32_e32 v34, 2, v79
	v_lshrrev_b32_e32 v35, 2, v78
	;; [unrolled: 1-line block ×4, first 2 shown]
	v_and_b32_e32 v33, 56, v37
	v_lshrrev_b32_e32 v39, 2, v75
	v_lshrrev_b32_e32 v40, 2, v74
	;; [unrolled: 1-line block ×11, first 2 shown]
	v_and_b32_e32 v34, 0x78, v34
	v_and_b32_e32 v35, 0xb8, v35
	;; [unrolled: 1-line block ×4, first 2 shown]
	v_add_nc_u32_e32 v33, v33, v80
	v_and_b32_e32 v39, 0x178, v39
	v_and_b32_e32 v40, 0x1b8, v40
	v_and_b32_e32 v41, 0x1f8, v41
	v_and_b32_e32 v42, 0x238, v42
	v_and_b32_e32 v43, 0x278, v43
	v_and_b32_e32 v44, 0x2b8, v44
	v_and_b32_e32 v45, 0x2f8, v45
	v_and_b32_e32 v46, 0x338, v46
	v_and_b32_e32 v47, 0x378, v47
	v_and_b32_e32 v48, 0x3b8, v48
	v_and_b32_e32 v49, 0x3f8, v49
	v_add_nc_u32_e32 v34, v34, v80
	v_add_nc_u32_e32 v35, v35, v80
	;; [unrolled: 1-line block ×4, first 2 shown]
	s_mov_b32 s3, 0
	v_add_nc_u32_e32 v39, v39, v80
	v_add_nc_u32_e32 v40, v40, v80
	;; [unrolled: 1-line block ×11, first 2 shown]
	s_waitcnt vmcnt(15)
	ds_store_b64 v33, v[1:2]
	s_waitcnt vmcnt(14)
	ds_store_b64 v34, v[3:4] offset:2048
	s_waitcnt vmcnt(13)
	ds_store_b64 v35, v[17:18] offset:4096
	;; [unrolled: 2-line block ×3, first 2 shown]
	ds_store_b64 v38, v[7:8] offset:8192
	s_waitcnt vmcnt(8)
	ds_store_b64 v39, v[9:10] offset:10240
	ds_store_b64 v40, v[19:20] offset:12288
	s_waitcnt vmcnt(7)
	ds_store_b64 v41, v[11:12] offset:14336
	ds_store_b64 v42, v[13:14] offset:16384
	s_waitcnt vmcnt(6)
	ds_store_b64 v43, v[15:16] offset:18432
	s_waitcnt vmcnt(5)
	ds_store_b64 v44, v[29:30] offset:20480
	s_waitcnt vmcnt(4)
	ds_store_b64 v45, v[21:22] offset:22528
	;; [unrolled: 2-line block ×6, first 2 shown]
	s_waitcnt lgkmcnt(0)
	s_barrier
.LBB89_2:
	v_cmp_gt_u32_e64 s2, s18, v0
	s_and_not1_b32 vcc_lo, exec_lo, s3
	s_cbranch_vccnz .LBB89_21
; %bb.3:
	s_load_b64 s[36:37], s[12:13], 0x0
	v_add_co_u32 v35, s3, s12, v80
	s_delay_alu instid0(VALU_DEP_1)
	v_add_co_ci_u32_e64 v36, null, s13, 0, s3
	s_waitcnt lgkmcnt(0)
	s_mov_b32 s38, s36
	s_mov_b32 s39, s37
	;; [unrolled: 1-line block ×30, first 2 shown]
	v_dual_mov_b32 v1, s36 :: v_dual_mov_b32 v2, s37
	v_dual_mov_b32 v3, s38 :: v_dual_mov_b32 v4, s39
	;; [unrolled: 1-line block ×17, first 2 shown]
	s_and_saveexec_b32 s3, s2
	s_cbranch_execnz .LBB89_168
; %bb.4:
	s_or_b32 exec_lo, exec_lo, s3
	s_delay_alu instid0(SALU_CYCLE_1)
	s_mov_b32 s2, exec_lo
	v_cmpx_gt_u32_e64 s18, v79
	s_cbranch_execnz .LBB89_169
.LBB89_5:
	s_or_b32 exec_lo, exec_lo, s2
	s_delay_alu instid0(SALU_CYCLE_1)
	s_mov_b32 s2, exec_lo
	v_cmpx_gt_u32_e64 s18, v78
	s_cbranch_execnz .LBB89_170
.LBB89_6:
	s_or_b32 exec_lo, exec_lo, s2
	s_delay_alu instid0(SALU_CYCLE_1)
	s_mov_b32 s2, exec_lo
	v_cmpx_gt_u32_e64 s18, v77
	s_cbranch_execnz .LBB89_171
.LBB89_7:
	s_or_b32 exec_lo, exec_lo, s2
	s_delay_alu instid0(SALU_CYCLE_1)
	s_mov_b32 s2, exec_lo
	v_cmpx_gt_u32_e64 s18, v76
	s_cbranch_execnz .LBB89_172
.LBB89_8:
	s_or_b32 exec_lo, exec_lo, s2
	s_delay_alu instid0(SALU_CYCLE_1)
	s_mov_b32 s2, exec_lo
	v_cmpx_gt_u32_e64 s18, v75
	s_cbranch_execnz .LBB89_173
.LBB89_9:
	s_or_b32 exec_lo, exec_lo, s2
	s_delay_alu instid0(SALU_CYCLE_1)
	s_mov_b32 s2, exec_lo
	v_cmpx_gt_u32_e64 s18, v74
	s_cbranch_execnz .LBB89_174
.LBB89_10:
	s_or_b32 exec_lo, exec_lo, s2
	s_delay_alu instid0(SALU_CYCLE_1)
	s_mov_b32 s2, exec_lo
	v_cmpx_gt_u32_e64 s18, v73
	s_cbranch_execnz .LBB89_175
.LBB89_11:
	s_or_b32 exec_lo, exec_lo, s2
	s_delay_alu instid0(SALU_CYCLE_1)
	s_mov_b32 s2, exec_lo
	v_cmpx_gt_u32_e64 s18, v72
	s_cbranch_execnz .LBB89_176
.LBB89_12:
	s_or_b32 exec_lo, exec_lo, s2
	s_delay_alu instid0(SALU_CYCLE_1)
	s_mov_b32 s2, exec_lo
	v_cmpx_gt_u32_e64 s18, v71
	s_cbranch_execnz .LBB89_177
.LBB89_13:
	s_or_b32 exec_lo, exec_lo, s2
	s_delay_alu instid0(SALU_CYCLE_1)
	s_mov_b32 s2, exec_lo
	v_cmpx_gt_u32_e64 s18, v70
	s_cbranch_execnz .LBB89_178
.LBB89_14:
	s_or_b32 exec_lo, exec_lo, s2
	s_delay_alu instid0(SALU_CYCLE_1)
	s_mov_b32 s2, exec_lo
	v_cmpx_gt_u32_e64 s18, v69
	s_cbranch_execnz .LBB89_179
.LBB89_15:
	s_or_b32 exec_lo, exec_lo, s2
	s_delay_alu instid0(SALU_CYCLE_1)
	s_mov_b32 s2, exec_lo
	v_cmpx_gt_u32_e64 s18, v68
	s_cbranch_execnz .LBB89_180
.LBB89_16:
	s_or_b32 exec_lo, exec_lo, s2
	s_delay_alu instid0(SALU_CYCLE_1)
	s_mov_b32 s2, exec_lo
	v_cmpx_gt_u32_e64 s18, v67
	s_cbranch_execnz .LBB89_181
.LBB89_17:
	s_or_b32 exec_lo, exec_lo, s2
	s_delay_alu instid0(SALU_CYCLE_1)
	s_mov_b32 s2, exec_lo
	v_cmpx_gt_u32_e64 s18, v66
	s_cbranch_execnz .LBB89_182
.LBB89_18:
	s_or_b32 exec_lo, exec_lo, s2
	s_delay_alu instid0(SALU_CYCLE_1)
	s_mov_b32 s2, exec_lo
	v_cmpx_gt_u32_e64 s18, v65
	s_cbranch_execz .LBB89_20
.LBB89_19:
	v_add_co_u32 v1, vcc_lo, 0x7000, v35
	v_add_co_ci_u32_e32 v2, vcc_lo, 0, v36, vcc_lo
	global_load_b64 v[31:32], v[1:2], off offset:2048
.LBB89_20:
	s_or_b32 exec_lo, exec_lo, s2
	v_lshrrev_b32_e32 v1, 2, v79
	v_lshrrev_b32_e32 v2, 2, v78
	;; [unrolled: 1-line block ×3, first 2 shown]
	v_and_b32_e32 v36, 56, v37
	v_lshrrev_b32_e32 v37, 2, v76
	v_and_b32_e32 v1, 0x78, v1
	v_and_b32_e32 v2, 0xf8, v2
	v_and_b32_e32 v35, 0xf8, v35
	v_lshrrev_b32_e32 v38, 2, v75
	v_add_nc_u32_e32 v36, v36, v80
	v_add_nc_u32_e32 v1, v1, v80
	v_lshrrev_b32_e32 v39, 2, v74
	v_add_nc_u32_e32 v2, v2, v80
	v_lshrrev_b32_e32 v40, 2, v73
	v_add_nc_u32_e32 v35, v35, v80
	v_and_b32_e32 v37, 0x1f8, v37
	v_and_b32_e32 v38, 0x1f8, v38
	s_waitcnt vmcnt(0)
	ds_store_b64 v36, v[33:34]
	ds_store_b64 v1, v[3:4] offset:2048
	ds_store_b64 v2, v[5:6] offset:4096
	ds_store_b64 v35, v[7:8] offset:6144
	v_lshrrev_b32_e32 v5, 2, v72
	v_and_b32_e32 v3, 0x1f8, v39
	v_lshrrev_b32_e32 v6, 2, v71
	v_lshrrev_b32_e32 v7, 2, v70
	v_and_b32_e32 v4, 0x1f8, v40
	v_add_nc_u32_e32 v1, v37, v80
	v_add_nc_u32_e32 v2, v38, v80
	v_and_b32_e32 v5, 0x3f8, v5
	v_add_nc_u32_e32 v3, v3, v80
	v_and_b32_e32 v6, 0x3f8, v6
	v_and_b32_e32 v7, 0x3f8, v7
	v_add_nc_u32_e32 v4, v4, v80
	ds_store_b64 v1, v[9:10] offset:8192
	ds_store_b64 v2, v[11:12] offset:10240
	;; [unrolled: 1-line block ×4, first 2 shown]
	v_lshrrev_b32_e32 v4, 2, v69
	v_add_nc_u32_e32 v1, v5, v80
	v_lshrrev_b32_e32 v5, 2, v68
	v_add_nc_u32_e32 v2, v6, v80
	v_add_nc_u32_e32 v3, v7, v80
	v_lshrrev_b32_e32 v6, 2, v67
	v_lshrrev_b32_e32 v7, 2, v66
	;; [unrolled: 1-line block ×3, first 2 shown]
	v_and_b32_e32 v4, 0x3f8, v4
	v_and_b32_e32 v5, 0x3f8, v5
	v_and_b32_e32 v6, 0x3f8, v6
	v_and_b32_e32 v7, 0x3f8, v7
	v_and_b32_e32 v8, 0x3f8, v8
	v_add_nc_u32_e32 v4, v4, v80
	v_add_nc_u32_e32 v5, v5, v80
	;; [unrolled: 1-line block ×5, first 2 shown]
	ds_store_b64 v1, v[17:18] offset:16384
	ds_store_b64 v2, v[19:20] offset:18432
	;; [unrolled: 1-line block ×8, first 2 shown]
	s_waitcnt lgkmcnt(0)
	s_barrier
.LBB89_21:
	v_lshlrev_b32_e32 v1, 4, v0
	v_lshrrev_b32_e32 v82, 1, v0
	buffer_gl0_inv
	s_load_b64 s[16:17], s[0:1], 0x28
	v_lshrrev_b32_e32 v81, 5, v0
	v_cmp_gt_u32_e32 vcc_lo, 32, v0
	v_add_lshl_u32 v1, v82, v1, 3
	s_cmp_lg_u32 s15, 0
	ds_load_2addr_b64 v[61:64], v1 offset1:1
	ds_load_2addr_b64 v[57:60], v1 offset0:2 offset1:3
	ds_load_2addr_b64 v[53:56], v1 offset0:4 offset1:5
	;; [unrolled: 1-line block ×7, first 2 shown]
	s_waitcnt lgkmcnt(0)
	s_barrier
	buffer_gl0_inv
	s_cbranch_scc0 .LBB89_74
; %bb.22:
	v_add_co_u32 v1, s2, v63, v61
	s_delay_alu instid0(VALU_DEP_1) | instskip(SKIP_1) | instid1(VALU_DEP_3)
	v_add_co_ci_u32_e64 v2, s2, v64, v62, s2
	v_add_lshl_u32 v3, v81, v0, 3
	v_add_co_u32 v1, s2, v1, v57
	s_delay_alu instid0(VALU_DEP_1) | instskip(NEXT) | instid1(VALU_DEP_2)
	v_add_co_ci_u32_e64 v2, s2, v2, v58, s2
	v_add_co_u32 v1, s2, v1, v59
	s_delay_alu instid0(VALU_DEP_1) | instskip(NEXT) | instid1(VALU_DEP_2)
	v_add_co_ci_u32_e64 v2, s2, v2, v60, s2
	;; [unrolled: 3-line block ×13, first 2 shown]
	v_add_co_u32 v17, s2, v1, v35
	s_delay_alu instid0(VALU_DEP_1)
	v_add_co_ci_u32_e64 v18, s2, v2, v36, s2
	ds_store_b64 v3, v[17:18]
	s_waitcnt lgkmcnt(0)
	s_barrier
	buffer_gl0_inv
	s_and_saveexec_b32 s3, vcc_lo
	s_cbranch_execz .LBB89_32
; %bb.23:
	v_lshlrev_b32_e32 v1, 1, v0
	v_mbcnt_lo_u32_b32 v24, -1, 0
	s_mov_b32 s12, exec_lo
	s_delay_alu instid0(VALU_DEP_2) | instskip(NEXT) | instid1(VALU_DEP_2)
	v_and_b32_e32 v1, 0x1f8, v1
	v_and_b32_e32 v25, 15, v24
	s_delay_alu instid0(VALU_DEP_2)
	v_lshl_or_b32 v23, v0, 6, v1
	ds_load_2addr_b64 v[1:4], v23 offset1:1
	ds_load_2addr_b64 v[5:8], v23 offset0:2 offset1:3
	ds_load_2addr_b64 v[9:12], v23 offset0:4 offset1:5
	;; [unrolled: 1-line block ×3, first 2 shown]
	s_waitcnt lgkmcnt(3)
	v_add_co_u32 v19, s2, v3, v1
	s_delay_alu instid0(VALU_DEP_1) | instskip(SKIP_1) | instid1(VALU_DEP_2)
	v_add_co_ci_u32_e64 v20, s2, v4, v2, s2
	s_waitcnt lgkmcnt(2)
	v_add_co_u32 v19, s2, v19, v5
	s_delay_alu instid0(VALU_DEP_1) | instskip(NEXT) | instid1(VALU_DEP_2)
	v_add_co_ci_u32_e64 v20, s2, v20, v6, s2
	v_add_co_u32 v19, s2, v19, v7
	s_delay_alu instid0(VALU_DEP_1) | instskip(SKIP_1) | instid1(VALU_DEP_2)
	v_add_co_ci_u32_e64 v20, s2, v20, v8, s2
	s_waitcnt lgkmcnt(1)
	v_add_co_u32 v19, s2, v19, v9
	s_delay_alu instid0(VALU_DEP_1) | instskip(NEXT) | instid1(VALU_DEP_2)
	v_add_co_ci_u32_e64 v20, s2, v20, v10, s2
	;; [unrolled: 7-line block ×3, first 2 shown]
	v_add_co_u32 v19, s2, v19, v15
	s_delay_alu instid0(VALU_DEP_1) | instskip(NEXT) | instid1(VALU_DEP_2)
	v_add_co_ci_u32_e64 v20, s2, v20, v16, s2
	v_mov_b32_dpp v27, v19 row_shr:1 row_mask:0xf bank_mask:0xf
	s_delay_alu instid0(VALU_DEP_2)
	v_mov_b32_e32 v22, v20
	v_mov_b32_dpp v26, v20 row_shr:1 row_mask:0xf bank_mask:0xf
	v_mov_b32_e32 v21, v19
	v_cmpx_ne_u32_e32 0, v25
; %bb.24:
	v_add_co_u32 v19, s2, v19, v27
	s_delay_alu instid0(VALU_DEP_1) | instskip(NEXT) | instid1(VALU_DEP_2)
	v_add_co_ci_u32_e64 v20, s2, 0, v20, s2
	v_add_co_u32 v21, s2, 0, v19
	s_delay_alu instid0(VALU_DEP_1) | instskip(NEXT) | instid1(VALU_DEP_1)
	v_add_co_ci_u32_e64 v22, s2, v26, v20, s2
	v_mov_b32_e32 v20, v22
; %bb.25:
	s_or_b32 exec_lo, exec_lo, s12
	v_mov_b32_dpp v27, v19 row_shr:2 row_mask:0xf bank_mask:0xf
	s_delay_alu instid0(VALU_DEP_2)
	v_mov_b32_dpp v26, v20 row_shr:2 row_mask:0xf bank_mask:0xf
	s_mov_b32 s12, exec_lo
	v_cmpx_lt_u32_e32 1, v25
; %bb.26:
	s_delay_alu instid0(VALU_DEP_3) | instskip(NEXT) | instid1(VALU_DEP_1)
	v_add_co_u32 v19, s2, v21, v27
	v_add_co_ci_u32_e64 v20, s2, 0, v22, s2
	s_delay_alu instid0(VALU_DEP_2) | instskip(NEXT) | instid1(VALU_DEP_1)
	v_add_co_u32 v21, s2, 0, v19
	v_add_co_ci_u32_e64 v22, s2, v26, v20, s2
	s_delay_alu instid0(VALU_DEP_1)
	v_mov_b32_e32 v20, v22
; %bb.27:
	s_or_b32 exec_lo, exec_lo, s12
	v_mov_b32_dpp v27, v19 row_shr:4 row_mask:0xf bank_mask:0xf
	s_delay_alu instid0(VALU_DEP_2)
	v_mov_b32_dpp v26, v20 row_shr:4 row_mask:0xf bank_mask:0xf
	s_mov_b32 s12, exec_lo
	v_cmpx_lt_u32_e32 3, v25
; %bb.28:
	s_delay_alu instid0(VALU_DEP_3) | instskip(NEXT) | instid1(VALU_DEP_1)
	v_add_co_u32 v19, s2, v21, v27
	v_add_co_ci_u32_e64 v20, s2, 0, v22, s2
	s_delay_alu instid0(VALU_DEP_2) | instskip(NEXT) | instid1(VALU_DEP_1)
	v_add_co_u32 v21, s2, 0, v19
	v_add_co_ci_u32_e64 v22, s2, v26, v20, s2
	s_delay_alu instid0(VALU_DEP_1)
	;; [unrolled: 16-line block ×3, first 2 shown]
	v_mov_b32_e32 v20, v22
; %bb.31:
	s_or_b32 exec_lo, exec_lo, s12
	ds_swizzle_b32 v25, v19 offset:swizzle(BROADCAST,32,15)
	ds_swizzle_b32 v26, v20 offset:swizzle(BROADCAST,32,15)
	v_add_nc_u32_e32 v27, -1, v24
	v_and_b32_e32 v28, 16, v24
	s_delay_alu instid0(VALU_DEP_2) | instskip(NEXT) | instid1(VALU_DEP_1)
	v_cmp_gt_i32_e64 s2, 0, v27
	v_cndmask_b32_e64 v24, v27, v24, s2
	s_delay_alu instid0(VALU_DEP_1) | instskip(SKIP_2) | instid1(VALU_DEP_1)
	v_lshlrev_b32_e32 v24, 2, v24
	s_waitcnt lgkmcnt(1)
	v_add_co_u32 v21, s2, v21, v25
	v_add_co_ci_u32_e64 v22, s2, 0, v22, s2
	v_cmp_eq_u32_e64 s2, 0, v28
	s_delay_alu instid0(VALU_DEP_1) | instskip(SKIP_1) | instid1(VALU_DEP_3)
	v_cndmask_b32_e64 v19, v21, v19, s2
	s_waitcnt lgkmcnt(0)
	v_add_nc_u32_e32 v21, v26, v22
	ds_bpermute_b32 v19, v24, v19
	v_cndmask_b32_e64 v20, v21, v20, s2
	ds_bpermute_b32 v20, v24, v20
	s_waitcnt lgkmcnt(1)
	v_add_co_u32 v1, s2, v1, v19
	s_delay_alu instid0(VALU_DEP_1) | instskip(NEXT) | instid1(VALU_DEP_2)
	v_add_co_ci_u32_e64 v2, s2, 0, v2, s2
	v_add_co_u32 v1, s2, v1, 0
	s_waitcnt lgkmcnt(0)
	s_delay_alu instid0(VALU_DEP_2) | instskip(SKIP_1) | instid1(VALU_DEP_1)
	v_add_co_ci_u32_e64 v2, s2, v2, v20, s2
	v_cmp_eq_u32_e64 s2, 0, v0
	v_cndmask_b32_e64 v1, v1, v17, s2
	s_delay_alu instid0(VALU_DEP_3) | instskip(NEXT) | instid1(VALU_DEP_2)
	v_cndmask_b32_e64 v2, v2, v18, s2
	v_add_co_u32 v3, s2, v1, v3
	s_delay_alu instid0(VALU_DEP_1) | instskip(NEXT) | instid1(VALU_DEP_2)
	v_add_co_ci_u32_e64 v4, s2, v2, v4, s2
	v_add_co_u32 v5, s2, v3, v5
	s_delay_alu instid0(VALU_DEP_1) | instskip(NEXT) | instid1(VALU_DEP_2)
	v_add_co_ci_u32_e64 v6, s2, v4, v6, s2
	;; [unrolled: 3-line block ×6, first 2 shown]
	v_add_co_u32 v15, s2, v13, v15
	s_delay_alu instid0(VALU_DEP_1)
	v_add_co_ci_u32_e64 v16, s2, v14, v16, s2
	ds_store_2addr_b64 v23, v[1:2], v[3:4] offset1:1
	ds_store_2addr_b64 v23, v[5:6], v[7:8] offset0:2 offset1:3
	ds_store_2addr_b64 v23, v[9:10], v[11:12] offset0:4 offset1:5
	;; [unrolled: 1-line block ×3, first 2 shown]
.LBB89_32:
	s_or_b32 exec_lo, exec_lo, s3
	v_mov_b32_e32 v7, 0
	v_cmp_eq_u32_e64 s2, 0, v0
	v_mov_b32_e32 v8, 0
	s_mov_b32 s12, exec_lo
	s_waitcnt lgkmcnt(0)
	s_barrier
	buffer_gl0_inv
	v_cmpx_ne_u32_e32 0, v0
	s_cbranch_execz .LBB89_34
; %bb.33:
	v_add_nc_u32_e32 v1, -1, v0
	s_delay_alu instid0(VALU_DEP_1) | instskip(NEXT) | instid1(VALU_DEP_1)
	v_lshrrev_b32_e32 v2, 5, v1
	v_add_lshl_u32 v1, v2, v1, 3
	ds_load_b64 v[7:8], v1
.LBB89_34:
	s_or_b32 exec_lo, exec_lo, s12
	s_and_saveexec_b32 s14, vcc_lo
	s_cbranch_execz .LBB89_73
; %bb.35:
	v_mov_b32_e32 v4, 0
	v_mbcnt_lo_u32_b32 v12, -1, 0
	s_mov_b32 s13, 0
	ds_load_b64 v[1:2], v4 offset:2096
	v_cmp_eq_u32_e64 s3, 0, v12
	s_delay_alu instid0(VALU_DEP_1)
	s_and_saveexec_b32 s21, s3
	s_cbranch_execz .LBB89_37
; %bb.36:
	s_add_i32 s12, s15, 32
	s_delay_alu instid0(SALU_CYCLE_1) | instskip(NEXT) | instid1(SALU_CYCLE_1)
	s_lshl_b64 s[12:13], s[12:13], 4
	s_add_u32 s12, s16, s12
	s_addc_u32 s13, s17, s13
	v_mov_b32_e32 v5, s12
	v_dual_mov_b32 v3, 1 :: v_dual_mov_b32 v6, s13
	s_waitcnt lgkmcnt(0)
	;;#ASMSTART
	global_store_dwordx4 v[5:6], v[1:4] off	
s_waitcnt vmcnt(0)
	;;#ASMEND
.LBB89_37:
	s_or_b32 exec_lo, exec_lo, s21
	v_xad_u32 v9, v12, -1, s15
	s_mov_b32 s12, exec_lo
	s_delay_alu instid0(VALU_DEP_1) | instskip(NEXT) | instid1(VALU_DEP_1)
	v_add_nc_u32_e32 v3, 32, v9
	v_lshlrev_b64 v[3:4], 4, v[3:4]
	s_delay_alu instid0(VALU_DEP_1) | instskip(NEXT) | instid1(VALU_DEP_2)
	v_add_co_u32 v10, vcc_lo, s16, v3
	v_add_co_ci_u32_e32 v11, vcc_lo, s17, v4, vcc_lo
	;;#ASMSTART
	global_load_dwordx4 v[3:6], v[10:11] off glc	
s_waitcnt vmcnt(0)
	;;#ASMEND
	v_and_b32_e32 v6, 0xff, v5
	s_delay_alu instid0(VALU_DEP_1)
	v_cmpx_eq_u16_e32 0, v6
	s_cbranch_execz .LBB89_41
; %bb.38:
	s_mov_b32 s13, 0
.LBB89_39:                              ; =>This Inner Loop Header: Depth=1
	;;#ASMSTART
	global_load_dwordx4 v[3:6], v[10:11] off glc	
s_waitcnt vmcnt(0)
	;;#ASMEND
	v_and_b32_e32 v6, 0xff, v5
	s_delay_alu instid0(VALU_DEP_1) | instskip(SKIP_1) | instid1(SALU_CYCLE_1)
	v_cmp_ne_u16_e32 vcc_lo, 0, v6
	s_or_b32 s13, vcc_lo, s13
	s_and_not1_b32 exec_lo, exec_lo, s13
	s_cbranch_execnz .LBB89_39
; %bb.40:
	s_or_b32 exec_lo, exec_lo, s13
.LBB89_41:
	s_delay_alu instid0(SALU_CYCLE_1)
	s_or_b32 exec_lo, exec_lo, s12
	v_cmp_ne_u32_e32 vcc_lo, 31, v12
	v_and_b32_e32 v10, 0xff, v5
	v_lshlrev_b32_e64 v16, v12, -1
	v_add_nc_u32_e32 v17, 1, v12
	s_mov_b32 s12, exec_lo
	v_add_co_ci_u32_e32 v6, vcc_lo, 0, v12, vcc_lo
	v_cmp_eq_u16_e32 vcc_lo, 2, v10
	s_delay_alu instid0(VALU_DEP_2) | instskip(SKIP_4) | instid1(VALU_DEP_1)
	v_dual_mov_b32 v10, v3 :: v_dual_lshlrev_b32 v15, 2, v6
	v_and_or_b32 v6, vcc_lo, v16, 0x80000000
	ds_bpermute_b32 v13, v15, v3
	ds_bpermute_b32 v11, v15, v4
	v_ctz_i32_b32_e32 v6, v6
	v_cmpx_le_u32_e64 v17, v6
	s_cbranch_execz .LBB89_43
; %bb.42:
	s_waitcnt lgkmcnt(1)
	v_add_co_u32 v10, vcc_lo, v3, v13
	v_add_co_ci_u32_e32 v4, vcc_lo, 0, v4, vcc_lo
	s_delay_alu instid0(VALU_DEP_2) | instskip(SKIP_1) | instid1(VALU_DEP_2)
	v_add_co_u32 v3, vcc_lo, 0, v10
	s_waitcnt lgkmcnt(0)
	v_add_co_ci_u32_e32 v4, vcc_lo, v11, v4, vcc_lo
.LBB89_43:
	s_or_b32 exec_lo, exec_lo, s12
	v_cmp_gt_u32_e32 vcc_lo, 30, v12
	v_add_nc_u32_e32 v19, 2, v12
	s_mov_b32 s12, exec_lo
	s_waitcnt lgkmcnt(0)
	v_cndmask_b32_e64 v11, 0, 1, vcc_lo
	s_delay_alu instid0(VALU_DEP_1) | instskip(NEXT) | instid1(VALU_DEP_1)
	v_lshlrev_b32_e32 v11, 1, v11
	v_add_lshl_u32 v18, v11, v12, 2
	ds_bpermute_b32 v13, v18, v10
	ds_bpermute_b32 v11, v18, v4
	v_cmpx_le_u32_e64 v19, v6
	s_cbranch_execz .LBB89_45
; %bb.44:
	s_waitcnt lgkmcnt(1)
	v_add_co_u32 v10, vcc_lo, v3, v13
	v_add_co_ci_u32_e32 v4, vcc_lo, 0, v4, vcc_lo
	s_delay_alu instid0(VALU_DEP_2) | instskip(SKIP_1) | instid1(VALU_DEP_2)
	v_add_co_u32 v3, vcc_lo, 0, v10
	s_waitcnt lgkmcnt(0)
	v_add_co_ci_u32_e32 v4, vcc_lo, v11, v4, vcc_lo
.LBB89_45:
	s_or_b32 exec_lo, exec_lo, s12
	v_cmp_gt_u32_e32 vcc_lo, 28, v12
	v_add_nc_u32_e32 v21, 4, v12
	s_mov_b32 s12, exec_lo
	s_waitcnt lgkmcnt(0)
	v_cndmask_b32_e64 v11, 0, 1, vcc_lo
	s_delay_alu instid0(VALU_DEP_1) | instskip(NEXT) | instid1(VALU_DEP_1)
	v_lshlrev_b32_e32 v11, 2, v11
	v_add_lshl_u32 v20, v11, v12, 2
	ds_bpermute_b32 v13, v20, v10
	ds_bpermute_b32 v11, v20, v4
	;; [unrolled: 22-line block ×4, first 2 shown]
	v_cmpx_le_u32_e64 v25, v6
	s_cbranch_execz .LBB89_51
; %bb.50:
	s_waitcnt lgkmcnt(1)
	v_add_co_u32 v3, vcc_lo, v3, v11
	v_add_co_ci_u32_e32 v4, vcc_lo, 0, v4, vcc_lo
	s_delay_alu instid0(VALU_DEP_2) | instskip(SKIP_1) | instid1(VALU_DEP_2)
	v_add_co_u32 v3, vcc_lo, v3, 0
	s_waitcnt lgkmcnt(0)
	v_add_co_ci_u32_e32 v4, vcc_lo, v4, v10, vcc_lo
.LBB89_51:
	s_or_b32 exec_lo, exec_lo, s12
	s_waitcnt lgkmcnt(0)
	v_mov_b32_e32 v10, 0
	s_branch .LBB89_53
.LBB89_52:                              ;   in Loop: Header=BB89_53 Depth=1
	s_or_b32 exec_lo, exec_lo, s12
	v_add_co_u32 v3, vcc_lo, v3, v11
	v_subrev_nc_u32_e32 v9, 32, v9
	v_add_co_ci_u32_e32 v4, vcc_lo, v4, v12, vcc_lo
.LBB89_53:                              ; =>This Loop Header: Depth=1
                                        ;     Child Loop BB89_56 Depth 2
	s_delay_alu instid0(VALU_DEP_1) | instskip(NEXT) | instid1(VALU_DEP_4)
	v_dual_mov_b32 v12, v4 :: v_dual_and_b32 v5, 0xff, v5
	v_mov_b32_e32 v11, v3
	s_delay_alu instid0(VALU_DEP_2) | instskip(SKIP_2) | instid1(VALU_DEP_1)
	v_cmp_ne_u16_e32 vcc_lo, 2, v5
	v_cndmask_b32_e64 v5, 0, 1, vcc_lo
	;;#ASMSTART
	;;#ASMEND
	v_cmp_ne_u32_e32 vcc_lo, 0, v5
	s_cmp_lg_u32 vcc_lo, exec_lo
	s_cbranch_scc1 .LBB89_68
; %bb.54:                               ;   in Loop: Header=BB89_53 Depth=1
	v_lshlrev_b64 v[3:4], 4, v[9:10]
	s_mov_b32 s12, exec_lo
	s_waitcnt lgkmcnt(0)
	s_delay_alu instid0(VALU_DEP_1) | instskip(NEXT) | instid1(VALU_DEP_2)
	v_add_co_u32 v13, vcc_lo, s16, v3
	v_add_co_ci_u32_e32 v14, vcc_lo, s17, v4, vcc_lo
	;;#ASMSTART
	global_load_dwordx4 v[3:6], v[13:14] off glc	
s_waitcnt vmcnt(0)
	;;#ASMEND
	v_and_b32_e32 v6, 0xff, v5
	s_delay_alu instid0(VALU_DEP_1)
	v_cmpx_eq_u16_e32 0, v6
	s_cbranch_execz .LBB89_58
; %bb.55:                               ;   in Loop: Header=BB89_53 Depth=1
	s_mov_b32 s13, 0
.LBB89_56:                              ;   Parent Loop BB89_53 Depth=1
                                        ; =>  This Inner Loop Header: Depth=2
	;;#ASMSTART
	global_load_dwordx4 v[3:6], v[13:14] off glc	
s_waitcnt vmcnt(0)
	;;#ASMEND
	v_and_b32_e32 v6, 0xff, v5
	s_delay_alu instid0(VALU_DEP_1) | instskip(SKIP_1) | instid1(SALU_CYCLE_1)
	v_cmp_ne_u16_e32 vcc_lo, 0, v6
	s_or_b32 s13, vcc_lo, s13
	s_and_not1_b32 exec_lo, exec_lo, s13
	s_cbranch_execnz .LBB89_56
; %bb.57:                               ;   in Loop: Header=BB89_53 Depth=1
	s_or_b32 exec_lo, exec_lo, s13
.LBB89_58:                              ;   in Loop: Header=BB89_53 Depth=1
	s_delay_alu instid0(SALU_CYCLE_1)
	s_or_b32 exec_lo, exec_lo, s12
	v_dual_mov_b32 v13, v3 :: v_dual_and_b32 v6, 0xff, v5
	ds_bpermute_b32 v26, v15, v3
	ds_bpermute_b32 v14, v15, v4
	s_mov_b32 s12, exec_lo
	v_cmp_eq_u16_e32 vcc_lo, 2, v6
	v_and_or_b32 v6, vcc_lo, v16, 0x80000000
	s_delay_alu instid0(VALU_DEP_1) | instskip(NEXT) | instid1(VALU_DEP_1)
	v_ctz_i32_b32_e32 v6, v6
	v_cmpx_le_u32_e64 v17, v6
	s_cbranch_execz .LBB89_60
; %bb.59:                               ;   in Loop: Header=BB89_53 Depth=1
	s_waitcnt lgkmcnt(1)
	v_add_co_u32 v13, vcc_lo, v3, v26
	v_add_co_ci_u32_e32 v4, vcc_lo, 0, v4, vcc_lo
	s_delay_alu instid0(VALU_DEP_2) | instskip(SKIP_1) | instid1(VALU_DEP_2)
	v_add_co_u32 v3, vcc_lo, 0, v13
	s_waitcnt lgkmcnt(0)
	v_add_co_ci_u32_e32 v4, vcc_lo, v14, v4, vcc_lo
.LBB89_60:                              ;   in Loop: Header=BB89_53 Depth=1
	s_or_b32 exec_lo, exec_lo, s12
	s_waitcnt lgkmcnt(1)
	ds_bpermute_b32 v26, v18, v13
	s_waitcnt lgkmcnt(1)
	ds_bpermute_b32 v14, v18, v4
	s_mov_b32 s12, exec_lo
	v_cmpx_le_u32_e64 v19, v6
	s_cbranch_execz .LBB89_62
; %bb.61:                               ;   in Loop: Header=BB89_53 Depth=1
	s_waitcnt lgkmcnt(1)
	v_add_co_u32 v13, vcc_lo, v3, v26
	v_add_co_ci_u32_e32 v4, vcc_lo, 0, v4, vcc_lo
	s_delay_alu instid0(VALU_DEP_2) | instskip(SKIP_1) | instid1(VALU_DEP_2)
	v_add_co_u32 v3, vcc_lo, 0, v13
	s_waitcnt lgkmcnt(0)
	v_add_co_ci_u32_e32 v4, vcc_lo, v14, v4, vcc_lo
.LBB89_62:                              ;   in Loop: Header=BB89_53 Depth=1
	s_or_b32 exec_lo, exec_lo, s12
	s_waitcnt lgkmcnt(1)
	ds_bpermute_b32 v26, v20, v13
	s_waitcnt lgkmcnt(1)
	ds_bpermute_b32 v14, v20, v4
	s_mov_b32 s12, exec_lo
	;; [unrolled: 17-line block ×3, first 2 shown]
	v_cmpx_le_u32_e64 v23, v6
	s_cbranch_execz .LBB89_66
; %bb.65:                               ;   in Loop: Header=BB89_53 Depth=1
	s_waitcnt lgkmcnt(1)
	v_add_co_u32 v13, vcc_lo, v3, v26
	v_add_co_ci_u32_e32 v4, vcc_lo, 0, v4, vcc_lo
	s_delay_alu instid0(VALU_DEP_2) | instskip(SKIP_1) | instid1(VALU_DEP_2)
	v_add_co_u32 v3, vcc_lo, 0, v13
	s_waitcnt lgkmcnt(0)
	v_add_co_ci_u32_e32 v4, vcc_lo, v14, v4, vcc_lo
.LBB89_66:                              ;   in Loop: Header=BB89_53 Depth=1
	s_or_b32 exec_lo, exec_lo, s12
	s_waitcnt lgkmcnt(0)
	ds_bpermute_b32 v14, v24, v13
	ds_bpermute_b32 v13, v24, v4
	s_mov_b32 s12, exec_lo
	v_cmpx_le_u32_e64 v25, v6
	s_cbranch_execz .LBB89_52
; %bb.67:                               ;   in Loop: Header=BB89_53 Depth=1
	s_waitcnt lgkmcnt(1)
	v_add_co_u32 v3, vcc_lo, v3, v14
	v_add_co_ci_u32_e32 v4, vcc_lo, 0, v4, vcc_lo
	s_delay_alu instid0(VALU_DEP_2) | instskip(SKIP_1) | instid1(VALU_DEP_2)
	v_add_co_u32 v3, vcc_lo, v3, 0
	s_waitcnt lgkmcnt(0)
	v_add_co_ci_u32_e32 v4, vcc_lo, v4, v13, vcc_lo
	s_branch .LBB89_52
.LBB89_68:                              ;   in Loop: Header=BB89_53 Depth=1
                                        ; implicit-def: $vgpr3_vgpr4
	s_cbranch_execz .LBB89_53
; %bb.69:
	s_and_saveexec_b32 s12, s3
	s_cbranch_execz .LBB89_71
; %bb.70:
	s_add_i32 s22, s15, 32
	s_mov_b32 s23, 0
	v_add_co_u32 v1, vcc_lo, v11, v1
	s_lshl_b64 s[22:23], s[22:23], 4
	v_add_co_ci_u32_e32 v2, vcc_lo, v12, v2, vcc_lo
	s_add_u32 s22, s16, s22
	s_addc_u32 s23, s17, s23
	v_dual_mov_b32 v3, 2 :: v_dual_mov_b32 v4, 0
	v_dual_mov_b32 v5, s22 :: v_dual_mov_b32 v6, s23
	;;#ASMSTART
	global_store_dwordx4 v[5:6], v[1:4] off	
s_waitcnt vmcnt(0)
	;;#ASMEND
.LBB89_71:
	s_or_b32 exec_lo, exec_lo, s12
	s_delay_alu instid0(SALU_CYCLE_1)
	s_and_b32 exec_lo, exec_lo, s2
	s_cbranch_execz .LBB89_73
; %bb.72:
	v_mov_b32_e32 v1, 0
	ds_store_b64 v1, v[11:12]
.LBB89_73:
	s_or_b32 exec_lo, exec_lo, s14
	v_mov_b32_e32 v1, 0
	s_waitcnt lgkmcnt(0)
	s_barrier
	buffer_gl0_inv
	ds_load_b64 v[1:2], v1
	s_waitcnt lgkmcnt(0)
	v_add_co_u32 v1, vcc_lo, v1, v7
	v_add_co_ci_u32_e32 v2, vcc_lo, v2, v8, vcc_lo
	s_delay_alu instid0(VALU_DEP_2) | instskip(NEXT) | instid1(VALU_DEP_2)
	v_add_co_u32 v3, vcc_lo, v1, v61
	v_add_co_ci_u32_e32 v4, vcc_lo, v2, v62, vcc_lo
	s_delay_alu instid0(VALU_DEP_2) | instskip(NEXT) | instid1(VALU_DEP_2)
	;; [unrolled: 3-line block ×15, first 2 shown]
	v_add_co_u32 v31, vcc_lo, v29, v33
	v_add_co_ci_u32_e32 v32, vcc_lo, v30, v34, vcc_lo
	s_load_b128 s[12:15], s[0:1], 0x38
	s_branch .LBB89_92
.LBB89_74:
                                        ; implicit-def: $vgpr1_vgpr2_vgpr3_vgpr4_vgpr5_vgpr6_vgpr7_vgpr8_vgpr9_vgpr10_vgpr11_vgpr12_vgpr13_vgpr14_vgpr15_vgpr16_vgpr17_vgpr18_vgpr19_vgpr20_vgpr21_vgpr22_vgpr23_vgpr24_vgpr25_vgpr26_vgpr27_vgpr28_vgpr29_vgpr30_vgpr31_vgpr32
	s_load_b128 s[12:15], s[0:1], 0x38
	s_cbranch_execz .LBB89_92
; %bb.75:
	s_load_b32 s2, s[0:1], 0x48
	s_waitcnt lgkmcnt(0)
	s_bitcmp0_b32 s2, 0
	s_cbranch_scc1 .LBB89_77
; %bb.76:
	s_add_u32 s2, s4, -8
	s_addc_u32 s3, s5, -1
	s_load_b64 s[2:3], s[2:3], 0x0
	s_load_b64 s[4:5], s[12:13], 0x0
	s_waitcnt lgkmcnt(0)
	s_add_u32 s10, s4, s2
	s_addc_u32 s11, s5, s3
.LBB89_77:
	v_add_co_u32 v1, vcc_lo, v63, v61
	v_add_co_ci_u32_e32 v2, vcc_lo, v64, v62, vcc_lo
	v_add_lshl_u32 v3, v81, v0, 3
	s_delay_alu instid0(VALU_DEP_3) | instskip(NEXT) | instid1(VALU_DEP_3)
	v_add_co_u32 v1, vcc_lo, v1, v57
	v_add_co_ci_u32_e32 v2, vcc_lo, v2, v58, vcc_lo
	s_mov_b32 s2, exec_lo
	s_delay_alu instid0(VALU_DEP_2) | instskip(NEXT) | instid1(VALU_DEP_2)
	v_add_co_u32 v1, vcc_lo, v1, v59
	v_add_co_ci_u32_e32 v2, vcc_lo, v2, v60, vcc_lo
	s_delay_alu instid0(VALU_DEP_2) | instskip(NEXT) | instid1(VALU_DEP_2)
	v_add_co_u32 v1, vcc_lo, v1, v53
	v_add_co_ci_u32_e32 v2, vcc_lo, v2, v54, vcc_lo
	;; [unrolled: 3-line block ×13, first 2 shown]
	ds_store_b64 v3, v[17:18]
	s_waitcnt lgkmcnt(0)
	s_barrier
	buffer_gl0_inv
	v_cmpx_gt_u32_e32 32, v0
	s_cbranch_execz .LBB89_87
; %bb.78:
	v_lshlrev_b32_e32 v1, 1, v0
	v_mbcnt_lo_u32_b32 v24, -1, 0
	s_mov_b32 s3, exec_lo
	s_delay_alu instid0(VALU_DEP_2) | instskip(NEXT) | instid1(VALU_DEP_2)
	v_and_b32_e32 v1, 0x1f8, v1
	v_and_b32_e32 v25, 15, v24
	s_delay_alu instid0(VALU_DEP_2)
	v_lshl_or_b32 v23, v0, 6, v1
	ds_load_2addr_b64 v[1:4], v23 offset1:1
	ds_load_2addr_b64 v[5:8], v23 offset0:2 offset1:3
	ds_load_2addr_b64 v[9:12], v23 offset0:4 offset1:5
	;; [unrolled: 1-line block ×3, first 2 shown]
	s_waitcnt lgkmcnt(3)
	v_add_co_u32 v19, vcc_lo, v3, v1
	v_add_co_ci_u32_e32 v20, vcc_lo, v4, v2, vcc_lo
	s_waitcnt lgkmcnt(2)
	s_delay_alu instid0(VALU_DEP_2) | instskip(NEXT) | instid1(VALU_DEP_2)
	v_add_co_u32 v19, vcc_lo, v19, v5
	v_add_co_ci_u32_e32 v20, vcc_lo, v20, v6, vcc_lo
	s_delay_alu instid0(VALU_DEP_2) | instskip(NEXT) | instid1(VALU_DEP_2)
	v_add_co_u32 v19, vcc_lo, v19, v7
	v_add_co_ci_u32_e32 v20, vcc_lo, v20, v8, vcc_lo
	s_waitcnt lgkmcnt(1)
	s_delay_alu instid0(VALU_DEP_2) | instskip(NEXT) | instid1(VALU_DEP_2)
	v_add_co_u32 v19, vcc_lo, v19, v9
	v_add_co_ci_u32_e32 v20, vcc_lo, v20, v10, vcc_lo
	s_delay_alu instid0(VALU_DEP_2) | instskip(NEXT) | instid1(VALU_DEP_2)
	v_add_co_u32 v19, vcc_lo, v19, v11
	v_add_co_ci_u32_e32 v20, vcc_lo, v20, v12, vcc_lo
	s_waitcnt lgkmcnt(0)
	s_delay_alu instid0(VALU_DEP_2) | instskip(NEXT) | instid1(VALU_DEP_2)
	v_add_co_u32 v19, vcc_lo, v19, v13
	v_add_co_ci_u32_e32 v20, vcc_lo, v20, v14, vcc_lo
	s_delay_alu instid0(VALU_DEP_2) | instskip(NEXT) | instid1(VALU_DEP_2)
	v_add_co_u32 v19, vcc_lo, v19, v15
	v_add_co_ci_u32_e32 v20, vcc_lo, v20, v16, vcc_lo
	s_delay_alu instid0(VALU_DEP_2) | instskip(NEXT) | instid1(VALU_DEP_2)
	v_mov_b32_dpp v27, v19 row_shr:1 row_mask:0xf bank_mask:0xf
	v_mov_b32_e32 v22, v20
	v_mov_b32_dpp v26, v20 row_shr:1 row_mask:0xf bank_mask:0xf
	v_mov_b32_e32 v21, v19
	v_cmpx_ne_u32_e32 0, v25
; %bb.79:
	v_add_co_u32 v19, vcc_lo, v19, v27
	v_add_co_ci_u32_e32 v20, vcc_lo, 0, v20, vcc_lo
	s_delay_alu instid0(VALU_DEP_2) | instskip(NEXT) | instid1(VALU_DEP_2)
	v_add_co_u32 v21, vcc_lo, 0, v19
	v_add_co_ci_u32_e32 v22, vcc_lo, v26, v20, vcc_lo
	s_delay_alu instid0(VALU_DEP_1)
	v_mov_b32_e32 v20, v22
; %bb.80:
	s_or_b32 exec_lo, exec_lo, s3
	v_mov_b32_dpp v27, v19 row_shr:2 row_mask:0xf bank_mask:0xf
	s_delay_alu instid0(VALU_DEP_2)
	v_mov_b32_dpp v26, v20 row_shr:2 row_mask:0xf bank_mask:0xf
	s_mov_b32 s3, exec_lo
	v_cmpx_lt_u32_e32 1, v25
; %bb.81:
	s_delay_alu instid0(VALU_DEP_3) | instskip(SKIP_1) | instid1(VALU_DEP_2)
	v_add_co_u32 v19, vcc_lo, v21, v27
	v_add_co_ci_u32_e32 v20, vcc_lo, 0, v22, vcc_lo
	v_add_co_u32 v21, vcc_lo, 0, v19
	s_delay_alu instid0(VALU_DEP_2) | instskip(NEXT) | instid1(VALU_DEP_1)
	v_add_co_ci_u32_e32 v22, vcc_lo, v26, v20, vcc_lo
	v_mov_b32_e32 v20, v22
; %bb.82:
	s_or_b32 exec_lo, exec_lo, s3
	v_mov_b32_dpp v27, v19 row_shr:4 row_mask:0xf bank_mask:0xf
	s_delay_alu instid0(VALU_DEP_2)
	v_mov_b32_dpp v26, v20 row_shr:4 row_mask:0xf bank_mask:0xf
	s_mov_b32 s3, exec_lo
	v_cmpx_lt_u32_e32 3, v25
; %bb.83:
	s_delay_alu instid0(VALU_DEP_3) | instskip(SKIP_1) | instid1(VALU_DEP_2)
	v_add_co_u32 v19, vcc_lo, v21, v27
	v_add_co_ci_u32_e32 v20, vcc_lo, 0, v22, vcc_lo
	v_add_co_u32 v21, vcc_lo, 0, v19
	s_delay_alu instid0(VALU_DEP_2) | instskip(NEXT) | instid1(VALU_DEP_1)
	v_add_co_ci_u32_e32 v22, vcc_lo, v26, v20, vcc_lo
	;; [unrolled: 15-line block ×3, first 2 shown]
	v_mov_b32_e32 v20, v22
; %bb.86:
	s_or_b32 exec_lo, exec_lo, s3
	ds_swizzle_b32 v25, v19 offset:swizzle(BROADCAST,32,15)
	ds_swizzle_b32 v26, v20 offset:swizzle(BROADCAST,32,15)
	v_add_nc_u32_e32 v27, -1, v24
	v_and_b32_e32 v28, 16, v24
	s_delay_alu instid0(VALU_DEP_2)
	v_cmp_gt_i32_e32 vcc_lo, 0, v27
	v_cndmask_b32_e32 v24, v27, v24, vcc_lo
	s_waitcnt lgkmcnt(1)
	v_add_co_u32 v21, vcc_lo, v21, v25
	v_add_co_ci_u32_e32 v22, vcc_lo, 0, v22, vcc_lo
	v_cmp_eq_u32_e32 vcc_lo, 0, v28
	s_delay_alu instid0(VALU_DEP_3) | instskip(SKIP_1) | instid1(VALU_DEP_3)
	v_cndmask_b32_e32 v19, v21, v19, vcc_lo
	s_waitcnt lgkmcnt(0)
	v_add_nc_u32_e32 v21, v26, v22
	v_lshlrev_b32_e32 v24, 2, v24
	s_delay_alu instid0(VALU_DEP_2)
	v_cndmask_b32_e32 v20, v21, v20, vcc_lo
	ds_bpermute_b32 v19, v24, v19
	ds_bpermute_b32 v20, v24, v20
	s_waitcnt lgkmcnt(1)
	v_add_co_u32 v1, vcc_lo, v1, v19
	v_add_co_ci_u32_e32 v2, vcc_lo, 0, v2, vcc_lo
	s_delay_alu instid0(VALU_DEP_2) | instskip(SKIP_1) | instid1(VALU_DEP_2)
	v_add_co_u32 v1, vcc_lo, v1, 0
	s_waitcnt lgkmcnt(0)
	v_add_co_ci_u32_e32 v2, vcc_lo, v2, v20, vcc_lo
	v_cmp_eq_u32_e32 vcc_lo, 0, v0
	s_delay_alu instid0(VALU_DEP_2) | instskip(NEXT) | instid1(VALU_DEP_1)
	v_dual_cndmask_b32 v1, v1, v17 :: v_dual_cndmask_b32 v2, v2, v18
	v_add_co_u32 v3, vcc_lo, v1, v3
	s_delay_alu instid0(VALU_DEP_2) | instskip(NEXT) | instid1(VALU_DEP_2)
	v_add_co_ci_u32_e32 v4, vcc_lo, v2, v4, vcc_lo
	v_add_co_u32 v5, vcc_lo, v3, v5
	s_delay_alu instid0(VALU_DEP_2) | instskip(NEXT) | instid1(VALU_DEP_2)
	v_add_co_ci_u32_e32 v6, vcc_lo, v4, v6, vcc_lo
	;; [unrolled: 3-line block ×6, first 2 shown]
	v_add_co_u32 v15, vcc_lo, v13, v15
	s_delay_alu instid0(VALU_DEP_2)
	v_add_co_ci_u32_e32 v16, vcc_lo, v14, v16, vcc_lo
	ds_store_2addr_b64 v23, v[1:2], v[3:4] offset1:1
	ds_store_2addr_b64 v23, v[5:6], v[7:8] offset0:2 offset1:3
	ds_store_2addr_b64 v23, v[9:10], v[11:12] offset0:4 offset1:5
	;; [unrolled: 1-line block ×3, first 2 shown]
.LBB89_87:
	s_or_b32 exec_lo, exec_lo, s2
	v_cmp_eq_u32_e32 vcc_lo, 0, v0
	v_dual_mov_b32 v1, s10 :: v_dual_mov_b32 v2, s11
	s_mov_b32 s3, exec_lo
	s_waitcnt lgkmcnt(0)
	s_barrier
	buffer_gl0_inv
	v_cmpx_ne_u32_e32 0, v0
	s_cbranch_execz .LBB89_89
; %bb.88:
	v_add_nc_u32_e32 v1, -1, v0
	s_delay_alu instid0(VALU_DEP_1) | instskip(NEXT) | instid1(VALU_DEP_1)
	v_lshrrev_b32_e32 v2, 5, v1
	v_add_lshl_u32 v1, v2, v1, 3
	ds_load_b64 v[1:2], v1
	s_waitcnt lgkmcnt(0)
	v_add_co_u32 v1, s2, v1, s10
	s_delay_alu instid0(VALU_DEP_1)
	v_add_co_ci_u32_e64 v2, s2, s11, v2, s2
.LBB89_89:
	s_or_b32 exec_lo, exec_lo, s3
	s_delay_alu instid0(VALU_DEP_2) | instskip(NEXT) | instid1(VALU_DEP_1)
	v_add_co_u32 v3, s2, v1, v61
	v_add_co_ci_u32_e64 v4, s2, v2, v62, s2
	s_delay_alu instid0(VALU_DEP_2) | instskip(NEXT) | instid1(VALU_DEP_1)
	v_add_co_u32 v5, s2, v3, v63
	v_add_co_ci_u32_e64 v6, s2, v4, v64, s2
	;; [unrolled: 3-line block ×15, first 2 shown]
	s_and_saveexec_b32 s2, vcc_lo
	s_cbranch_execz .LBB89_91
; %bb.90:
	v_dual_mov_b32 v36, 0 :: v_dual_mov_b32 v35, 2
	s_add_u32 s4, s16, 0x200
	s_addc_u32 s5, s17, 0
	s_delay_alu instid0(SALU_CYCLE_1)
	v_dual_mov_b32 v38, s5 :: v_dual_mov_b32 v37, s4
	ds_load_b64 v[33:34], v36 offset:2096
	s_waitcnt lgkmcnt(0)
	v_add_co_u32 v33, vcc_lo, v33, s10
	v_add_co_ci_u32_e32 v34, vcc_lo, s11, v34, vcc_lo
	;;#ASMSTART
	global_store_dwordx4 v[37:38], v[33:36] off	
s_waitcnt vmcnt(0)
	;;#ASMEND
.LBB89_91:
	s_or_b32 exec_lo, exec_lo, s2
.LBB89_92:
	v_lshlrev_b32_e32 v33, 7, v0
	s_add_u32 s2, s6, s8
	s_addc_u32 s3, s7, s9
	s_and_b32 vcc_lo, exec_lo, s20
	s_mov_b32 s4, -1
	s_waitcnt lgkmcnt(0)
	s_barrier
	buffer_gl0_inv
	s_cbranch_vccz .LBB89_94
; %bb.93:
	v_lshl_add_u32 v34, v82, 3, v33
	v_lshrrev_b32_e32 v35, 5, v78
	v_lshrrev_b32_e32 v36, 5, v77
	v_add_lshl_u32 v37, v81, v0, 3
	v_lshrrev_b32_e32 v51, 5, v71
	ds_store_2addr_b64 v34, v[1:2], v[3:4] offset1:1
	ds_store_2addr_b64 v34, v[5:6], v[7:8] offset0:2 offset1:3
	ds_store_2addr_b64 v34, v[9:10], v[11:12] offset0:4 offset1:5
	;; [unrolled: 1-line block ×7, first 2 shown]
	v_lshrrev_b32_e32 v34, 5, v79
	v_add_lshl_u32 v39, v35, v0, 3
	v_add_lshl_u32 v40, v36, v0, 3
	s_waitcnt lgkmcnt(0)
	s_barrier
	v_add_lshl_u32 v38, v34, v0, 3
	buffer_gl0_inv
	v_lshrrev_b32_e32 v52, 5, v70
	ds_load_b64 v[34:35], v37
	ds_load_b64 v[36:37], v38 offset:2048
	ds_load_b64 v[38:39], v39 offset:4096
	;; [unrolled: 1-line block ×3, first 2 shown]
	v_lshrrev_b32_e32 v42, 5, v76
	v_lshrrev_b32_e32 v50, 5, v72
	;; [unrolled: 1-line block ×5, first 2 shown]
	v_add_lshl_u32 v53, v51, v0, 3
	v_lshrrev_b32_e32 v51, 5, v69
	v_add_lshl_u32 v54, v52, v0, 3
	v_lshrrev_b32_e32 v52, 5, v68
	v_lshrrev_b32_e32 v55, 5, v67
	;; [unrolled: 1-line block ×4, first 2 shown]
	v_add_lshl_u32 v42, v42, v0, 3
	v_add_lshl_u32 v50, v50, v0, 3
	;; [unrolled: 1-line block ×10, first 2 shown]
	ds_load_b64 v[42:43], v42 offset:8192
	ds_load_b64 v[44:45], v46 offset:10240
	;; [unrolled: 1-line block ×12, first 2 shown]
	v_add_co_u32 v64, s5, s2, v80
	s_delay_alu instid0(VALU_DEP_1)
	v_add_co_ci_u32_e64 v95, null, s3, 0, s5
	s_waitcnt lgkmcnt(14)
	global_store_b64 v80, v[36:37], s[2:3] offset:2048
	v_add_co_u32 v36, vcc_lo, 0x1000, v64
	v_add_co_ci_u32_e32 v37, vcc_lo, 0, v95, vcc_lo
	v_add_co_u32 v85, vcc_lo, v64, 0x2000
	v_add_co_ci_u32_e32 v86, vcc_lo, 0, v95, vcc_lo
	;; [unrolled: 2-line block ×6, first 2 shown]
	s_waitcnt lgkmcnt(13)
	global_store_b64 v[85:86], v[38:39], off offset:-4096
	s_waitcnt lgkmcnt(11)
	global_store_b64 v[85:86], v[42:43], off
	s_waitcnt lgkmcnt(9)
	global_store_b64 v[91:92], v[46:47], off offset:-4096
	s_waitcnt lgkmcnt(7)
	s_clause 0x3
	global_store_b64 v[91:92], v[50:51], off
	global_store_b64 v[36:37], v[40:41], off offset:2048
	global_store_b64 v[87:88], v[44:45], off offset:2048
	;; [unrolled: 1-line block ×3, first 2 shown]
	s_waitcnt lgkmcnt(6)
	global_store_b64 v[93:94], v[52:53], off offset:2048
	v_add_co_u32 v36, vcc_lo, v64, 0x6000
	v_add_co_ci_u32_e32 v37, vcc_lo, 0, v95, vcc_lo
	v_add_co_u32 v38, vcc_lo, 0x5000, v64
	v_add_co_ci_u32_e32 v39, vcc_lo, 0, v95, vcc_lo
	;; [unrolled: 2-line block ×4, first 2 shown]
	s_mov_b32 s4, 0
	s_waitcnt lgkmcnt(5)
	s_clause 0x1
	global_store_b64 v[36:37], v[54:55], off offset:-4096
	global_store_b64 v80, v[34:35], s[2:3]
	s_waitcnt lgkmcnt(3)
	s_clause 0x1
	global_store_b64 v[36:37], v[58:59], off
	global_store_b64 v[38:39], v[56:57], off offset:2048
	s_waitcnt lgkmcnt(2)
	global_store_b64 v[40:41], v[60:61], off offset:2048
	s_waitcnt lgkmcnt(1)
	global_store_b64 v[42:43], v[62:63], off
	s_waitcnt lgkmcnt(0)
	global_store_b64 v[42:43], v[83:84], off offset:2048
.LBB89_94:
	s_and_not1_b32 vcc_lo, exec_lo, s4
	s_cbranch_vccnz .LBB89_167
; %bb.95:
	v_lshl_add_u32 v33, v82, 3, v33
	v_add_co_u32 v34, s2, s2, v80
	s_delay_alu instid0(VALU_DEP_1)
	v_add_co_ci_u32_e64 v35, null, s3, 0, s2
	ds_store_2addr_b64 v33, v[1:2], v[3:4] offset1:1
	ds_store_2addr_b64 v33, v[5:6], v[7:8] offset0:2 offset1:3
	ds_store_2addr_b64 v33, v[9:10], v[11:12] offset0:4 offset1:5
	;; [unrolled: 1-line block ×7, first 2 shown]
	v_lshrrev_b32_e32 v1, 5, v79
	v_lshrrev_b32_e32 v2, 5, v78
	;; [unrolled: 1-line block ×3, first 2 shown]
	v_add_lshl_u32 v4, v81, v0, 3
	v_lshrrev_b32_e32 v10, 5, v76
	v_add_lshl_u32 v1, v1, v0, 3
	v_lshrrev_b32_e32 v11, 5, v75
	;; [unrolled: 2-line block ×4, first 2 shown]
	s_waitcnt lgkmcnt(0)
	s_waitcnt_vscnt null, 0x0
	s_barrier
	buffer_gl0_inv
	ds_load_b64 v[4:5], v4
	ds_load_b64 v[2:3], v1 offset:2048
	ds_load_b64 v[6:7], v6 offset:4096
	;; [unrolled: 1-line block ×3, first 2 shown]
	v_add_lshl_u32 v1, v10, v0, 3
	v_lshrrev_b32_e32 v18, 5, v72
	v_add_lshl_u32 v14, v11, v0, 3
	v_lshrrev_b32_e32 v19, 5, v71
	v_lshrrev_b32_e32 v20, 5, v70
	v_add_lshl_u32 v15, v12, v0, 3
	v_add_lshl_u32 v16, v13, v0, 3
	ds_load_b64 v[10:11], v1 offset:8192
	ds_load_b64 v[12:13], v14 offset:10240
	;; [unrolled: 1-line block ×4, first 2 shown]
	v_add_lshl_u32 v1, v18, v0, 3
	v_lshrrev_b32_e32 v18, 5, v69
	v_add_lshl_u32 v21, v19, v0, 3
	v_add_lshl_u32 v22, v20, v0, 3
	v_lshrrev_b32_e32 v19, 5, v68
	v_lshrrev_b32_e32 v20, 5, v67
	;; [unrolled: 1-line block ×4, first 2 shown]
	v_add_lshl_u32 v25, v18, v0, 3
	v_add_lshl_u32 v26, v19, v0, 3
	;; [unrolled: 1-line block ×5, first 2 shown]
	ds_load_b64 v[18:19], v1 offset:16384
	ds_load_b64 v[20:21], v21 offset:18432
	;; [unrolled: 1-line block ×8, first 2 shown]
	v_mov_b32_e32 v1, 0
	s_mov_b32 s2, exec_lo
	v_cmpx_gt_u32_e64 s18, v0
	s_cbranch_execnz .LBB89_183
; %bb.96:
	s_or_b32 exec_lo, exec_lo, s2
	s_delay_alu instid0(SALU_CYCLE_1)
	s_mov_b32 s2, exec_lo
	v_cmpx_gt_u32_e64 s18, v79
	s_cbranch_execnz .LBB89_184
.LBB89_97:
	s_or_b32 exec_lo, exec_lo, s2
	s_delay_alu instid0(SALU_CYCLE_1)
	s_mov_b32 s2, exec_lo
	v_cmpx_gt_u32_e64 s18, v78
	s_cbranch_execnz .LBB89_185
.LBB89_98:
	s_or_b32 exec_lo, exec_lo, s2
	s_delay_alu instid0(SALU_CYCLE_1)
	s_mov_b32 s2, exec_lo
	v_cmpx_gt_u32_e64 s18, v77
	s_cbranch_execnz .LBB89_186
.LBB89_99:
	s_or_b32 exec_lo, exec_lo, s2
	s_delay_alu instid0(SALU_CYCLE_1)
	s_mov_b32 s2, exec_lo
	v_cmpx_gt_u32_e64 s18, v76
	s_cbranch_execnz .LBB89_187
.LBB89_100:
	s_or_b32 exec_lo, exec_lo, s2
	s_delay_alu instid0(SALU_CYCLE_1)
	s_mov_b32 s2, exec_lo
	v_cmpx_gt_u32_e64 s18, v75
	s_cbranch_execnz .LBB89_188
.LBB89_101:
	s_or_b32 exec_lo, exec_lo, s2
	s_delay_alu instid0(SALU_CYCLE_1)
	s_mov_b32 s2, exec_lo
	v_cmpx_gt_u32_e64 s18, v74
	s_cbranch_execnz .LBB89_189
.LBB89_102:
	s_or_b32 exec_lo, exec_lo, s2
	s_delay_alu instid0(SALU_CYCLE_1)
	s_mov_b32 s2, exec_lo
	v_cmpx_gt_u32_e64 s18, v73
	s_cbranch_execnz .LBB89_190
.LBB89_103:
	s_or_b32 exec_lo, exec_lo, s2
	s_delay_alu instid0(SALU_CYCLE_1)
	s_mov_b32 s2, exec_lo
	v_cmpx_gt_u32_e64 s18, v72
	s_cbranch_execnz .LBB89_191
.LBB89_104:
	s_or_b32 exec_lo, exec_lo, s2
	s_delay_alu instid0(SALU_CYCLE_1)
	s_mov_b32 s2, exec_lo
	v_cmpx_gt_u32_e64 s18, v71
	s_cbranch_execnz .LBB89_192
.LBB89_105:
	s_or_b32 exec_lo, exec_lo, s2
	s_delay_alu instid0(SALU_CYCLE_1)
	s_mov_b32 s2, exec_lo
	v_cmpx_gt_u32_e64 s18, v70
	s_cbranch_execnz .LBB89_193
.LBB89_106:
	s_or_b32 exec_lo, exec_lo, s2
	s_delay_alu instid0(SALU_CYCLE_1)
	s_mov_b32 s2, exec_lo
	v_cmpx_gt_u32_e64 s18, v69
	s_cbranch_execnz .LBB89_194
.LBB89_107:
	s_or_b32 exec_lo, exec_lo, s2
	s_delay_alu instid0(SALU_CYCLE_1)
	s_mov_b32 s2, exec_lo
	v_cmpx_gt_u32_e64 s18, v68
	s_cbranch_execnz .LBB89_195
.LBB89_108:
	s_or_b32 exec_lo, exec_lo, s2
	s_delay_alu instid0(SALU_CYCLE_1)
	s_mov_b32 s2, exec_lo
	v_cmpx_gt_u32_e64 s18, v67
	s_cbranch_execnz .LBB89_196
.LBB89_109:
	s_or_b32 exec_lo, exec_lo, s2
	s_delay_alu instid0(SALU_CYCLE_1)
	s_mov_b32 s2, exec_lo
	v_cmpx_gt_u32_e64 s18, v66
	s_cbranch_execnz .LBB89_197
.LBB89_110:
	s_or_b32 exec_lo, exec_lo, s2
	s_delay_alu instid0(SALU_CYCLE_1)
	s_mov_b32 s2, exec_lo
	v_cmpx_gt_u32_e64 s18, v65
	s_cbranch_execz .LBB89_112
.LBB89_111:
	v_add_co_u32 v34, vcc_lo, 0x7000, v34
	v_add_co_ci_u32_e32 v35, vcc_lo, 0, v35, vcc_lo
	s_waitcnt lgkmcnt(0)
	global_store_b64 v[34:35], v[32:33], off offset:2048
.LBB89_112:
	s_or_b32 exec_lo, exec_lo, s2
	s_load_b32 s0, s[0:1], 0x48
	s_waitcnt lgkmcnt(0)
	s_bfe_u32 s0, s0, 0x10008
	s_delay_alu instid0(SALU_CYCLE_1)
	s_cmp_eq_u32 s0, 0
	s_cbranch_scc1 .LBB89_167
; %bb.113:
	s_add_u32 s0, s18, -1
	s_addc_u32 s1, s19, -1
	s_delay_alu instid0(SALU_CYCLE_1)
	s_lshr_b64 s[2:3], s[0:1], 4
	s_mov_b32 s1, exec_lo
	v_cmpx_eq_u64_e64 s[2:3], v[0:1]
	s_cbranch_execz .LBB89_167
; %bb.114:
	s_and_b32 s0, s0, 15
	s_mov_b32 s1, 0
	s_delay_alu instid0(SALU_CYCLE_1) | instskip(NEXT) | instid1(VALU_DEP_1)
	v_cmp_lt_i64_e64 s2, s[0:1], 8
	s_and_b32 vcc_lo, exec_lo, s2
	s_mov_b32 s2, -1
	s_cbranch_vccnz .LBB89_141
; %bb.115:
	v_cmp_lt_i64_e64 s2, s[0:1], 12
	s_delay_alu instid0(VALU_DEP_1)
	s_and_b32 vcc_lo, exec_lo, s2
	s_mov_b32 s2, -1
	s_cbranch_vccnz .LBB89_128
; %bb.116:
	v_cmp_lt_i64_e64 s2, s[0:1], 14
	s_delay_alu instid0(VALU_DEP_1)
	s_and_b32 vcc_lo, exec_lo, s2
	s_mov_b32 s2, -1
	s_cbranch_vccnz .LBB89_122
; %bb.117:
	v_cmp_gt_i64_e64 s2, s[0:1], 14
	s_delay_alu instid0(VALU_DEP_1)
	s_and_b32 vcc_lo, exec_lo, s2
	s_mov_b32 s2, -1
	s_cbranch_vccz .LBB89_119
; %bb.118:
	v_mov_b32_e32 v0, 0
	s_mov_b32 s2, 0
	global_store_b64 v0, v[32:33], s[14:15]
.LBB89_119:
	s_and_not1_b32 vcc_lo, exec_lo, s2
	s_cbranch_vccnz .LBB89_121
; %bb.120:
	v_mov_b32_e32 v0, 0
	global_store_b64 v0, v[30:31], s[14:15]
.LBB89_121:
	s_mov_b32 s2, 0
.LBB89_122:
	s_delay_alu instid0(SALU_CYCLE_1)
	s_and_not1_b32 vcc_lo, exec_lo, s2
	s_cbranch_vccnz .LBB89_127
; %bb.123:
	v_cmp_gt_i64_e64 s2, s[0:1], 12
	s_delay_alu instid0(VALU_DEP_1)
	s_and_b32 vcc_lo, exec_lo, s2
	s_mov_b32 s2, -1
	s_cbranch_vccz .LBB89_125
; %bb.124:
	v_mov_b32_e32 v0, 0
	s_mov_b32 s2, 0
	global_store_b64 v0, v[28:29], s[14:15]
.LBB89_125:
	s_and_not1_b32 vcc_lo, exec_lo, s2
	s_cbranch_vccnz .LBB89_127
; %bb.126:
	v_mov_b32_e32 v0, 0
	global_store_b64 v0, v[26:27], s[14:15]
.LBB89_127:
	s_mov_b32 s2, 0
.LBB89_128:
	s_delay_alu instid0(SALU_CYCLE_1)
	s_and_not1_b32 vcc_lo, exec_lo, s2
	s_cbranch_vccnz .LBB89_140
; %bb.129:
	v_cmp_lt_i64_e64 s2, s[0:1], 10
	s_delay_alu instid0(VALU_DEP_1)
	s_and_b32 vcc_lo, exec_lo, s2
	s_mov_b32 s2, -1
	s_cbranch_vccnz .LBB89_135
; %bb.130:
	v_cmp_gt_i64_e64 s2, s[0:1], 10
	s_delay_alu instid0(VALU_DEP_1)
	s_and_b32 vcc_lo, exec_lo, s2
	s_mov_b32 s2, -1
	s_cbranch_vccz .LBB89_132
; %bb.131:
	v_mov_b32_e32 v0, 0
	s_mov_b32 s2, 0
	global_store_b64 v0, v[24:25], s[14:15]
.LBB89_132:
	s_and_not1_b32 vcc_lo, exec_lo, s2
	s_cbranch_vccnz .LBB89_134
; %bb.133:
	v_mov_b32_e32 v0, 0
	global_store_b64 v0, v[22:23], s[14:15]
.LBB89_134:
	s_mov_b32 s2, 0
.LBB89_135:
	s_delay_alu instid0(SALU_CYCLE_1)
	s_and_not1_b32 vcc_lo, exec_lo, s2
	s_cbranch_vccnz .LBB89_140
; %bb.136:
	v_cmp_gt_i64_e64 s2, s[0:1], 8
	s_delay_alu instid0(VALU_DEP_1)
	s_and_b32 vcc_lo, exec_lo, s2
	s_mov_b32 s2, -1
	s_cbranch_vccz .LBB89_138
; %bb.137:
	v_mov_b32_e32 v0, 0
	s_mov_b32 s2, 0
	global_store_b64 v0, v[20:21], s[14:15]
.LBB89_138:
	s_and_not1_b32 vcc_lo, exec_lo, s2
	s_cbranch_vccnz .LBB89_140
; %bb.139:
	v_mov_b32_e32 v0, 0
	global_store_b64 v0, v[18:19], s[14:15]
.LBB89_140:
	s_mov_b32 s2, 0
.LBB89_141:
	s_delay_alu instid0(SALU_CYCLE_1)
	s_and_not1_b32 vcc_lo, exec_lo, s2
	s_cbranch_vccnz .LBB89_167
; %bb.142:
	v_cmp_lt_i64_e64 s2, s[0:1], 4
	s_delay_alu instid0(VALU_DEP_1)
	s_and_b32 vcc_lo, exec_lo, s2
	s_mov_b32 s2, -1
	s_cbranch_vccnz .LBB89_155
; %bb.143:
	v_cmp_lt_i64_e64 s2, s[0:1], 6
	s_delay_alu instid0(VALU_DEP_1)
	s_and_b32 vcc_lo, exec_lo, s2
	s_mov_b32 s2, -1
	s_cbranch_vccnz .LBB89_149
; %bb.144:
	v_cmp_gt_i64_e64 s2, s[0:1], 6
	s_delay_alu instid0(VALU_DEP_1)
	s_and_b32 vcc_lo, exec_lo, s2
	s_mov_b32 s2, -1
	s_cbranch_vccz .LBB89_146
; %bb.145:
	v_mov_b32_e32 v0, 0
	s_mov_b32 s2, 0
	global_store_b64 v0, v[16:17], s[14:15]
.LBB89_146:
	s_and_not1_b32 vcc_lo, exec_lo, s2
	s_cbranch_vccnz .LBB89_148
; %bb.147:
	v_mov_b32_e32 v0, 0
	global_store_b64 v0, v[14:15], s[14:15]
.LBB89_148:
	s_mov_b32 s2, 0
.LBB89_149:
	s_delay_alu instid0(SALU_CYCLE_1)
	s_and_not1_b32 vcc_lo, exec_lo, s2
	s_cbranch_vccnz .LBB89_154
; %bb.150:
	v_cmp_gt_i64_e64 s2, s[0:1], 4
	s_delay_alu instid0(VALU_DEP_1)
	s_and_b32 vcc_lo, exec_lo, s2
	s_mov_b32 s2, -1
	s_cbranch_vccz .LBB89_152
; %bb.151:
	v_mov_b32_e32 v0, 0
	s_mov_b32 s2, 0
	global_store_b64 v0, v[12:13], s[14:15]
.LBB89_152:
	s_and_not1_b32 vcc_lo, exec_lo, s2
	s_cbranch_vccnz .LBB89_154
; %bb.153:
	v_mov_b32_e32 v0, 0
	global_store_b64 v0, v[10:11], s[14:15]
.LBB89_154:
	s_mov_b32 s2, 0
.LBB89_155:
	s_delay_alu instid0(SALU_CYCLE_1)
	s_and_not1_b32 vcc_lo, exec_lo, s2
	s_cbranch_vccnz .LBB89_167
; %bb.156:
	v_cmp_lt_i64_e64 s2, s[0:1], 2
	s_delay_alu instid0(VALU_DEP_1)
	s_and_b32 vcc_lo, exec_lo, s2
	s_mov_b32 s2, -1
	s_cbranch_vccnz .LBB89_162
; %bb.157:
	v_cmp_gt_i64_e64 s2, s[0:1], 2
	s_delay_alu instid0(VALU_DEP_1)
	s_and_b32 vcc_lo, exec_lo, s2
	s_mov_b32 s2, -1
	s_cbranch_vccz .LBB89_159
; %bb.158:
	v_mov_b32_e32 v0, 0
	s_mov_b32 s2, 0
	global_store_b64 v0, v[8:9], s[14:15]
.LBB89_159:
	s_and_not1_b32 vcc_lo, exec_lo, s2
	s_cbranch_vccnz .LBB89_161
; %bb.160:
	v_mov_b32_e32 v0, 0
	global_store_b64 v0, v[6:7], s[14:15]
.LBB89_161:
	s_mov_b32 s2, 0
.LBB89_162:
	s_delay_alu instid0(SALU_CYCLE_1)
	s_and_not1_b32 vcc_lo, exec_lo, s2
	s_cbranch_vccnz .LBB89_167
; %bb.163:
	s_cmp_eq_u64 s[0:1], 1
	s_mov_b32 s0, -1
	s_cbranch_scc1 .LBB89_165
; %bb.164:
	v_mov_b32_e32 v0, 0
	s_mov_b32 s0, 0
	global_store_b64 v0, v[4:5], s[14:15]
.LBB89_165:
	s_and_not1_b32 vcc_lo, exec_lo, s0
	s_cbranch_vccnz .LBB89_167
; %bb.166:
	v_mov_b32_e32 v0, 0
	global_store_b64 v0, v[2:3], s[14:15]
.LBB89_167:
	s_nop 0
	s_sendmsg sendmsg(MSG_DEALLOC_VGPRS)
	s_endpgm
.LBB89_168:
	global_load_b64 v[33:34], v[35:36], off
	v_dual_mov_b32 v1, s36 :: v_dual_mov_b32 v2, s37
	v_dual_mov_b32 v3, s38 :: v_dual_mov_b32 v4, s39
	;; [unrolled: 1-line block ×16, first 2 shown]
	s_or_b32 exec_lo, exec_lo, s3
	s_delay_alu instid0(SALU_CYCLE_1)
	s_mov_b32 s2, exec_lo
	v_cmpx_gt_u32_e64 s18, v79
	s_cbranch_execz .LBB89_5
.LBB89_169:
	global_load_b64 v[3:4], v[35:36], off offset:2048
	s_or_b32 exec_lo, exec_lo, s2
	s_delay_alu instid0(SALU_CYCLE_1)
	s_mov_b32 s2, exec_lo
	v_cmpx_gt_u32_e64 s18, v78
	s_cbranch_execz .LBB89_6
.LBB89_170:
	v_add_co_u32 v1, vcc_lo, 0x1000, v35
	v_add_co_ci_u32_e32 v2, vcc_lo, 0, v36, vcc_lo
	global_load_b64 v[5:6], v[1:2], off
	s_or_b32 exec_lo, exec_lo, s2
	s_delay_alu instid0(SALU_CYCLE_1)
	s_mov_b32 s2, exec_lo
	v_cmpx_gt_u32_e64 s18, v77
	s_cbranch_execz .LBB89_7
.LBB89_171:
	v_add_co_u32 v1, vcc_lo, 0x1000, v35
	v_add_co_ci_u32_e32 v2, vcc_lo, 0, v36, vcc_lo
	global_load_b64 v[7:8], v[1:2], off offset:2048
	s_or_b32 exec_lo, exec_lo, s2
	s_delay_alu instid0(SALU_CYCLE_1)
	s_mov_b32 s2, exec_lo
	v_cmpx_gt_u32_e64 s18, v76
	s_cbranch_execz .LBB89_8
.LBB89_172:
	v_add_co_u32 v1, vcc_lo, 0x2000, v35
	v_add_co_ci_u32_e32 v2, vcc_lo, 0, v36, vcc_lo
	global_load_b64 v[9:10], v[1:2], off
	s_or_b32 exec_lo, exec_lo, s2
	s_delay_alu instid0(SALU_CYCLE_1)
	s_mov_b32 s2, exec_lo
	v_cmpx_gt_u32_e64 s18, v75
	s_cbranch_execz .LBB89_9
.LBB89_173:
	v_add_co_u32 v1, vcc_lo, 0x2000, v35
	v_add_co_ci_u32_e32 v2, vcc_lo, 0, v36, vcc_lo
	global_load_b64 v[11:12], v[1:2], off offset:2048
	s_or_b32 exec_lo, exec_lo, s2
	s_delay_alu instid0(SALU_CYCLE_1)
	s_mov_b32 s2, exec_lo
	v_cmpx_gt_u32_e64 s18, v74
	s_cbranch_execz .LBB89_10
.LBB89_174:
	v_add_co_u32 v1, vcc_lo, 0x3000, v35
	v_add_co_ci_u32_e32 v2, vcc_lo, 0, v36, vcc_lo
	global_load_b64 v[13:14], v[1:2], off
	s_or_b32 exec_lo, exec_lo, s2
	s_delay_alu instid0(SALU_CYCLE_1)
	s_mov_b32 s2, exec_lo
	v_cmpx_gt_u32_e64 s18, v73
	s_cbranch_execz .LBB89_11
.LBB89_175:
	v_add_co_u32 v1, vcc_lo, 0x3000, v35
	v_add_co_ci_u32_e32 v2, vcc_lo, 0, v36, vcc_lo
	global_load_b64 v[15:16], v[1:2], off offset:2048
	s_or_b32 exec_lo, exec_lo, s2
	s_delay_alu instid0(SALU_CYCLE_1)
	s_mov_b32 s2, exec_lo
	v_cmpx_gt_u32_e64 s18, v72
	s_cbranch_execz .LBB89_12
.LBB89_176:
	v_add_co_u32 v1, vcc_lo, 0x4000, v35
	v_add_co_ci_u32_e32 v2, vcc_lo, 0, v36, vcc_lo
	global_load_b64 v[17:18], v[1:2], off
	s_or_b32 exec_lo, exec_lo, s2
	s_delay_alu instid0(SALU_CYCLE_1)
	s_mov_b32 s2, exec_lo
	v_cmpx_gt_u32_e64 s18, v71
	s_cbranch_execz .LBB89_13
.LBB89_177:
	v_add_co_u32 v1, vcc_lo, 0x4000, v35
	v_add_co_ci_u32_e32 v2, vcc_lo, 0, v36, vcc_lo
	global_load_b64 v[19:20], v[1:2], off offset:2048
	s_or_b32 exec_lo, exec_lo, s2
	s_delay_alu instid0(SALU_CYCLE_1)
	s_mov_b32 s2, exec_lo
	v_cmpx_gt_u32_e64 s18, v70
	s_cbranch_execz .LBB89_14
.LBB89_178:
	v_add_co_u32 v1, vcc_lo, 0x5000, v35
	v_add_co_ci_u32_e32 v2, vcc_lo, 0, v36, vcc_lo
	global_load_b64 v[21:22], v[1:2], off
	s_or_b32 exec_lo, exec_lo, s2
	s_delay_alu instid0(SALU_CYCLE_1)
	s_mov_b32 s2, exec_lo
	v_cmpx_gt_u32_e64 s18, v69
	s_cbranch_execz .LBB89_15
.LBB89_179:
	v_add_co_u32 v1, vcc_lo, 0x5000, v35
	v_add_co_ci_u32_e32 v2, vcc_lo, 0, v36, vcc_lo
	global_load_b64 v[23:24], v[1:2], off offset:2048
	s_or_b32 exec_lo, exec_lo, s2
	s_delay_alu instid0(SALU_CYCLE_1)
	s_mov_b32 s2, exec_lo
	v_cmpx_gt_u32_e64 s18, v68
	s_cbranch_execz .LBB89_16
.LBB89_180:
	v_add_co_u32 v1, vcc_lo, 0x6000, v35
	v_add_co_ci_u32_e32 v2, vcc_lo, 0, v36, vcc_lo
	global_load_b64 v[25:26], v[1:2], off
	s_or_b32 exec_lo, exec_lo, s2
	s_delay_alu instid0(SALU_CYCLE_1)
	s_mov_b32 s2, exec_lo
	v_cmpx_gt_u32_e64 s18, v67
	s_cbranch_execz .LBB89_17
.LBB89_181:
	v_add_co_u32 v1, vcc_lo, 0x6000, v35
	v_add_co_ci_u32_e32 v2, vcc_lo, 0, v36, vcc_lo
	global_load_b64 v[27:28], v[1:2], off offset:2048
	s_or_b32 exec_lo, exec_lo, s2
	s_delay_alu instid0(SALU_CYCLE_1)
	s_mov_b32 s2, exec_lo
	v_cmpx_gt_u32_e64 s18, v66
	s_cbranch_execz .LBB89_18
.LBB89_182:
	v_add_co_u32 v1, vcc_lo, 0x7000, v35
	v_add_co_ci_u32_e32 v2, vcc_lo, 0, v36, vcc_lo
	global_load_b64 v[29:30], v[1:2], off
	s_or_b32 exec_lo, exec_lo, s2
	s_delay_alu instid0(SALU_CYCLE_1)
	s_mov_b32 s2, exec_lo
	v_cmpx_gt_u32_e64 s18, v65
	s_cbranch_execnz .LBB89_19
	s_branch .LBB89_20
.LBB89_183:
	s_waitcnt lgkmcnt(15)
	global_store_b64 v[34:35], v[4:5], off
	s_or_b32 exec_lo, exec_lo, s2
	s_delay_alu instid0(SALU_CYCLE_1)
	s_mov_b32 s2, exec_lo
	v_cmpx_gt_u32_e64 s18, v79
	s_cbranch_execz .LBB89_97
.LBB89_184:
	s_waitcnt lgkmcnt(14)
	global_store_b64 v[34:35], v[2:3], off offset:2048
	s_or_b32 exec_lo, exec_lo, s2
	s_delay_alu instid0(SALU_CYCLE_1)
	s_mov_b32 s2, exec_lo
	v_cmpx_gt_u32_e64 s18, v78
	s_cbranch_execz .LBB89_98
.LBB89_185:
	v_add_co_u32 v36, vcc_lo, 0x1000, v34
	v_add_co_ci_u32_e32 v37, vcc_lo, 0, v35, vcc_lo
	s_waitcnt lgkmcnt(13)
	global_store_b64 v[36:37], v[6:7], off
	s_or_b32 exec_lo, exec_lo, s2
	s_delay_alu instid0(SALU_CYCLE_1)
	s_mov_b32 s2, exec_lo
	v_cmpx_gt_u32_e64 s18, v77
	s_cbranch_execz .LBB89_99
.LBB89_186:
	v_add_co_u32 v36, vcc_lo, 0x1000, v34
	v_add_co_ci_u32_e32 v37, vcc_lo, 0, v35, vcc_lo
	s_waitcnt lgkmcnt(12)
	global_store_b64 v[36:37], v[8:9], off offset:2048
	s_or_b32 exec_lo, exec_lo, s2
	s_delay_alu instid0(SALU_CYCLE_1)
	s_mov_b32 s2, exec_lo
	v_cmpx_gt_u32_e64 s18, v76
	s_cbranch_execz .LBB89_100
.LBB89_187:
	v_add_co_u32 v36, vcc_lo, 0x2000, v34
	v_add_co_ci_u32_e32 v37, vcc_lo, 0, v35, vcc_lo
	s_waitcnt lgkmcnt(11)
	global_store_b64 v[36:37], v[10:11], off
	s_or_b32 exec_lo, exec_lo, s2
	s_delay_alu instid0(SALU_CYCLE_1)
	s_mov_b32 s2, exec_lo
	v_cmpx_gt_u32_e64 s18, v75
	s_cbranch_execz .LBB89_101
.LBB89_188:
	v_add_co_u32 v36, vcc_lo, 0x2000, v34
	v_add_co_ci_u32_e32 v37, vcc_lo, 0, v35, vcc_lo
	s_waitcnt lgkmcnt(10)
	global_store_b64 v[36:37], v[12:13], off offset:2048
	s_or_b32 exec_lo, exec_lo, s2
	s_delay_alu instid0(SALU_CYCLE_1)
	s_mov_b32 s2, exec_lo
	v_cmpx_gt_u32_e64 s18, v74
	s_cbranch_execz .LBB89_102
.LBB89_189:
	v_add_co_u32 v36, vcc_lo, 0x3000, v34
	v_add_co_ci_u32_e32 v37, vcc_lo, 0, v35, vcc_lo
	s_waitcnt lgkmcnt(9)
	global_store_b64 v[36:37], v[14:15], off
	s_or_b32 exec_lo, exec_lo, s2
	s_delay_alu instid0(SALU_CYCLE_1)
	s_mov_b32 s2, exec_lo
	v_cmpx_gt_u32_e64 s18, v73
	s_cbranch_execz .LBB89_103
.LBB89_190:
	v_add_co_u32 v36, vcc_lo, 0x3000, v34
	v_add_co_ci_u32_e32 v37, vcc_lo, 0, v35, vcc_lo
	s_waitcnt lgkmcnt(8)
	global_store_b64 v[36:37], v[16:17], off offset:2048
	s_or_b32 exec_lo, exec_lo, s2
	s_delay_alu instid0(SALU_CYCLE_1)
	s_mov_b32 s2, exec_lo
	v_cmpx_gt_u32_e64 s18, v72
	s_cbranch_execz .LBB89_104
.LBB89_191:
	v_add_co_u32 v36, vcc_lo, 0x4000, v34
	v_add_co_ci_u32_e32 v37, vcc_lo, 0, v35, vcc_lo
	s_waitcnt lgkmcnt(7)
	global_store_b64 v[36:37], v[18:19], off
	s_or_b32 exec_lo, exec_lo, s2
	s_delay_alu instid0(SALU_CYCLE_1)
	s_mov_b32 s2, exec_lo
	v_cmpx_gt_u32_e64 s18, v71
	s_cbranch_execz .LBB89_105
.LBB89_192:
	v_add_co_u32 v36, vcc_lo, 0x4000, v34
	v_add_co_ci_u32_e32 v37, vcc_lo, 0, v35, vcc_lo
	s_waitcnt lgkmcnt(6)
	global_store_b64 v[36:37], v[20:21], off offset:2048
	s_or_b32 exec_lo, exec_lo, s2
	s_delay_alu instid0(SALU_CYCLE_1)
	s_mov_b32 s2, exec_lo
	v_cmpx_gt_u32_e64 s18, v70
	s_cbranch_execz .LBB89_106
.LBB89_193:
	v_add_co_u32 v36, vcc_lo, 0x5000, v34
	v_add_co_ci_u32_e32 v37, vcc_lo, 0, v35, vcc_lo
	s_waitcnt lgkmcnt(5)
	global_store_b64 v[36:37], v[22:23], off
	s_or_b32 exec_lo, exec_lo, s2
	s_delay_alu instid0(SALU_CYCLE_1)
	s_mov_b32 s2, exec_lo
	v_cmpx_gt_u32_e64 s18, v69
	s_cbranch_execz .LBB89_107
.LBB89_194:
	v_add_co_u32 v36, vcc_lo, 0x5000, v34
	v_add_co_ci_u32_e32 v37, vcc_lo, 0, v35, vcc_lo
	s_waitcnt lgkmcnt(4)
	global_store_b64 v[36:37], v[24:25], off offset:2048
	s_or_b32 exec_lo, exec_lo, s2
	s_delay_alu instid0(SALU_CYCLE_1)
	s_mov_b32 s2, exec_lo
	v_cmpx_gt_u32_e64 s18, v68
	s_cbranch_execz .LBB89_108
.LBB89_195:
	v_add_co_u32 v36, vcc_lo, 0x6000, v34
	v_add_co_ci_u32_e32 v37, vcc_lo, 0, v35, vcc_lo
	s_waitcnt lgkmcnt(3)
	global_store_b64 v[36:37], v[26:27], off
	s_or_b32 exec_lo, exec_lo, s2
	s_delay_alu instid0(SALU_CYCLE_1)
	s_mov_b32 s2, exec_lo
	v_cmpx_gt_u32_e64 s18, v67
	s_cbranch_execz .LBB89_109
.LBB89_196:
	v_add_co_u32 v36, vcc_lo, 0x6000, v34
	v_add_co_ci_u32_e32 v37, vcc_lo, 0, v35, vcc_lo
	s_waitcnt lgkmcnt(2)
	global_store_b64 v[36:37], v[28:29], off offset:2048
	s_or_b32 exec_lo, exec_lo, s2
	s_delay_alu instid0(SALU_CYCLE_1)
	s_mov_b32 s2, exec_lo
	v_cmpx_gt_u32_e64 s18, v66
	s_cbranch_execz .LBB89_110
.LBB89_197:
	v_add_co_u32 v36, vcc_lo, 0x7000, v34
	v_add_co_ci_u32_e32 v37, vcc_lo, 0, v35, vcc_lo
	s_waitcnt lgkmcnt(1)
	global_store_b64 v[36:37], v[30:31], off
	s_or_b32 exec_lo, exec_lo, s2
	s_delay_alu instid0(SALU_CYCLE_1)
	s_mov_b32 s2, exec_lo
	v_cmpx_gt_u32_e64 s18, v65
	s_cbranch_execnz .LBB89_111
	s_branch .LBB89_112
	.section	.rodata,"a",@progbits
	.p2align	6, 0x0
	.amdhsa_kernel _ZN7rocprim6detail20lookback_scan_kernelILNS0_25lookback_scan_determinismE0ELb1ENS0_19wrapped_scan_configINS_14default_configEmEEPmS6_N6hipcub3SumEmmNS0_19lookback_scan_stateImLb0ELb1EEEEEvT2_T3_mT5_T4_T7_jPT6_SH_bb
		.amdhsa_group_segment_fixed_size 33792
		.amdhsa_private_segment_fixed_size 0
		.amdhsa_kernarg_size 76
		.amdhsa_user_sgpr_count 15
		.amdhsa_user_sgpr_dispatch_ptr 0
		.amdhsa_user_sgpr_queue_ptr 0
		.amdhsa_user_sgpr_kernarg_segment_ptr 1
		.amdhsa_user_sgpr_dispatch_id 0
		.amdhsa_user_sgpr_private_segment_size 0
		.amdhsa_wavefront_size32 1
		.amdhsa_uses_dynamic_stack 0
		.amdhsa_enable_private_segment 0
		.amdhsa_system_sgpr_workgroup_id_x 1
		.amdhsa_system_sgpr_workgroup_id_y 0
		.amdhsa_system_sgpr_workgroup_id_z 0
		.amdhsa_system_sgpr_workgroup_info 0
		.amdhsa_system_vgpr_workitem_id 0
		.amdhsa_next_free_vgpr 96
		.amdhsa_next_free_sgpr 68
		.amdhsa_reserve_vcc 1
		.amdhsa_float_round_mode_32 0
		.amdhsa_float_round_mode_16_64 0
		.amdhsa_float_denorm_mode_32 3
		.amdhsa_float_denorm_mode_16_64 3
		.amdhsa_dx10_clamp 1
		.amdhsa_ieee_mode 1
		.amdhsa_fp16_overflow 0
		.amdhsa_workgroup_processor_mode 1
		.amdhsa_memory_ordered 1
		.amdhsa_forward_progress 0
		.amdhsa_shared_vgpr_count 0
		.amdhsa_exception_fp_ieee_invalid_op 0
		.amdhsa_exception_fp_denorm_src 0
		.amdhsa_exception_fp_ieee_div_zero 0
		.amdhsa_exception_fp_ieee_overflow 0
		.amdhsa_exception_fp_ieee_underflow 0
		.amdhsa_exception_fp_ieee_inexact 0
		.amdhsa_exception_int_div_zero 0
	.end_amdhsa_kernel
	.section	.text._ZN7rocprim6detail20lookback_scan_kernelILNS0_25lookback_scan_determinismE0ELb1ENS0_19wrapped_scan_configINS_14default_configEmEEPmS6_N6hipcub3SumEmmNS0_19lookback_scan_stateImLb0ELb1EEEEEvT2_T3_mT5_T4_T7_jPT6_SH_bb,"axG",@progbits,_ZN7rocprim6detail20lookback_scan_kernelILNS0_25lookback_scan_determinismE0ELb1ENS0_19wrapped_scan_configINS_14default_configEmEEPmS6_N6hipcub3SumEmmNS0_19lookback_scan_stateImLb0ELb1EEEEEvT2_T3_mT5_T4_T7_jPT6_SH_bb,comdat
.Lfunc_end89:
	.size	_ZN7rocprim6detail20lookback_scan_kernelILNS0_25lookback_scan_determinismE0ELb1ENS0_19wrapped_scan_configINS_14default_configEmEEPmS6_N6hipcub3SumEmmNS0_19lookback_scan_stateImLb0ELb1EEEEEvT2_T3_mT5_T4_T7_jPT6_SH_bb, .Lfunc_end89-_ZN7rocprim6detail20lookback_scan_kernelILNS0_25lookback_scan_determinismE0ELb1ENS0_19wrapped_scan_configINS_14default_configEmEEPmS6_N6hipcub3SumEmmNS0_19lookback_scan_stateImLb0ELb1EEEEEvT2_T3_mT5_T4_T7_jPT6_SH_bb
                                        ; -- End function
	.section	.AMDGPU.csdata,"",@progbits
; Kernel info:
; codeLenInByte = 11212
; NumSgprs: 70
; NumVgprs: 96
; ScratchSize: 0
; MemoryBound: 1
; FloatMode: 240
; IeeeMode: 1
; LDSByteSize: 33792 bytes/workgroup (compile time only)
; SGPRBlocks: 8
; VGPRBlocks: 11
; NumSGPRsForWavesPerEU: 70
; NumVGPRsForWavesPerEU: 96
; Occupancy: 6
; WaveLimiterHint : 1
; COMPUTE_PGM_RSRC2:SCRATCH_EN: 0
; COMPUTE_PGM_RSRC2:USER_SGPR: 15
; COMPUTE_PGM_RSRC2:TRAP_HANDLER: 0
; COMPUTE_PGM_RSRC2:TGID_X_EN: 1
; COMPUTE_PGM_RSRC2:TGID_Y_EN: 0
; COMPUTE_PGM_RSRC2:TGID_Z_EN: 0
; COMPUTE_PGM_RSRC2:TIDIG_COMP_CNT: 0
	.section	.text._ZN7rocprim6detail18single_scan_kernelILb1ENS0_19wrapped_scan_configINS_14default_configEmEEPmS5_N6hipcub3SumEmmEEvT1_mT4_T2_T3_,"axG",@progbits,_ZN7rocprim6detail18single_scan_kernelILb1ENS0_19wrapped_scan_configINS_14default_configEmEEPmS5_N6hipcub3SumEmmEEvT1_mT4_T2_T3_,comdat
	.protected	_ZN7rocprim6detail18single_scan_kernelILb1ENS0_19wrapped_scan_configINS_14default_configEmEEPmS5_N6hipcub3SumEmmEEvT1_mT4_T2_T3_ ; -- Begin function _ZN7rocprim6detail18single_scan_kernelILb1ENS0_19wrapped_scan_configINS_14default_configEmEEPmS5_N6hipcub3SumEmmEEvT1_mT4_T2_T3_
	.globl	_ZN7rocprim6detail18single_scan_kernelILb1ENS0_19wrapped_scan_configINS_14default_configEmEEPmS5_N6hipcub3SumEmmEEvT1_mT4_T2_T3_
	.p2align	8
	.type	_ZN7rocprim6detail18single_scan_kernelILb1ENS0_19wrapped_scan_configINS_14default_configEmEEPmS5_N6hipcub3SumEmmEEvT1_mT4_T2_T3_,@function
_ZN7rocprim6detail18single_scan_kernelILb1ENS0_19wrapped_scan_configINS_14default_configEmEEPmS5_N6hipcub3SumEmmEEvT1_mT4_T2_T3_: ; @_ZN7rocprim6detail18single_scan_kernelILb1ENS0_19wrapped_scan_configINS_14default_configEmEEPmS5_N6hipcub3SumEmmEEvT1_mT4_T2_T3_
; %bb.0:
	s_load_b256 s[36:43], s[0:1], 0x0
	s_waitcnt lgkmcnt(0)
	s_load_b64 s[0:1], s[36:37], 0x0
	v_cmp_gt_u32_e32 vcc_lo, s38, v0
	s_waitcnt lgkmcnt(0)
	s_mov_b32 s2, s0
	s_mov_b32 s3, s1
	;; [unrolled: 1-line block ×30, first 2 shown]
	s_delay_alu instid0(SALU_CYCLE_1) | instskip(SKIP_2) | instid1(VALU_DEP_3)
	v_dual_mov_b32 v32, s31 :: v_dual_lshlrev_b32 v53, 3, v0
	v_dual_mov_b32 v1, s0 :: v_dual_mov_b32 v34, s1
	v_dual_mov_b32 v31, s30 :: v_dual_mov_b32 v30, s29
	v_add_co_u32 v35, s33, s36, v53
	s_delay_alu instid0(VALU_DEP_1)
	v_add_co_ci_u32_e64 v36, null, s37, 0, s33
	v_dual_mov_b32 v29, s28 :: v_dual_mov_b32 v28, s27
	v_dual_mov_b32 v27, s26 :: v_dual_mov_b32 v26, s25
	;; [unrolled: 1-line block ×14, first 2 shown]
	v_mov_b32_e32 v33, s0
	s_and_saveexec_b32 s33, vcc_lo
	s_cbranch_execz .LBB90_2
; %bb.1:
	global_load_b64 v[33:34], v[35:36], off
	v_dual_mov_b32 v32, s31 :: v_dual_mov_b32 v31, s30
	v_dual_mov_b32 v30, s29 :: v_dual_mov_b32 v29, s28
	;; [unrolled: 1-line block ×16, first 2 shown]
.LBB90_2:
	s_or_b32 exec_lo, exec_lo, s33
	v_or_b32_e32 v1, 0x100, v0
	s_delay_alu instid0(VALU_DEP_1) | instskip(NEXT) | instid1(VALU_DEP_1)
	v_cmp_gt_u32_e64 s0, s38, v1
	s_and_saveexec_b32 s1, s0
	s_cbranch_execz .LBB90_4
; %bb.3:
	global_load_b64 v[3:4], v[35:36], off offset:2048
.LBB90_4:
	s_or_b32 exec_lo, exec_lo, s1
	v_or_b32_e32 v2, 0x200, v0
	s_delay_alu instid0(VALU_DEP_1) | instskip(NEXT) | instid1(VALU_DEP_1)
	v_cmp_gt_u32_e64 s1, s38, v2
	s_and_saveexec_b32 s3, s1
	s_cbranch_execz .LBB90_6
; %bb.5:
	v_add_co_u32 v5, s2, 0x1000, v35
	s_delay_alu instid0(VALU_DEP_1)
	v_add_co_ci_u32_e64 v6, s2, 0, v36, s2
	global_load_b64 v[5:6], v[5:6], off
.LBB90_6:
	s_or_b32 exec_lo, exec_lo, s3
	v_or_b32_e32 v37, 0x300, v0
	s_delay_alu instid0(VALU_DEP_1) | instskip(NEXT) | instid1(VALU_DEP_1)
	v_cmp_gt_u32_e64 s2, s38, v37
	s_and_saveexec_b32 s4, s2
	s_cbranch_execz .LBB90_8
; %bb.7:
	v_add_co_u32 v7, s3, 0x1000, v35
	s_delay_alu instid0(VALU_DEP_1)
	v_add_co_ci_u32_e64 v8, s3, 0, v36, s3
	global_load_b64 v[7:8], v[7:8], off offset:2048
.LBB90_8:
	s_or_b32 exec_lo, exec_lo, s4
	v_or_b32_e32 v38, 0x400, v0
	s_delay_alu instid0(VALU_DEP_1) | instskip(NEXT) | instid1(VALU_DEP_1)
	v_cmp_gt_u32_e64 s3, s38, v38
	s_and_saveexec_b32 s5, s3
	s_cbranch_execz .LBB90_10
; %bb.9:
	v_add_co_u32 v9, s4, 0x2000, v35
	s_delay_alu instid0(VALU_DEP_1)
	v_add_co_ci_u32_e64 v10, s4, 0, v36, s4
	global_load_b64 v[9:10], v[9:10], off
.LBB90_10:
	s_or_b32 exec_lo, exec_lo, s5
	v_or_b32_e32 v39, 0x500, v0
	s_delay_alu instid0(VALU_DEP_1) | instskip(NEXT) | instid1(VALU_DEP_1)
	v_cmp_gt_u32_e64 s4, s38, v39
	s_and_saveexec_b32 s6, s4
	s_cbranch_execz .LBB90_12
; %bb.11:
	v_add_co_u32 v11, s5, 0x2000, v35
	s_delay_alu instid0(VALU_DEP_1)
	v_add_co_ci_u32_e64 v12, s5, 0, v36, s5
	global_load_b64 v[11:12], v[11:12], off offset:2048
.LBB90_12:
	;; [unrolled: 24-line block ×7, first 2 shown]
	s_or_b32 exec_lo, exec_lo, s16
	v_lshrrev_b32_e32 v1, 2, v1
	v_lshrrev_b32_e32 v2, 2, v2
	;; [unrolled: 1-line block ×5, first 2 shown]
	v_and_b32_e32 v1, 0x78, v1
	v_lshrrev_b32_e32 v38, 2, v39
	v_and_b32_e32 v2, 0xf8, v2
	v_and_b32_e32 v35, 56, v35
	s_mov_b32 s16, exec_lo
	v_add_nc_u32_e32 v55, v1, v53
	v_and_b32_e32 v1, 0xf8, v36
	v_add_nc_u32_e32 v56, v2, v53
	v_and_b32_e32 v2, 0x1f8, v38
	v_add_nc_u32_e32 v54, v35, v53
	s_waitcnt vmcnt(0)
	ds_store_b64 v54, v[33:34]
	ds_store_b64 v55, v[3:4] offset:2048
	v_add_nc_u32_e32 v57, v1, v53
	v_lshrrev_b32_e32 v1, 2, v40
	v_add_nc_u32_e32 v59, v2, v53
	v_lshrrev_b32_e32 v2, 2, v41
	v_lshrrev_b32_e32 v3, 2, v42
	;; [unrolled: 1-line block ×3, first 2 shown]
	v_and_b32_e32 v1, 0x1f8, v1
	v_and_b32_e32 v35, 0x1f8, v37
	ds_store_b64 v56, v[5:6] offset:4096
	v_and_b32_e32 v3, 0x3f8, v3
	v_and_b32_e32 v4, 0x3f8, v4
	v_add_nc_u32_e32 v60, v1, v53
	v_and_b32_e32 v1, 0x1f8, v2
	v_lshrrev_b32_e32 v2, 2, v44
	v_add_nc_u32_e32 v62, v3, v53
	v_lshrrev_b32_e32 v3, 2, v47
	v_add_nc_u32_e32 v63, v4, v53
	v_add_nc_u32_e32 v61, v1, v53
	v_and_b32_e32 v1, 0x3f8, v2
	v_lshrrev_b32_e32 v2, 2, v45
	v_and_b32_e32 v3, 0x3f8, v3
	v_lshrrev_b32_e32 v4, 2, v48
	v_add_nc_u32_e32 v58, v35, v53
	v_add_nc_u32_e32 v64, v1, v53
	v_and_b32_e32 v1, 0x3f8, v2
	v_lshrrev_b32_e32 v2, 2, v46
	v_add_nc_u32_e32 v67, v3, v53
	v_lshrrev_b32_e32 v3, 1, v0
	v_and_b32_e32 v4, 0x3f8, v4
	v_add_nc_u32_e32 v65, v1, v53
	v_and_b32_e32 v1, 0x3f8, v2
	v_lshrrev_b32_e32 v2, 2, v49
	ds_store_b64 v57, v[7:8] offset:6144
	ds_store_b64 v58, v[9:10] offset:8192
	v_add_nc_u32_e32 v68, v4, v53
	ds_store_b64 v59, v[11:12] offset:10240
	v_add_nc_u32_e32 v66, v1, v53
	v_and_b32_e32 v1, 0x3f8, v2
	v_lshlrev_b32_e32 v2, 4, v0
	ds_store_b64 v60, v[13:14] offset:12288
	ds_store_b64 v61, v[15:16] offset:14336
	;; [unrolled: 1-line block ×4, first 2 shown]
	v_add_nc_u32_e32 v69, v1, v53
	v_add_lshl_u32 v70, v3, v2, 3
	ds_store_b64 v64, v[21:22] offset:20480
	ds_store_b64 v65, v[23:24] offset:22528
	ds_store_b64 v66, v[25:26] offset:24576
	ds_store_b64 v67, v[27:28] offset:26624
	ds_store_b64 v68, v[29:30] offset:28672
	ds_store_b64 v69, v[31:32] offset:30720
	s_waitcnt lgkmcnt(0)
	s_barrier
	buffer_gl0_inv
	ds_load_2addr_b64 v[1:4], v70 offset1:1
	ds_load_2addr_b64 v[5:8], v70 offset0:2 offset1:3
	ds_load_2addr_b64 v[9:12], v70 offset0:4 offset1:5
	;; [unrolled: 1-line block ×6, first 2 shown]
	s_waitcnt lgkmcnt(6)
	v_add_co_u32 v13, s15, v3, v1
	s_delay_alu instid0(VALU_DEP_1) | instskip(SKIP_1) | instid1(VALU_DEP_2)
	v_add_co_ci_u32_e64 v14, s15, v4, v2, s15
	s_waitcnt lgkmcnt(5)
	v_add_co_u32 v13, s15, v13, v5
	s_delay_alu instid0(VALU_DEP_1) | instskip(NEXT) | instid1(VALU_DEP_2)
	v_add_co_ci_u32_e64 v14, s15, v14, v6, s15
	v_add_co_u32 v13, s15, v13, v7
	s_delay_alu instid0(VALU_DEP_1) | instskip(SKIP_1) | instid1(VALU_DEP_2)
	v_add_co_ci_u32_e64 v14, s15, v14, v8, s15
	s_waitcnt lgkmcnt(4)
	v_add_co_u32 v13, s15, v13, v9
	s_delay_alu instid0(VALU_DEP_1) | instskip(NEXT) | instid1(VALU_DEP_2)
	v_add_co_ci_u32_e64 v14, s15, v14, v10, s15
	v_add_co_u32 v13, s15, v13, v11
	s_delay_alu instid0(VALU_DEP_1) | instskip(SKIP_1) | instid1(VALU_DEP_2)
	v_add_co_ci_u32_e64 v14, s15, v14, v12, s15
	s_waitcnt lgkmcnt(3)
	v_add_co_u32 v13, s15, v13, v25
	s_delay_alu instid0(VALU_DEP_1) | instskip(NEXT) | instid1(VALU_DEP_2)
	v_add_co_ci_u32_e64 v14, s15, v14, v26, s15
	v_add_co_u32 v13, s15, v13, v27
	s_delay_alu instid0(VALU_DEP_1) | instskip(SKIP_1) | instid1(VALU_DEP_2)
	v_add_co_ci_u32_e64 v14, s15, v14, v28, s15
	s_waitcnt lgkmcnt(2)
	v_add_co_u32 v13, s15, v13, v29
	s_delay_alu instid0(VALU_DEP_1) | instskip(NEXT) | instid1(VALU_DEP_2)
	v_add_co_ci_u32_e64 v14, s15, v14, v30, s15
	v_add_co_u32 v33, s15, v13, v31
	s_delay_alu instid0(VALU_DEP_1) | instskip(SKIP_3) | instid1(VALU_DEP_1)
	v_add_co_ci_u32_e64 v34, s15, v14, v32, s15
	ds_load_2addr_b64 v[13:16], v70 offset0:14 offset1:15
	s_waitcnt lgkmcnt(2)
	v_add_co_u32 v33, s15, v33, v21
	v_add_co_ci_u32_e64 v34, s15, v34, v22, s15
	s_waitcnt lgkmcnt(0)
	s_delay_alu instid0(VALU_DEP_2) | instskip(NEXT) | instid1(VALU_DEP_1)
	v_add_co_u32 v33, s15, v33, v23
	v_add_co_ci_u32_e64 v34, s15, v34, v24, s15
	s_barrier
	s_delay_alu instid0(VALU_DEP_2) | instskip(NEXT) | instid1(VALU_DEP_1)
	v_add_co_u32 v33, s15, v33, v17
	v_add_co_ci_u32_e64 v34, s15, v34, v18, s15
	buffer_gl0_inv
	v_add_co_u32 v33, s15, v33, v19
	s_delay_alu instid0(VALU_DEP_1) | instskip(NEXT) | instid1(VALU_DEP_2)
	v_add_co_ci_u32_e64 v34, s15, v34, v20, s15
	v_add_co_u32 v33, s15, v33, v13
	s_delay_alu instid0(VALU_DEP_1) | instskip(NEXT) | instid1(VALU_DEP_2)
	v_add_co_ci_u32_e64 v34, s15, v34, v14, s15
	v_add_co_u32 v15, s15, v33, v15
	s_delay_alu instid0(VALU_DEP_1)
	v_add_co_ci_u32_e64 v16, s15, v34, v16, s15
	ds_store_b64 v54, v[15:16]
	s_waitcnt lgkmcnt(0)
	s_barrier
	buffer_gl0_inv
	v_cmpx_gt_u32_e32 32, v0
	s_cbranch_execz .LBB90_42
; %bb.33:
	v_lshlrev_b32_e32 v33, 1, v0
	v_mbcnt_lo_u32_b32 v72, -1, 0
	s_mov_b32 s17, exec_lo
	s_delay_alu instid0(VALU_DEP_2) | instskip(NEXT) | instid1(VALU_DEP_2)
	v_and_b32_e32 v33, 0x1f8, v33
	v_and_b32_e32 v73, 15, v72
	s_delay_alu instid0(VALU_DEP_2)
	v_lshl_or_b32 v71, v0, 6, v33
	ds_load_2addr_b64 v[33:36], v71 offset1:1
	ds_load_2addr_b64 v[37:40], v71 offset0:2 offset1:3
	ds_load_2addr_b64 v[41:44], v71 offset0:4 offset1:5
	;; [unrolled: 1-line block ×3, first 2 shown]
	s_waitcnt lgkmcnt(3)
	v_add_co_u32 v49, s15, v35, v33
	s_delay_alu instid0(VALU_DEP_1) | instskip(SKIP_1) | instid1(VALU_DEP_2)
	v_add_co_ci_u32_e64 v50, s15, v36, v34, s15
	s_waitcnt lgkmcnt(2)
	v_add_co_u32 v49, s15, v49, v37
	s_delay_alu instid0(VALU_DEP_1) | instskip(NEXT) | instid1(VALU_DEP_2)
	v_add_co_ci_u32_e64 v50, s15, v50, v38, s15
	v_add_co_u32 v49, s15, v49, v39
	s_delay_alu instid0(VALU_DEP_1) | instskip(SKIP_1) | instid1(VALU_DEP_2)
	v_add_co_ci_u32_e64 v50, s15, v50, v40, s15
	s_waitcnt lgkmcnt(1)
	v_add_co_u32 v49, s15, v49, v41
	s_delay_alu instid0(VALU_DEP_1) | instskip(NEXT) | instid1(VALU_DEP_2)
	v_add_co_ci_u32_e64 v50, s15, v50, v42, s15
	v_add_co_u32 v49, s15, v49, v43
	s_delay_alu instid0(VALU_DEP_1) | instskip(SKIP_1) | instid1(VALU_DEP_2)
	v_add_co_ci_u32_e64 v50, s15, v50, v44, s15
	s_waitcnt lgkmcnt(0)
	v_add_co_u32 v49, s15, v49, v45
	s_delay_alu instid0(VALU_DEP_1) | instskip(NEXT) | instid1(VALU_DEP_2)
	v_add_co_ci_u32_e64 v50, s15, v50, v46, s15
	v_add_co_u32 v49, s15, v49, v47
	s_delay_alu instid0(VALU_DEP_1) | instskip(NEXT) | instid1(VALU_DEP_2)
	v_add_co_ci_u32_e64 v50, s15, v50, v48, s15
	v_mov_b32_dpp v75, v49 row_shr:1 row_mask:0xf bank_mask:0xf
	s_delay_alu instid0(VALU_DEP_2)
	v_mov_b32_e32 v52, v50
	v_mov_b32_dpp v74, v50 row_shr:1 row_mask:0xf bank_mask:0xf
	v_mov_b32_e32 v51, v49
	v_cmpx_ne_u32_e32 0, v73
; %bb.34:
	v_add_co_u32 v49, s15, v49, v75
	s_delay_alu instid0(VALU_DEP_1) | instskip(NEXT) | instid1(VALU_DEP_2)
	v_add_co_ci_u32_e64 v50, s15, 0, v50, s15
	v_add_co_u32 v51, s15, 0, v49
	s_delay_alu instid0(VALU_DEP_1) | instskip(NEXT) | instid1(VALU_DEP_1)
	v_add_co_ci_u32_e64 v52, s15, v74, v50, s15
	v_mov_b32_e32 v50, v52
; %bb.35:
	s_or_b32 exec_lo, exec_lo, s17
	v_mov_b32_dpp v75, v49 row_shr:2 row_mask:0xf bank_mask:0xf
	s_delay_alu instid0(VALU_DEP_2)
	v_mov_b32_dpp v74, v50 row_shr:2 row_mask:0xf bank_mask:0xf
	s_mov_b32 s17, exec_lo
	v_cmpx_lt_u32_e32 1, v73
; %bb.36:
	s_delay_alu instid0(VALU_DEP_3) | instskip(NEXT) | instid1(VALU_DEP_1)
	v_add_co_u32 v49, s15, v51, v75
	v_add_co_ci_u32_e64 v50, s15, 0, v52, s15
	s_delay_alu instid0(VALU_DEP_2) | instskip(NEXT) | instid1(VALU_DEP_1)
	v_add_co_u32 v51, s15, 0, v49
	v_add_co_ci_u32_e64 v52, s15, v74, v50, s15
	s_delay_alu instid0(VALU_DEP_1)
	v_mov_b32_e32 v50, v52
; %bb.37:
	s_or_b32 exec_lo, exec_lo, s17
	v_mov_b32_dpp v75, v49 row_shr:4 row_mask:0xf bank_mask:0xf
	s_delay_alu instid0(VALU_DEP_2)
	v_mov_b32_dpp v74, v50 row_shr:4 row_mask:0xf bank_mask:0xf
	s_mov_b32 s17, exec_lo
	v_cmpx_lt_u32_e32 3, v73
; %bb.38:
	s_delay_alu instid0(VALU_DEP_3) | instskip(NEXT) | instid1(VALU_DEP_1)
	v_add_co_u32 v49, s15, v51, v75
	v_add_co_ci_u32_e64 v50, s15, 0, v52, s15
	s_delay_alu instid0(VALU_DEP_2) | instskip(NEXT) | instid1(VALU_DEP_1)
	v_add_co_u32 v51, s15, 0, v49
	v_add_co_ci_u32_e64 v52, s15, v74, v50, s15
	s_delay_alu instid0(VALU_DEP_1)
	;; [unrolled: 16-line block ×3, first 2 shown]
	v_mov_b32_e32 v50, v52
; %bb.41:
	s_or_b32 exec_lo, exec_lo, s17
	ds_swizzle_b32 v73, v49 offset:swizzle(BROADCAST,32,15)
	ds_swizzle_b32 v74, v50 offset:swizzle(BROADCAST,32,15)
	v_add_nc_u32_e32 v75, -1, v72
	v_and_b32_e32 v76, 16, v72
	s_delay_alu instid0(VALU_DEP_2) | instskip(NEXT) | instid1(VALU_DEP_1)
	v_cmp_gt_i32_e64 s15, 0, v75
	v_cndmask_b32_e64 v72, v75, v72, s15
	s_delay_alu instid0(VALU_DEP_1) | instskip(SKIP_2) | instid1(VALU_DEP_1)
	v_lshlrev_b32_e32 v72, 2, v72
	s_waitcnt lgkmcnt(1)
	v_add_co_u32 v51, s15, v51, v73
	v_add_co_ci_u32_e64 v52, s15, 0, v52, s15
	v_cmp_eq_u32_e64 s15, 0, v76
	s_delay_alu instid0(VALU_DEP_1) | instskip(SKIP_1) | instid1(VALU_DEP_3)
	v_cndmask_b32_e64 v49, v51, v49, s15
	s_waitcnt lgkmcnt(0)
	v_add_nc_u32_e32 v51, v74, v52
	ds_bpermute_b32 v49, v72, v49
	v_cndmask_b32_e64 v50, v51, v50, s15
	ds_bpermute_b32 v50, v72, v50
	s_waitcnt lgkmcnt(1)
	v_add_co_u32 v33, s15, v33, v49
	s_delay_alu instid0(VALU_DEP_1) | instskip(NEXT) | instid1(VALU_DEP_2)
	v_add_co_ci_u32_e64 v34, s15, 0, v34, s15
	v_add_co_u32 v33, s15, v33, 0
	s_waitcnt lgkmcnt(0)
	s_delay_alu instid0(VALU_DEP_2) | instskip(SKIP_1) | instid1(VALU_DEP_1)
	v_add_co_ci_u32_e64 v34, s15, v34, v50, s15
	v_cmp_eq_u32_e64 s15, 0, v0
	v_cndmask_b32_e64 v15, v33, v15, s15
	s_delay_alu instid0(VALU_DEP_3) | instskip(NEXT) | instid1(VALU_DEP_2)
	v_cndmask_b32_e64 v16, v34, v16, s15
	v_add_co_u32 v33, s15, v15, v35
	s_delay_alu instid0(VALU_DEP_1) | instskip(NEXT) | instid1(VALU_DEP_2)
	v_add_co_ci_u32_e64 v34, s15, v16, v36, s15
	v_add_co_u32 v35, s15, v33, v37
	s_delay_alu instid0(VALU_DEP_1) | instskip(NEXT) | instid1(VALU_DEP_2)
	v_add_co_ci_u32_e64 v36, s15, v34, v38, s15
	;; [unrolled: 3-line block ×6, first 2 shown]
	v_add_co_u32 v45, s15, v43, v47
	s_delay_alu instid0(VALU_DEP_1)
	v_add_co_ci_u32_e64 v46, s15, v44, v48, s15
	ds_store_2addr_b64 v71, v[15:16], v[33:34] offset1:1
	ds_store_2addr_b64 v71, v[35:36], v[37:38] offset0:2 offset1:3
	ds_store_2addr_b64 v71, v[39:40], v[41:42] offset0:4 offset1:5
	;; [unrolled: 1-line block ×3, first 2 shown]
.LBB90_42:
	s_or_b32 exec_lo, exec_lo, s16
	v_dual_mov_b32 v15, s40 :: v_dual_mov_b32 v16, s41
	s_mov_b32 s16, exec_lo
	s_waitcnt lgkmcnt(0)
	s_barrier
	buffer_gl0_inv
	v_cmpx_ne_u32_e32 0, v0
	s_cbranch_execz .LBB90_44
; %bb.43:
	v_add_nc_u32_e32 v0, -1, v0
	s_delay_alu instid0(VALU_DEP_1) | instskip(NEXT) | instid1(VALU_DEP_1)
	v_lshrrev_b32_e32 v15, 5, v0
	v_add_lshl_u32 v0, v15, v0, 3
	ds_load_b64 v[15:16], v0
	s_waitcnt lgkmcnt(0)
	v_add_co_u32 v15, s15, v15, s40
	s_delay_alu instid0(VALU_DEP_1)
	v_add_co_ci_u32_e64 v16, s15, s41, v16, s15
.LBB90_44:
	s_or_b32 exec_lo, exec_lo, s16
	s_delay_alu instid0(VALU_DEP_2) | instskip(NEXT) | instid1(VALU_DEP_1)
	v_add_co_u32 v0, s15, v15, v1
	v_add_co_ci_u32_e64 v1, s15, v16, v2, s15
	s_delay_alu instid0(VALU_DEP_2) | instskip(NEXT) | instid1(VALU_DEP_1)
	v_add_co_u32 v2, s15, v0, v3
	v_add_co_ci_u32_e64 v3, s15, v1, v4, s15
	s_barrier
	s_delay_alu instid0(VALU_DEP_2) | instskip(NEXT) | instid1(VALU_DEP_1)
	v_add_co_u32 v4, s15, v2, v5
	v_add_co_ci_u32_e64 v5, s15, v3, v6, s15
	buffer_gl0_inv
	v_add_co_u32 v6, s15, v4, v7
	s_delay_alu instid0(VALU_DEP_1) | instskip(SKIP_3) | instid1(VALU_DEP_1)
	v_add_co_ci_u32_e64 v7, s15, v5, v8, s15
	ds_store_2addr_b64 v70, v[15:16], v[0:1] offset1:1
	ds_store_2addr_b64 v70, v[2:3], v[4:5] offset0:2 offset1:3
	v_add_co_u32 v8, s15, v6, v9
	v_add_co_ci_u32_e64 v9, s15, v7, v10, s15
	s_delay_alu instid0(VALU_DEP_2) | instskip(NEXT) | instid1(VALU_DEP_1)
	v_add_co_u32 v10, s15, v8, v11
	v_add_co_ci_u32_e64 v11, s15, v9, v12, s15
	s_delay_alu instid0(VALU_DEP_2) | instskip(NEXT) | instid1(VALU_DEP_1)
	;; [unrolled: 3-line block ×10, first 2 shown]
	v_add_co_u32 v0, s15, v19, v13
	v_add_co_ci_u32_e64 v1, s15, v20, v14, s15
	ds_store_2addr_b64 v70, v[6:7], v[8:9] offset0:4 offset1:5
	ds_store_2addr_b64 v70, v[10:11], v[25:26] offset0:6 offset1:7
	;; [unrolled: 1-line block ×6, first 2 shown]
	s_waitcnt lgkmcnt(0)
	s_barrier
	buffer_gl0_inv
	ds_load_b64 v[30:31], v55 offset:2048
	ds_load_b64 v[28:29], v56 offset:4096
	;; [unrolled: 1-line block ×15, first 2 shown]
	v_add_co_u32 v2, s15, s42, v53
	s_delay_alu instid0(VALU_DEP_1)
	v_add_co_ci_u32_e64 v3, null, s43, 0, s15
	s_and_saveexec_b32 s15, vcc_lo
	s_cbranch_execnz .LBB90_61
; %bb.45:
	s_or_b32 exec_lo, exec_lo, s15
	s_and_saveexec_b32 s15, s0
	s_cbranch_execnz .LBB90_62
.LBB90_46:
	s_or_b32 exec_lo, exec_lo, s15
	s_and_saveexec_b32 s0, s1
	s_cbranch_execnz .LBB90_63
.LBB90_47:
	s_or_b32 exec_lo, exec_lo, s0
	s_and_saveexec_b32 s0, s2
	s_cbranch_execnz .LBB90_64
.LBB90_48:
	s_or_b32 exec_lo, exec_lo, s0
	s_and_saveexec_b32 s0, s3
	s_cbranch_execnz .LBB90_65
.LBB90_49:
	s_or_b32 exec_lo, exec_lo, s0
	s_and_saveexec_b32 s0, s4
	s_cbranch_execnz .LBB90_66
.LBB90_50:
	s_or_b32 exec_lo, exec_lo, s0
	s_and_saveexec_b32 s0, s5
	s_cbranch_execnz .LBB90_67
.LBB90_51:
	s_or_b32 exec_lo, exec_lo, s0
	s_and_saveexec_b32 s0, s6
	s_cbranch_execnz .LBB90_68
.LBB90_52:
	s_or_b32 exec_lo, exec_lo, s0
	s_and_saveexec_b32 s0, s7
	s_cbranch_execnz .LBB90_69
.LBB90_53:
	s_or_b32 exec_lo, exec_lo, s0
	s_and_saveexec_b32 s0, s8
	s_cbranch_execnz .LBB90_70
.LBB90_54:
	s_or_b32 exec_lo, exec_lo, s0
	s_and_saveexec_b32 s0, s9
	s_cbranch_execnz .LBB90_71
.LBB90_55:
	s_or_b32 exec_lo, exec_lo, s0
	s_and_saveexec_b32 s0, s10
	s_cbranch_execnz .LBB90_72
.LBB90_56:
	s_or_b32 exec_lo, exec_lo, s0
	s_and_saveexec_b32 s0, s11
	s_cbranch_execnz .LBB90_73
.LBB90_57:
	s_or_b32 exec_lo, exec_lo, s0
	s_and_saveexec_b32 s0, s12
	s_cbranch_execnz .LBB90_74
.LBB90_58:
	s_or_b32 exec_lo, exec_lo, s0
	s_and_saveexec_b32 s0, s13
	s_cbranch_execnz .LBB90_75
.LBB90_59:
	s_or_b32 exec_lo, exec_lo, s0
	s_and_saveexec_b32 s0, s14
	s_cbranch_execnz .LBB90_76
.LBB90_60:
	s_nop 0
	s_sendmsg sendmsg(MSG_DEALLOC_VGPRS)
	s_endpgm
.LBB90_61:
	ds_load_b64 v[32:33], v54
	s_waitcnt lgkmcnt(0)
	global_store_b64 v[2:3], v[32:33], off
	s_or_b32 exec_lo, exec_lo, s15
	s_and_saveexec_b32 s15, s0
	s_cbranch_execz .LBB90_46
.LBB90_62:
	s_waitcnt lgkmcnt(14)
	global_store_b64 v[2:3], v[30:31], off offset:2048
	s_or_b32 exec_lo, exec_lo, s15
	s_and_saveexec_b32 s0, s1
	s_cbranch_execz .LBB90_47
.LBB90_63:
	s_waitcnt lgkmcnt(14)
	v_add_co_u32 v30, vcc_lo, 0x1000, v2
	v_add_co_ci_u32_e32 v31, vcc_lo, 0, v3, vcc_lo
	s_waitcnt lgkmcnt(13)
	global_store_b64 v[30:31], v[28:29], off
	s_or_b32 exec_lo, exec_lo, s0
	s_and_saveexec_b32 s0, s2
	s_cbranch_execz .LBB90_48
.LBB90_64:
	s_waitcnt lgkmcnt(13)
	v_add_co_u32 v28, vcc_lo, 0x1000, v2
	v_add_co_ci_u32_e32 v29, vcc_lo, 0, v3, vcc_lo
	s_waitcnt lgkmcnt(12)
	global_store_b64 v[28:29], v[26:27], off offset:2048
	s_or_b32 exec_lo, exec_lo, s0
	s_and_saveexec_b32 s0, s3
	s_cbranch_execz .LBB90_49
.LBB90_65:
	s_waitcnt lgkmcnt(12)
	v_add_co_u32 v26, vcc_lo, 0x2000, v2
	v_add_co_ci_u32_e32 v27, vcc_lo, 0, v3, vcc_lo
	s_waitcnt lgkmcnt(11)
	global_store_b64 v[26:27], v[24:25], off
	s_or_b32 exec_lo, exec_lo, s0
	s_and_saveexec_b32 s0, s4
	s_cbranch_execz .LBB90_50
.LBB90_66:
	s_waitcnt lgkmcnt(11)
	v_add_co_u32 v24, vcc_lo, 0x2000, v2
	v_add_co_ci_u32_e32 v25, vcc_lo, 0, v3, vcc_lo
	s_waitcnt lgkmcnt(10)
	global_store_b64 v[24:25], v[22:23], off offset:2048
	s_or_b32 exec_lo, exec_lo, s0
	s_and_saveexec_b32 s0, s5
	s_cbranch_execz .LBB90_51
.LBB90_67:
	s_waitcnt lgkmcnt(10)
	v_add_co_u32 v22, vcc_lo, 0x3000, v2
	v_add_co_ci_u32_e32 v23, vcc_lo, 0, v3, vcc_lo
	s_waitcnt lgkmcnt(9)
	global_store_b64 v[22:23], v[20:21], off
	s_or_b32 exec_lo, exec_lo, s0
	s_and_saveexec_b32 s0, s6
	s_cbranch_execz .LBB90_52
.LBB90_68:
	s_waitcnt lgkmcnt(9)
	v_add_co_u32 v20, vcc_lo, 0x3000, v2
	v_add_co_ci_u32_e32 v21, vcc_lo, 0, v3, vcc_lo
	s_waitcnt lgkmcnt(8)
	global_store_b64 v[20:21], v[18:19], off offset:2048
	s_or_b32 exec_lo, exec_lo, s0
	s_and_saveexec_b32 s0, s7
	s_cbranch_execz .LBB90_53
.LBB90_69:
	s_waitcnt lgkmcnt(8)
	v_add_co_u32 v18, vcc_lo, 0x4000, v2
	v_add_co_ci_u32_e32 v19, vcc_lo, 0, v3, vcc_lo
	s_waitcnt lgkmcnt(7)
	global_store_b64 v[18:19], v[16:17], off
	s_or_b32 exec_lo, exec_lo, s0
	s_and_saveexec_b32 s0, s8
	s_cbranch_execz .LBB90_54
.LBB90_70:
	s_waitcnt lgkmcnt(7)
	v_add_co_u32 v16, vcc_lo, 0x4000, v2
	v_add_co_ci_u32_e32 v17, vcc_lo, 0, v3, vcc_lo
	s_waitcnt lgkmcnt(6)
	global_store_b64 v[16:17], v[14:15], off offset:2048
	s_or_b32 exec_lo, exec_lo, s0
	s_and_saveexec_b32 s0, s9
	s_cbranch_execz .LBB90_55
.LBB90_71:
	s_waitcnt lgkmcnt(6)
	v_add_co_u32 v14, vcc_lo, 0x5000, v2
	v_add_co_ci_u32_e32 v15, vcc_lo, 0, v3, vcc_lo
	s_waitcnt lgkmcnt(5)
	global_store_b64 v[14:15], v[12:13], off
	s_or_b32 exec_lo, exec_lo, s0
	s_and_saveexec_b32 s0, s10
	s_cbranch_execz .LBB90_56
.LBB90_72:
	s_waitcnt lgkmcnt(5)
	v_add_co_u32 v12, vcc_lo, 0x5000, v2
	v_add_co_ci_u32_e32 v13, vcc_lo, 0, v3, vcc_lo
	s_waitcnt lgkmcnt(4)
	global_store_b64 v[12:13], v[10:11], off offset:2048
	s_or_b32 exec_lo, exec_lo, s0
	s_and_saveexec_b32 s0, s11
	s_cbranch_execz .LBB90_57
.LBB90_73:
	s_waitcnt lgkmcnt(4)
	v_add_co_u32 v10, vcc_lo, 0x6000, v2
	v_add_co_ci_u32_e32 v11, vcc_lo, 0, v3, vcc_lo
	s_waitcnt lgkmcnt(3)
	global_store_b64 v[10:11], v[8:9], off
	s_or_b32 exec_lo, exec_lo, s0
	s_and_saveexec_b32 s0, s12
	s_cbranch_execz .LBB90_58
.LBB90_74:
	s_waitcnt lgkmcnt(3)
	v_add_co_u32 v8, vcc_lo, 0x6000, v2
	v_add_co_ci_u32_e32 v9, vcc_lo, 0, v3, vcc_lo
	s_waitcnt lgkmcnt(2)
	global_store_b64 v[8:9], v[6:7], off offset:2048
	s_or_b32 exec_lo, exec_lo, s0
	s_and_saveexec_b32 s0, s13
	s_cbranch_execz .LBB90_59
.LBB90_75:
	s_waitcnt lgkmcnt(2)
	v_add_co_u32 v6, vcc_lo, 0x7000, v2
	v_add_co_ci_u32_e32 v7, vcc_lo, 0, v3, vcc_lo
	s_waitcnt lgkmcnt(1)
	global_store_b64 v[6:7], v[4:5], off
	s_or_b32 exec_lo, exec_lo, s0
	s_and_saveexec_b32 s0, s14
	s_cbranch_execz .LBB90_60
.LBB90_76:
	v_add_co_u32 v2, vcc_lo, 0x7000, v2
	v_add_co_ci_u32_e32 v3, vcc_lo, 0, v3, vcc_lo
	s_waitcnt lgkmcnt(0)
	global_store_b64 v[2:3], v[0:1], off offset:2048
	s_nop 0
	s_sendmsg sendmsg(MSG_DEALLOC_VGPRS)
	s_endpgm
	.section	.rodata,"a",@progbits
	.p2align	6, 0x0
	.amdhsa_kernel _ZN7rocprim6detail18single_scan_kernelILb1ENS0_19wrapped_scan_configINS_14default_configEmEEPmS5_N6hipcub3SumEmmEEvT1_mT4_T2_T3_
		.amdhsa_group_segment_fixed_size 33792
		.amdhsa_private_segment_fixed_size 0
		.amdhsa_kernarg_size 36
		.amdhsa_user_sgpr_count 15
		.amdhsa_user_sgpr_dispatch_ptr 0
		.amdhsa_user_sgpr_queue_ptr 0
		.amdhsa_user_sgpr_kernarg_segment_ptr 1
		.amdhsa_user_sgpr_dispatch_id 0
		.amdhsa_user_sgpr_private_segment_size 0
		.amdhsa_wavefront_size32 1
		.amdhsa_uses_dynamic_stack 0
		.amdhsa_enable_private_segment 0
		.amdhsa_system_sgpr_workgroup_id_x 1
		.amdhsa_system_sgpr_workgroup_id_y 0
		.amdhsa_system_sgpr_workgroup_id_z 0
		.amdhsa_system_sgpr_workgroup_info 0
		.amdhsa_system_vgpr_workitem_id 0
		.amdhsa_next_free_vgpr 77
		.amdhsa_next_free_sgpr 44
		.amdhsa_reserve_vcc 1
		.amdhsa_float_round_mode_32 0
		.amdhsa_float_round_mode_16_64 0
		.amdhsa_float_denorm_mode_32 3
		.amdhsa_float_denorm_mode_16_64 3
		.amdhsa_dx10_clamp 1
		.amdhsa_ieee_mode 1
		.amdhsa_fp16_overflow 0
		.amdhsa_workgroup_processor_mode 1
		.amdhsa_memory_ordered 1
		.amdhsa_forward_progress 0
		.amdhsa_shared_vgpr_count 0
		.amdhsa_exception_fp_ieee_invalid_op 0
		.amdhsa_exception_fp_denorm_src 0
		.amdhsa_exception_fp_ieee_div_zero 0
		.amdhsa_exception_fp_ieee_overflow 0
		.amdhsa_exception_fp_ieee_underflow 0
		.amdhsa_exception_fp_ieee_inexact 0
		.amdhsa_exception_int_div_zero 0
	.end_amdhsa_kernel
	.section	.text._ZN7rocprim6detail18single_scan_kernelILb1ENS0_19wrapped_scan_configINS_14default_configEmEEPmS5_N6hipcub3SumEmmEEvT1_mT4_T2_T3_,"axG",@progbits,_ZN7rocprim6detail18single_scan_kernelILb1ENS0_19wrapped_scan_configINS_14default_configEmEEPmS5_N6hipcub3SumEmmEEvT1_mT4_T2_T3_,comdat
.Lfunc_end90:
	.size	_ZN7rocprim6detail18single_scan_kernelILb1ENS0_19wrapped_scan_configINS_14default_configEmEEPmS5_N6hipcub3SumEmmEEvT1_mT4_T2_T3_, .Lfunc_end90-_ZN7rocprim6detail18single_scan_kernelILb1ENS0_19wrapped_scan_configINS_14default_configEmEEPmS5_N6hipcub3SumEmmEEvT1_mT4_T2_T3_
                                        ; -- End function
	.section	.AMDGPU.csdata,"",@progbits
; Kernel info:
; codeLenInByte = 4664
; NumSgprs: 46
; NumVgprs: 77
; ScratchSize: 0
; MemoryBound: 1
; FloatMode: 240
; IeeeMode: 1
; LDSByteSize: 33792 bytes/workgroup (compile time only)
; SGPRBlocks: 5
; VGPRBlocks: 9
; NumSGPRsForWavesPerEU: 46
; NumVGPRsForWavesPerEU: 77
; Occupancy: 6
; WaveLimiterHint : 0
; COMPUTE_PGM_RSRC2:SCRATCH_EN: 0
; COMPUTE_PGM_RSRC2:USER_SGPR: 15
; COMPUTE_PGM_RSRC2:TRAP_HANDLER: 0
; COMPUTE_PGM_RSRC2:TGID_X_EN: 1
; COMPUTE_PGM_RSRC2:TGID_Y_EN: 0
; COMPUTE_PGM_RSRC2:TGID_Z_EN: 0
; COMPUTE_PGM_RSRC2:TIDIG_COMP_CNT: 0
	.section	.text._ZN7rocprim6detail20lookback_scan_kernelILNS0_25lookback_scan_determinismE0ELb1ENS0_19wrapped_scan_configINS_14default_configEyEEPyS6_N6hipcub3MinEyyNS0_19lookback_scan_stateIyLb1ELb1EEEEEvT2_T3_mT5_T4_T7_jPT6_SH_bb,"axG",@progbits,_ZN7rocprim6detail20lookback_scan_kernelILNS0_25lookback_scan_determinismE0ELb1ENS0_19wrapped_scan_configINS_14default_configEyEEPyS6_N6hipcub3MinEyyNS0_19lookback_scan_stateIyLb1ELb1EEEEEvT2_T3_mT5_T4_T7_jPT6_SH_bb,comdat
	.protected	_ZN7rocprim6detail20lookback_scan_kernelILNS0_25lookback_scan_determinismE0ELb1ENS0_19wrapped_scan_configINS_14default_configEyEEPyS6_N6hipcub3MinEyyNS0_19lookback_scan_stateIyLb1ELb1EEEEEvT2_T3_mT5_T4_T7_jPT6_SH_bb ; -- Begin function _ZN7rocprim6detail20lookback_scan_kernelILNS0_25lookback_scan_determinismE0ELb1ENS0_19wrapped_scan_configINS_14default_configEyEEPyS6_N6hipcub3MinEyyNS0_19lookback_scan_stateIyLb1ELb1EEEEEvT2_T3_mT5_T4_T7_jPT6_SH_bb
	.globl	_ZN7rocprim6detail20lookback_scan_kernelILNS0_25lookback_scan_determinismE0ELb1ENS0_19wrapped_scan_configINS_14default_configEyEEPyS6_N6hipcub3MinEyyNS0_19lookback_scan_stateIyLb1ELb1EEEEEvT2_T3_mT5_T4_T7_jPT6_SH_bb
	.p2align	8
	.type	_ZN7rocprim6detail20lookback_scan_kernelILNS0_25lookback_scan_determinismE0ELb1ENS0_19wrapped_scan_configINS_14default_configEyEEPyS6_N6hipcub3MinEyyNS0_19lookback_scan_stateIyLb1ELb1EEEEEvT2_T3_mT5_T4_T7_jPT6_SH_bb,@function
_ZN7rocprim6detail20lookback_scan_kernelILNS0_25lookback_scan_determinismE0ELb1ENS0_19wrapped_scan_configINS_14default_configEyEEPyS6_N6hipcub3MinEyyNS0_19lookback_scan_stateIyLb1ELb1EEEEEvT2_T3_mT5_T4_T7_jPT6_SH_bb: ; @_ZN7rocprim6detail20lookback_scan_kernelILNS0_25lookback_scan_determinismE0ELb1ENS0_19wrapped_scan_configINS_14default_configEyEEPyS6_N6hipcub3MinEyyNS0_19lookback_scan_stateIyLb1ELb1EEEEEvT2_T3_mT5_T4_T7_jPT6_SH_bb
; %bb.0:
	s_endpgm
	.section	.rodata,"a",@progbits
	.p2align	6, 0x0
	.amdhsa_kernel _ZN7rocprim6detail20lookback_scan_kernelILNS0_25lookback_scan_determinismE0ELb1ENS0_19wrapped_scan_configINS_14default_configEyEEPyS6_N6hipcub3MinEyyNS0_19lookback_scan_stateIyLb1ELb1EEEEEvT2_T3_mT5_T4_T7_jPT6_SH_bb
		.amdhsa_group_segment_fixed_size 0
		.amdhsa_private_segment_fixed_size 0
		.amdhsa_kernarg_size 76
		.amdhsa_user_sgpr_count 15
		.amdhsa_user_sgpr_dispatch_ptr 0
		.amdhsa_user_sgpr_queue_ptr 0
		.amdhsa_user_sgpr_kernarg_segment_ptr 1
		.amdhsa_user_sgpr_dispatch_id 0
		.amdhsa_user_sgpr_private_segment_size 0
		.amdhsa_wavefront_size32 1
		.amdhsa_uses_dynamic_stack 0
		.amdhsa_enable_private_segment 0
		.amdhsa_system_sgpr_workgroup_id_x 1
		.amdhsa_system_sgpr_workgroup_id_y 0
		.amdhsa_system_sgpr_workgroup_id_z 0
		.amdhsa_system_sgpr_workgroup_info 0
		.amdhsa_system_vgpr_workitem_id 0
		.amdhsa_next_free_vgpr 1
		.amdhsa_next_free_sgpr 1
		.amdhsa_reserve_vcc 0
		.amdhsa_float_round_mode_32 0
		.amdhsa_float_round_mode_16_64 0
		.amdhsa_float_denorm_mode_32 3
		.amdhsa_float_denorm_mode_16_64 3
		.amdhsa_dx10_clamp 1
		.amdhsa_ieee_mode 1
		.amdhsa_fp16_overflow 0
		.amdhsa_workgroup_processor_mode 1
		.amdhsa_memory_ordered 1
		.amdhsa_forward_progress 0
		.amdhsa_shared_vgpr_count 0
		.amdhsa_exception_fp_ieee_invalid_op 0
		.amdhsa_exception_fp_denorm_src 0
		.amdhsa_exception_fp_ieee_div_zero 0
		.amdhsa_exception_fp_ieee_overflow 0
		.amdhsa_exception_fp_ieee_underflow 0
		.amdhsa_exception_fp_ieee_inexact 0
		.amdhsa_exception_int_div_zero 0
	.end_amdhsa_kernel
	.section	.text._ZN7rocprim6detail20lookback_scan_kernelILNS0_25lookback_scan_determinismE0ELb1ENS0_19wrapped_scan_configINS_14default_configEyEEPyS6_N6hipcub3MinEyyNS0_19lookback_scan_stateIyLb1ELb1EEEEEvT2_T3_mT5_T4_T7_jPT6_SH_bb,"axG",@progbits,_ZN7rocprim6detail20lookback_scan_kernelILNS0_25lookback_scan_determinismE0ELb1ENS0_19wrapped_scan_configINS_14default_configEyEEPyS6_N6hipcub3MinEyyNS0_19lookback_scan_stateIyLb1ELb1EEEEEvT2_T3_mT5_T4_T7_jPT6_SH_bb,comdat
.Lfunc_end91:
	.size	_ZN7rocprim6detail20lookback_scan_kernelILNS0_25lookback_scan_determinismE0ELb1ENS0_19wrapped_scan_configINS_14default_configEyEEPyS6_N6hipcub3MinEyyNS0_19lookback_scan_stateIyLb1ELb1EEEEEvT2_T3_mT5_T4_T7_jPT6_SH_bb, .Lfunc_end91-_ZN7rocprim6detail20lookback_scan_kernelILNS0_25lookback_scan_determinismE0ELb1ENS0_19wrapped_scan_configINS_14default_configEyEEPyS6_N6hipcub3MinEyyNS0_19lookback_scan_stateIyLb1ELb1EEEEEvT2_T3_mT5_T4_T7_jPT6_SH_bb
                                        ; -- End function
	.section	.AMDGPU.csdata,"",@progbits
; Kernel info:
; codeLenInByte = 4
; NumSgprs: 0
; NumVgprs: 0
; ScratchSize: 0
; MemoryBound: 0
; FloatMode: 240
; IeeeMode: 1
; LDSByteSize: 0 bytes/workgroup (compile time only)
; SGPRBlocks: 0
; VGPRBlocks: 0
; NumSGPRsForWavesPerEU: 1
; NumVGPRsForWavesPerEU: 1
; Occupancy: 16
; WaveLimiterHint : 0
; COMPUTE_PGM_RSRC2:SCRATCH_EN: 0
; COMPUTE_PGM_RSRC2:USER_SGPR: 15
; COMPUTE_PGM_RSRC2:TRAP_HANDLER: 0
; COMPUTE_PGM_RSRC2:TGID_X_EN: 1
; COMPUTE_PGM_RSRC2:TGID_Y_EN: 0
; COMPUTE_PGM_RSRC2:TGID_Z_EN: 0
; COMPUTE_PGM_RSRC2:TIDIG_COMP_CNT: 0
	.section	.text._ZN7rocprim6detail20lookback_scan_kernelILNS0_25lookback_scan_determinismE0ELb1ENS0_19wrapped_scan_configINS_14default_configEyEEPyS6_N6hipcub3MinEyyNS0_19lookback_scan_stateIyLb0ELb1EEEEEvT2_T3_mT5_T4_T7_jPT6_SH_bb,"axG",@progbits,_ZN7rocprim6detail20lookback_scan_kernelILNS0_25lookback_scan_determinismE0ELb1ENS0_19wrapped_scan_configINS_14default_configEyEEPyS6_N6hipcub3MinEyyNS0_19lookback_scan_stateIyLb0ELb1EEEEEvT2_T3_mT5_T4_T7_jPT6_SH_bb,comdat
	.protected	_ZN7rocprim6detail20lookback_scan_kernelILNS0_25lookback_scan_determinismE0ELb1ENS0_19wrapped_scan_configINS_14default_configEyEEPyS6_N6hipcub3MinEyyNS0_19lookback_scan_stateIyLb0ELb1EEEEEvT2_T3_mT5_T4_T7_jPT6_SH_bb ; -- Begin function _ZN7rocprim6detail20lookback_scan_kernelILNS0_25lookback_scan_determinismE0ELb1ENS0_19wrapped_scan_configINS_14default_configEyEEPyS6_N6hipcub3MinEyyNS0_19lookback_scan_stateIyLb0ELb1EEEEEvT2_T3_mT5_T4_T7_jPT6_SH_bb
	.globl	_ZN7rocprim6detail20lookback_scan_kernelILNS0_25lookback_scan_determinismE0ELb1ENS0_19wrapped_scan_configINS_14default_configEyEEPyS6_N6hipcub3MinEyyNS0_19lookback_scan_stateIyLb0ELb1EEEEEvT2_T3_mT5_T4_T7_jPT6_SH_bb
	.p2align	8
	.type	_ZN7rocprim6detail20lookback_scan_kernelILNS0_25lookback_scan_determinismE0ELb1ENS0_19wrapped_scan_configINS_14default_configEyEEPyS6_N6hipcub3MinEyyNS0_19lookback_scan_stateIyLb0ELb1EEEEEvT2_T3_mT5_T4_T7_jPT6_SH_bb,@function
_ZN7rocprim6detail20lookback_scan_kernelILNS0_25lookback_scan_determinismE0ELb1ENS0_19wrapped_scan_configINS_14default_configEyEEPyS6_N6hipcub3MinEyyNS0_19lookback_scan_stateIyLb0ELb1EEEEEvT2_T3_mT5_T4_T7_jPT6_SH_bb: ; @_ZN7rocprim6detail20lookback_scan_kernelILNS0_25lookback_scan_determinismE0ELb1ENS0_19wrapped_scan_configINS_14default_configEyEEPyS6_N6hipcub3MinEyyNS0_19lookback_scan_stateIyLb0ELb1EEEEEvT2_T3_mT5_T4_T7_jPT6_SH_bb
; %bb.0:
	s_clause 0x1
	s_load_b32 s12, s[0:1], 0x30
	s_load_b256 s[4:11], s[0:1], 0x0
	s_lshl_b32 s2, s15, 12
	s_mov_b32 s3, 0
	v_lshlrev_b32_e32 v80, 3, v0
	v_lshrrev_b32_e32 v37, 2, v0
	v_or_b32_e32 v79, 0x100, v0
	v_or_b32_e32 v78, 0x200, v0
	;; [unrolled: 1-line block ×14, first 2 shown]
	s_waitcnt lgkmcnt(0)
	s_add_i32 s12, s12, -1
	v_or_b32_e32 v65, 0xf00, v0
	s_lshl_b32 s13, s12, 12
	s_delay_alu instid0(SALU_CYCLE_1)
	s_sub_u32 s18, s8, s13
	s_subb_u32 s19, s9, 0
	s_cmp_lg_u32 s15, s12
	s_cselect_b32 s20, -1, 0
	s_lshl_b64 s[8:9], s[2:3], 3
	s_mov_b32 s3, -1
	s_add_u32 s12, s4, s8
	s_addc_u32 s13, s5, s9
	s_and_b32 vcc_lo, exec_lo, s20
	s_cbranch_vccz .LBB92_2
; %bb.1:
	v_add_co_u32 v27, s2, s12, v80
	s_delay_alu instid0(VALU_DEP_1)
	v_add_co_ci_u32_e64 v28, null, s13, 0, s2
	s_clause 0x1
	global_load_b64 v[1:2], v80, s[12:13]
	global_load_b64 v[3:4], v80, s[12:13] offset:2048
	v_add_co_u32 v5, vcc_lo, 0x1000, v27
	v_add_co_ci_u32_e32 v6, vcc_lo, 0, v28, vcc_lo
	v_add_co_u32 v7, vcc_lo, v27, 0x2000
	v_add_co_ci_u32_e32 v8, vcc_lo, 0, v28, vcc_lo
	v_add_co_u32 v9, vcc_lo, 0x2000, v27
	v_add_co_ci_u32_e32 v10, vcc_lo, 0, v28, vcc_lo
	v_add_co_u32 v11, vcc_lo, 0x3000, v27
	v_add_co_ci_u32_e32 v12, vcc_lo, 0, v28, vcc_lo
	v_add_co_u32 v13, vcc_lo, v27, 0x4000
	v_add_co_ci_u32_e32 v14, vcc_lo, 0, v28, vcc_lo
	v_add_co_u32 v15, vcc_lo, 0x4000, v27
	v_add_co_ci_u32_e32 v16, vcc_lo, 0, v28, vcc_lo
	v_add_co_u32 v21, vcc_lo, 0x5000, v27
	v_add_co_ci_u32_e32 v22, vcc_lo, 0, v28, vcc_lo
	v_add_co_u32 v23, vcc_lo, v27, 0x6000
	v_add_co_ci_u32_e32 v24, vcc_lo, 0, v28, vcc_lo
	v_add_co_u32 v25, vcc_lo, 0x6000, v27
	v_add_co_ci_u32_e32 v26, vcc_lo, 0, v28, vcc_lo
	v_add_co_u32 v27, vcc_lo, 0x7000, v27
	v_add_co_ci_u32_e32 v28, vcc_lo, 0, v28, vcc_lo
	s_clause 0xd
	global_load_b64 v[17:18], v[7:8], off offset:-4096
	global_load_b64 v[7:8], v[7:8], off
	global_load_b64 v[19:20], v[13:14], off offset:-4096
	global_load_b64 v[13:14], v[13:14], off
	global_load_b64 v[5:6], v[5:6], off offset:2048
	global_load_b64 v[9:10], v[9:10], off offset:2048
	;; [unrolled: 1-line block ×4, first 2 shown]
	global_load_b64 v[29:30], v[23:24], off offset:-4096
	global_load_b64 v[21:22], v[21:22], off offset:2048
	global_load_b64 v[23:24], v[23:24], off
	global_load_b64 v[25:26], v[25:26], off offset:2048
	global_load_b64 v[31:32], v[27:28], off
	global_load_b64 v[27:28], v[27:28], off offset:2048
	v_lshrrev_b32_e32 v34, 2, v79
	v_lshrrev_b32_e32 v35, 2, v78
	;; [unrolled: 1-line block ×4, first 2 shown]
	v_and_b32_e32 v33, 56, v37
	v_lshrrev_b32_e32 v39, 2, v75
	v_lshrrev_b32_e32 v40, 2, v74
	;; [unrolled: 1-line block ×11, first 2 shown]
	v_and_b32_e32 v34, 0x78, v34
	v_and_b32_e32 v35, 0xb8, v35
	;; [unrolled: 1-line block ×4, first 2 shown]
	v_add_nc_u32_e32 v33, v33, v80
	v_and_b32_e32 v39, 0x178, v39
	v_and_b32_e32 v40, 0x1b8, v40
	;; [unrolled: 1-line block ×11, first 2 shown]
	v_add_nc_u32_e32 v34, v34, v80
	v_add_nc_u32_e32 v35, v35, v80
	;; [unrolled: 1-line block ×4, first 2 shown]
	s_mov_b32 s3, 0
	v_add_nc_u32_e32 v39, v39, v80
	v_add_nc_u32_e32 v40, v40, v80
	;; [unrolled: 1-line block ×11, first 2 shown]
	s_waitcnt vmcnt(15)
	ds_store_b64 v33, v[1:2]
	s_waitcnt vmcnt(14)
	ds_store_b64 v34, v[3:4] offset:2048
	s_waitcnt vmcnt(13)
	ds_store_b64 v35, v[17:18] offset:4096
	;; [unrolled: 2-line block ×3, first 2 shown]
	ds_store_b64 v38, v[7:8] offset:8192
	s_waitcnt vmcnt(8)
	ds_store_b64 v39, v[9:10] offset:10240
	ds_store_b64 v40, v[19:20] offset:12288
	s_waitcnt vmcnt(7)
	ds_store_b64 v41, v[11:12] offset:14336
	;; [unrolled: 3-line block ×3, first 2 shown]
	s_waitcnt vmcnt(5)
	ds_store_b64 v44, v[29:30] offset:20480
	s_waitcnt vmcnt(4)
	ds_store_b64 v45, v[21:22] offset:22528
	s_waitcnt vmcnt(3)
	ds_store_b64 v46, v[23:24] offset:24576
	s_waitcnt vmcnt(2)
	ds_store_b64 v47, v[25:26] offset:26624
	s_waitcnt vmcnt(1)
	ds_store_b64 v48, v[31:32] offset:28672
	s_waitcnt vmcnt(0)
	ds_store_b64 v49, v[27:28] offset:30720
	s_waitcnt lgkmcnt(0)
	s_barrier
.LBB92_2:
	v_cmp_gt_u32_e64 s2, s18, v0
	s_and_not1_b32 vcc_lo, exec_lo, s3
	s_cbranch_vccnz .LBB92_21
; %bb.3:
	s_load_b64 s[36:37], s[12:13], 0x0
	v_add_co_u32 v35, s3, s12, v80
	s_delay_alu instid0(VALU_DEP_1)
	v_add_co_ci_u32_e64 v36, null, s13, 0, s3
	s_waitcnt lgkmcnt(0)
	s_mov_b32 s38, s36
	s_mov_b32 s39, s37
	;; [unrolled: 1-line block ×30, first 2 shown]
	v_dual_mov_b32 v1, s36 :: v_dual_mov_b32 v2, s37
	v_dual_mov_b32 v3, s38 :: v_dual_mov_b32 v4, s39
	;; [unrolled: 1-line block ×17, first 2 shown]
	s_and_saveexec_b32 s3, s2
	s_cbranch_execnz .LBB92_172
; %bb.4:
	s_or_b32 exec_lo, exec_lo, s3
	s_delay_alu instid0(SALU_CYCLE_1)
	s_mov_b32 s2, exec_lo
	v_cmpx_gt_u32_e64 s18, v79
	s_cbranch_execnz .LBB92_173
.LBB92_5:
	s_or_b32 exec_lo, exec_lo, s2
	s_delay_alu instid0(SALU_CYCLE_1)
	s_mov_b32 s2, exec_lo
	v_cmpx_gt_u32_e64 s18, v78
	s_cbranch_execnz .LBB92_174
.LBB92_6:
	s_or_b32 exec_lo, exec_lo, s2
	s_delay_alu instid0(SALU_CYCLE_1)
	s_mov_b32 s2, exec_lo
	v_cmpx_gt_u32_e64 s18, v77
	s_cbranch_execnz .LBB92_175
.LBB92_7:
	s_or_b32 exec_lo, exec_lo, s2
	s_delay_alu instid0(SALU_CYCLE_1)
	s_mov_b32 s2, exec_lo
	v_cmpx_gt_u32_e64 s18, v76
	s_cbranch_execnz .LBB92_176
.LBB92_8:
	s_or_b32 exec_lo, exec_lo, s2
	s_delay_alu instid0(SALU_CYCLE_1)
	s_mov_b32 s2, exec_lo
	v_cmpx_gt_u32_e64 s18, v75
	s_cbranch_execnz .LBB92_177
.LBB92_9:
	s_or_b32 exec_lo, exec_lo, s2
	s_delay_alu instid0(SALU_CYCLE_1)
	s_mov_b32 s2, exec_lo
	v_cmpx_gt_u32_e64 s18, v74
	s_cbranch_execnz .LBB92_178
.LBB92_10:
	s_or_b32 exec_lo, exec_lo, s2
	s_delay_alu instid0(SALU_CYCLE_1)
	s_mov_b32 s2, exec_lo
	v_cmpx_gt_u32_e64 s18, v73
	s_cbranch_execnz .LBB92_179
.LBB92_11:
	s_or_b32 exec_lo, exec_lo, s2
	s_delay_alu instid0(SALU_CYCLE_1)
	s_mov_b32 s2, exec_lo
	v_cmpx_gt_u32_e64 s18, v72
	s_cbranch_execnz .LBB92_180
.LBB92_12:
	s_or_b32 exec_lo, exec_lo, s2
	s_delay_alu instid0(SALU_CYCLE_1)
	s_mov_b32 s2, exec_lo
	v_cmpx_gt_u32_e64 s18, v71
	s_cbranch_execnz .LBB92_181
.LBB92_13:
	s_or_b32 exec_lo, exec_lo, s2
	s_delay_alu instid0(SALU_CYCLE_1)
	s_mov_b32 s2, exec_lo
	v_cmpx_gt_u32_e64 s18, v70
	s_cbranch_execnz .LBB92_182
.LBB92_14:
	s_or_b32 exec_lo, exec_lo, s2
	s_delay_alu instid0(SALU_CYCLE_1)
	s_mov_b32 s2, exec_lo
	v_cmpx_gt_u32_e64 s18, v69
	s_cbranch_execnz .LBB92_183
.LBB92_15:
	s_or_b32 exec_lo, exec_lo, s2
	s_delay_alu instid0(SALU_CYCLE_1)
	s_mov_b32 s2, exec_lo
	v_cmpx_gt_u32_e64 s18, v68
	s_cbranch_execnz .LBB92_184
.LBB92_16:
	s_or_b32 exec_lo, exec_lo, s2
	s_delay_alu instid0(SALU_CYCLE_1)
	s_mov_b32 s2, exec_lo
	v_cmpx_gt_u32_e64 s18, v67
	s_cbranch_execnz .LBB92_185
.LBB92_17:
	s_or_b32 exec_lo, exec_lo, s2
	s_delay_alu instid0(SALU_CYCLE_1)
	s_mov_b32 s2, exec_lo
	v_cmpx_gt_u32_e64 s18, v66
	s_cbranch_execnz .LBB92_186
.LBB92_18:
	s_or_b32 exec_lo, exec_lo, s2
	s_delay_alu instid0(SALU_CYCLE_1)
	s_mov_b32 s2, exec_lo
	v_cmpx_gt_u32_e64 s18, v65
	s_cbranch_execz .LBB92_20
.LBB92_19:
	v_add_co_u32 v1, vcc_lo, 0x7000, v35
	v_add_co_ci_u32_e32 v2, vcc_lo, 0, v36, vcc_lo
	global_load_b64 v[31:32], v[1:2], off offset:2048
.LBB92_20:
	s_or_b32 exec_lo, exec_lo, s2
	v_lshrrev_b32_e32 v1, 2, v79
	v_lshrrev_b32_e32 v2, 2, v78
	;; [unrolled: 1-line block ×3, first 2 shown]
	v_and_b32_e32 v36, 56, v37
	v_lshrrev_b32_e32 v37, 2, v76
	v_and_b32_e32 v1, 0x78, v1
	v_and_b32_e32 v2, 0xf8, v2
	;; [unrolled: 1-line block ×3, first 2 shown]
	v_lshrrev_b32_e32 v38, 2, v75
	v_add_nc_u32_e32 v36, v36, v80
	v_add_nc_u32_e32 v1, v1, v80
	v_lshrrev_b32_e32 v39, 2, v74
	v_add_nc_u32_e32 v2, v2, v80
	v_lshrrev_b32_e32 v40, 2, v73
	v_add_nc_u32_e32 v35, v35, v80
	v_and_b32_e32 v37, 0x1f8, v37
	v_and_b32_e32 v38, 0x1f8, v38
	s_waitcnt vmcnt(0)
	ds_store_b64 v36, v[33:34]
	ds_store_b64 v1, v[3:4] offset:2048
	ds_store_b64 v2, v[5:6] offset:4096
	;; [unrolled: 1-line block ×3, first 2 shown]
	v_lshrrev_b32_e32 v5, 2, v72
	v_and_b32_e32 v3, 0x1f8, v39
	v_lshrrev_b32_e32 v6, 2, v71
	v_lshrrev_b32_e32 v7, 2, v70
	v_and_b32_e32 v4, 0x1f8, v40
	v_add_nc_u32_e32 v1, v37, v80
	v_add_nc_u32_e32 v2, v38, v80
	v_and_b32_e32 v5, 0x3f8, v5
	v_add_nc_u32_e32 v3, v3, v80
	v_and_b32_e32 v6, 0x3f8, v6
	v_and_b32_e32 v7, 0x3f8, v7
	v_add_nc_u32_e32 v4, v4, v80
	ds_store_b64 v1, v[9:10] offset:8192
	ds_store_b64 v2, v[11:12] offset:10240
	;; [unrolled: 1-line block ×4, first 2 shown]
	v_lshrrev_b32_e32 v4, 2, v69
	v_add_nc_u32_e32 v1, v5, v80
	v_lshrrev_b32_e32 v5, 2, v68
	v_add_nc_u32_e32 v2, v6, v80
	v_add_nc_u32_e32 v3, v7, v80
	v_lshrrev_b32_e32 v6, 2, v67
	v_lshrrev_b32_e32 v7, 2, v66
	;; [unrolled: 1-line block ×3, first 2 shown]
	v_and_b32_e32 v4, 0x3f8, v4
	v_and_b32_e32 v5, 0x3f8, v5
	;; [unrolled: 1-line block ×5, first 2 shown]
	v_add_nc_u32_e32 v4, v4, v80
	v_add_nc_u32_e32 v5, v5, v80
	;; [unrolled: 1-line block ×5, first 2 shown]
	ds_store_b64 v1, v[17:18] offset:16384
	ds_store_b64 v2, v[19:20] offset:18432
	;; [unrolled: 1-line block ×8, first 2 shown]
	s_waitcnt lgkmcnt(0)
	s_barrier
.LBB92_21:
	v_lshlrev_b32_e32 v1, 4, v0
	v_lshrrev_b32_e32 v81, 1, v0
	s_load_b64 s[16:17], s[0:1], 0x28
	s_waitcnt lgkmcnt(0)
	buffer_gl0_inv
	v_lshrrev_b32_e32 v82, 5, v0
	v_cmp_gt_u32_e32 vcc_lo, 32, v0
	v_add_lshl_u32 v1, v81, v1, 3
	s_cmp_lg_u32 s15, 0
	ds_load_2addr_b64 v[61:64], v1 offset1:1
	ds_load_2addr_b64 v[57:60], v1 offset0:2 offset1:3
	ds_load_2addr_b64 v[49:52], v1 offset0:4 offset1:5
	;; [unrolled: 1-line block ×7, first 2 shown]
	s_waitcnt lgkmcnt(0)
	s_barrier
	buffer_gl0_inv
	v_cmp_lt_u64_e64 s2, v[61:62], v[63:64]
	s_cbranch_scc0 .LBB92_76
; %bb.22:
	s_delay_alu instid0(VALU_DEP_1) | instskip(SKIP_2) | instid1(VALU_DEP_2)
	v_cndmask_b32_e64 v2, v64, v62, s2
	v_cndmask_b32_e64 v1, v63, v61, s2
	v_add_lshl_u32 v3, v82, v0, 3
	v_cmp_lt_u64_e64 s2, v[1:2], v[57:58]
	s_delay_alu instid0(VALU_DEP_1) | instskip(SKIP_1) | instid1(VALU_DEP_1)
	v_cndmask_b32_e64 v2, v58, v2, s2
	v_cndmask_b32_e64 v1, v57, v1, s2
	v_cmp_lt_u64_e64 s2, v[1:2], v[59:60]
	s_delay_alu instid0(VALU_DEP_1) | instskip(SKIP_1) | instid1(VALU_DEP_1)
	v_cndmask_b32_e64 v2, v60, v2, s2
	v_cndmask_b32_e64 v1, v59, v1, s2
	;; [unrolled: 4-line block ×13, first 2 shown]
	v_cmp_lt_u64_e64 s2, v[1:2], v[55:56]
	s_delay_alu instid0(VALU_DEP_1)
	v_cndmask_b32_e64 v18, v56, v2, s2
	v_cndmask_b32_e64 v17, v55, v1, s2
	ds_store_b64 v3, v[17:18]
	s_waitcnt lgkmcnt(0)
	s_barrier
	buffer_gl0_inv
	s_and_saveexec_b32 s3, vcc_lo
	s_cbranch_execz .LBB92_34
; %bb.23:
	v_lshlrev_b32_e32 v1, 1, v0
	v_mbcnt_lo_u32_b32 v24, -1, 0
	s_mov_b32 s12, exec_lo
	s_delay_alu instid0(VALU_DEP_2) | instskip(NEXT) | instid1(VALU_DEP_2)
	v_and_b32_e32 v1, 0x1f8, v1
	v_and_b32_e32 v25, 15, v24
	s_delay_alu instid0(VALU_DEP_2)
	v_lshl_or_b32 v23, v0, 6, v1
	ds_load_2addr_b64 v[5:8], v23 offset1:1
	ds_load_2addr_b64 v[1:4], v23 offset0:2 offset1:3
	ds_load_2addr_b64 v[9:12], v23 offset0:4 offset1:5
	s_waitcnt lgkmcnt(2)
	v_cmp_lt_u64_e64 s2, v[5:6], v[7:8]
	s_delay_alu instid0(VALU_DEP_1) | instskip(SKIP_2) | instid1(VALU_DEP_1)
	v_cndmask_b32_e64 v14, v8, v6, s2
	v_cndmask_b32_e64 v13, v7, v5, s2
	s_waitcnt lgkmcnt(1)
	v_cmp_lt_u64_e64 s2, v[13:14], v[1:2]
	s_delay_alu instid0(VALU_DEP_1) | instskip(SKIP_1) | instid1(VALU_DEP_1)
	v_cndmask_b32_e64 v14, v2, v14, s2
	v_cndmask_b32_e64 v13, v1, v13, s2
	v_cmp_lt_u64_e64 s2, v[13:14], v[3:4]
	s_delay_alu instid0(VALU_DEP_1) | instskip(SKIP_4) | instid1(VALU_DEP_1)
	v_cndmask_b32_e64 v20, v4, v14, s2
	v_cndmask_b32_e64 v19, v3, v13, s2
	ds_load_2addr_b64 v[13:16], v23 offset0:6 offset1:7
	s_waitcnt lgkmcnt(1)
	v_cmp_lt_u64_e64 s2, v[19:20], v[9:10]
	v_cndmask_b32_e64 v20, v10, v20, s2
	v_cndmask_b32_e64 v19, v9, v19, s2
	s_delay_alu instid0(VALU_DEP_1) | instskip(NEXT) | instid1(VALU_DEP_1)
	v_cmp_lt_u64_e64 s2, v[19:20], v[11:12]
	v_cndmask_b32_e64 v20, v12, v20, s2
	v_cndmask_b32_e64 v19, v11, v19, s2
	s_waitcnt lgkmcnt(0)
	s_delay_alu instid0(VALU_DEP_1) | instskip(NEXT) | instid1(VALU_DEP_1)
	v_cmp_lt_u64_e64 s2, v[19:20], v[13:14]
	v_cndmask_b32_e64 v20, v14, v20, s2
	v_cndmask_b32_e64 v19, v13, v19, s2
	s_delay_alu instid0(VALU_DEP_1) | instskip(NEXT) | instid1(VALU_DEP_1)
	v_cmp_lt_u64_e64 s2, v[19:20], v[15:16]
	v_cndmask_b32_e64 v20, v16, v20, s2
	v_cndmask_b32_e64 v19, v15, v19, s2
	s_delay_alu instid0(VALU_DEP_2) | instskip(NEXT) | instid1(VALU_DEP_2)
	v_mov_b32_dpp v22, v20 row_shr:1 row_mask:0xf bank_mask:0xf
	v_mov_b32_dpp v21, v19 row_shr:1 row_mask:0xf bank_mask:0xf
	v_cmpx_ne_u32_e32 0, v25
; %bb.24:
	s_delay_alu instid0(VALU_DEP_2) | instskip(NEXT) | instid1(VALU_DEP_1)
	v_cmp_lt_u64_e64 s2, v[21:22], v[19:20]
	v_cndmask_b32_e64 v20, v20, v22, s2
	v_cndmask_b32_e64 v19, v19, v21, s2
; %bb.25:
	s_or_b32 exec_lo, exec_lo, s12
	s_delay_alu instid0(VALU_DEP_1) | instskip(NEXT) | instid1(VALU_DEP_3)
	v_mov_b32_dpp v21, v19 row_shr:2 row_mask:0xf bank_mask:0xf
	v_mov_b32_dpp v22, v20 row_shr:2 row_mask:0xf bank_mask:0xf
	s_mov_b32 s12, exec_lo
	v_cmpx_lt_u32_e32 1, v25
; %bb.26:
	s_delay_alu instid0(VALU_DEP_2) | instskip(NEXT) | instid1(VALU_DEP_1)
	v_cmp_lt_u64_e64 s2, v[21:22], v[19:20]
	v_cndmask_b32_e64 v20, v20, v22, s2
	v_cndmask_b32_e64 v19, v19, v21, s2
; %bb.27:
	s_or_b32 exec_lo, exec_lo, s12
	s_delay_alu instid0(VALU_DEP_1) | instskip(NEXT) | instid1(VALU_DEP_3)
	v_mov_b32_dpp v21, v19 row_shr:4 row_mask:0xf bank_mask:0xf
	v_mov_b32_dpp v22, v20 row_shr:4 row_mask:0xf bank_mask:0xf
	s_mov_b32 s12, exec_lo
	v_cmpx_lt_u32_e32 3, v25
	;; [unrolled: 12-line block ×3, first 2 shown]
; %bb.30:
	s_delay_alu instid0(VALU_DEP_2) | instskip(NEXT) | instid1(VALU_DEP_1)
	v_cmp_lt_u64_e64 s2, v[21:22], v[19:20]
	v_cndmask_b32_e64 v20, v20, v22, s2
	v_cndmask_b32_e64 v19, v19, v21, s2
; %bb.31:
	s_or_b32 exec_lo, exec_lo, s12
	ds_swizzle_b32 v21, v19 offset:swizzle(BROADCAST,32,15)
	ds_swizzle_b32 v22, v20 offset:swizzle(BROADCAST,32,15)
	v_and_b32_e32 v25, 16, v24
	s_mov_b32 s12, exec_lo
	s_delay_alu instid0(VALU_DEP_1)
	v_cmpx_ne_u32_e32 0, v25
	s_cbranch_execz .LBB92_33
; %bb.32:
	s_waitcnt lgkmcnt(0)
	v_cmp_lt_u64_e64 s2, v[21:22], v[19:20]
	s_delay_alu instid0(VALU_DEP_1)
	v_cndmask_b32_e64 v19, v19, v21, s2
	v_cndmask_b32_e64 v20, v20, v22, s2
.LBB92_33:
	s_or_b32 exec_lo, exec_lo, s12
	s_waitcnt lgkmcnt(1)
	v_add_nc_u32_e32 v21, -1, v24
	s_delay_alu instid0(VALU_DEP_1) | instskip(NEXT) | instid1(VALU_DEP_1)
	v_cmp_gt_i32_e64 s2, 0, v21
	v_cndmask_b32_e64 v21, v21, v24, s2
	s_delay_alu instid0(VALU_DEP_1) | instskip(SKIP_4) | instid1(VALU_DEP_1)
	v_lshlrev_b32_e32 v21, 2, v21
	ds_bpermute_b32 v19, v21, v19
	ds_bpermute_b32 v20, v21, v20
	s_waitcnt lgkmcnt(0)
	v_cmp_lt_u64_e64 s2, v[19:20], v[5:6]
	v_cndmask_b32_e64 v5, v5, v19, s2
	v_cndmask_b32_e64 v6, v6, v20, s2
	v_cmp_eq_u32_e64 s2, 0, v0
	s_delay_alu instid0(VALU_DEP_1) | instskip(NEXT) | instid1(VALU_DEP_4)
	v_cndmask_b32_e64 v6, v6, v18, s2
	v_cndmask_b32_e64 v5, v5, v17, s2
	s_delay_alu instid0(VALU_DEP_1) | instskip(NEXT) | instid1(VALU_DEP_1)
	v_cmp_lt_u64_e64 s2, v[5:6], v[7:8]
	v_cndmask_b32_e64 v8, v8, v6, s2
	v_cndmask_b32_e64 v7, v7, v5, s2
	s_delay_alu instid0(VALU_DEP_1) | instskip(NEXT) | instid1(VALU_DEP_1)
	v_cmp_lt_u64_e64 s2, v[7:8], v[1:2]
	;; [unrolled: 4-line block ×7, first 2 shown]
	v_cndmask_b32_e64 v16, v16, v14, s2
	v_cndmask_b32_e64 v15, v15, v13, s2
	ds_store_2addr_b64 v23, v[5:6], v[7:8] offset1:1
	ds_store_2addr_b64 v23, v[1:2], v[3:4] offset0:2 offset1:3
	ds_store_2addr_b64 v23, v[9:10], v[11:12] offset0:4 offset1:5
	;; [unrolled: 1-line block ×3, first 2 shown]
.LBB92_34:
	s_or_b32 exec_lo, exec_lo, s3
	v_cmp_eq_u32_e64 s2, 0, v0
	s_mov_b32 s12, exec_lo
	s_waitcnt lgkmcnt(0)
	s_barrier
	buffer_gl0_inv
	v_cmpx_ne_u32_e32 0, v0
	s_cbranch_execz .LBB92_36
; %bb.35:
	v_add_nc_u32_e32 v1, -1, v0
	s_delay_alu instid0(VALU_DEP_1) | instskip(NEXT) | instid1(VALU_DEP_1)
	v_lshrrev_b32_e32 v2, 5, v1
	v_add_lshl_u32 v1, v2, v1, 3
	ds_load_b64 v[17:18], v1
.LBB92_36:
	s_or_b32 exec_lo, exec_lo, s12
	s_and_saveexec_b32 s14, vcc_lo
	s_cbranch_execz .LBB92_75
; %bb.37:
	v_mov_b32_e32 v4, 0
	v_mbcnt_lo_u32_b32 v10, -1, 0
	s_mov_b32 s13, 0
	ds_load_b64 v[1:2], v4 offset:2096
	v_cmp_eq_u32_e64 s3, 0, v10
	s_delay_alu instid0(VALU_DEP_1)
	s_and_saveexec_b32 s21, s3
	s_cbranch_execz .LBB92_39
; %bb.38:
	s_add_i32 s12, s15, 32
	s_delay_alu instid0(SALU_CYCLE_1) | instskip(NEXT) | instid1(SALU_CYCLE_1)
	s_lshl_b64 s[12:13], s[12:13], 4
	s_add_u32 s12, s16, s12
	s_addc_u32 s13, s17, s13
	v_mov_b32_e32 v5, s12
	v_dual_mov_b32 v3, 1 :: v_dual_mov_b32 v6, s13
	s_waitcnt lgkmcnt(0)
	;;#ASMSTART
	global_store_dwordx4 v[5:6], v[1:4] off	
s_waitcnt vmcnt(0)
	;;#ASMEND
.LBB92_39:
	s_or_b32 exec_lo, exec_lo, s21
	v_xad_u32 v7, v10, -1, s15
	s_mov_b32 s12, exec_lo
	s_delay_alu instid0(VALU_DEP_1) | instskip(NEXT) | instid1(VALU_DEP_1)
	v_add_nc_u32_e32 v3, 32, v7
	v_lshlrev_b64 v[3:4], 4, v[3:4]
	s_delay_alu instid0(VALU_DEP_1) | instskip(NEXT) | instid1(VALU_DEP_2)
	v_add_co_u32 v8, vcc_lo, s16, v3
	v_add_co_ci_u32_e32 v9, vcc_lo, s17, v4, vcc_lo
	;;#ASMSTART
	global_load_dwordx4 v[3:6], v[8:9] off glc	
s_waitcnt vmcnt(0)
	;;#ASMEND
	v_and_b32_e32 v6, 0xff, v5
	s_delay_alu instid0(VALU_DEP_1)
	v_cmpx_eq_u16_e32 0, v6
	s_cbranch_execz .LBB92_43
; %bb.40:
	s_mov_b32 s13, 0
.LBB92_41:                              ; =>This Inner Loop Header: Depth=1
	;;#ASMSTART
	global_load_dwordx4 v[3:6], v[8:9] off glc	
s_waitcnt vmcnt(0)
	;;#ASMEND
	v_and_b32_e32 v6, 0xff, v5
	s_delay_alu instid0(VALU_DEP_1) | instskip(SKIP_1) | instid1(SALU_CYCLE_1)
	v_cmp_ne_u16_e32 vcc_lo, 0, v6
	s_or_b32 s13, vcc_lo, s13
	s_and_not1_b32 exec_lo, exec_lo, s13
	s_cbranch_execnz .LBB92_41
; %bb.42:
	s_or_b32 exec_lo, exec_lo, s13
.LBB92_43:
	s_delay_alu instid0(SALU_CYCLE_1)
	s_or_b32 exec_lo, exec_lo, s12
	v_cmp_ne_u32_e32 vcc_lo, 31, v10
	v_and_b32_e32 v8, 0xff, v5
	v_lshlrev_b32_e64 v14, v10, -1
	v_add_nc_u32_e32 v15, 1, v10
	s_mov_b32 s12, exec_lo
	v_add_co_ci_u32_e32 v6, vcc_lo, 0, v10, vcc_lo
	v_cmp_eq_u16_e32 vcc_lo, 2, v8
	s_delay_alu instid0(VALU_DEP_2) | instskip(SKIP_4) | instid1(VALU_DEP_1)
	v_lshlrev_b32_e32 v13, 2, v6
	v_and_or_b32 v6, vcc_lo, v14, 0x80000000
	ds_bpermute_b32 v8, v13, v3
	ds_bpermute_b32 v9, v13, v4
	v_ctz_i32_b32_e32 v6, v6
	v_cmpx_le_u32_e64 v15, v6
	s_cbranch_execz .LBB92_45
; %bb.44:
	s_waitcnt lgkmcnt(0)
	v_cmp_lt_u64_e32 vcc_lo, v[8:9], v[3:4]
	v_dual_cndmask_b32 v4, v4, v9 :: v_dual_cndmask_b32 v3, v3, v8
.LBB92_45:
	s_or_b32 exec_lo, exec_lo, s12
	v_cmp_gt_u32_e32 vcc_lo, 30, v10
	v_add_nc_u32_e32 v19, 2, v10
	s_mov_b32 s12, exec_lo
	s_waitcnt lgkmcnt(1)
	v_cndmask_b32_e64 v8, 0, 1, vcc_lo
	s_delay_alu instid0(VALU_DEP_1) | instskip(NEXT) | instid1(VALU_DEP_1)
	v_lshlrev_b32_e32 v8, 1, v8
	v_add_lshl_u32 v16, v8, v10, 2
	ds_bpermute_b32 v8, v16, v3
	s_waitcnt lgkmcnt(1)
	ds_bpermute_b32 v9, v16, v4
	v_cmpx_le_u32_e64 v19, v6
	s_cbranch_execz .LBB92_47
; %bb.46:
	s_waitcnt lgkmcnt(0)
	v_cmp_lt_u64_e32 vcc_lo, v[8:9], v[3:4]
	v_dual_cndmask_b32 v4, v4, v9 :: v_dual_cndmask_b32 v3, v3, v8
.LBB92_47:
	s_or_b32 exec_lo, exec_lo, s12
	v_cmp_gt_u32_e32 vcc_lo, 28, v10
	v_add_nc_u32_e32 v21, 4, v10
	s_mov_b32 s12, exec_lo
	s_waitcnt lgkmcnt(1)
	v_cndmask_b32_e64 v8, 0, 1, vcc_lo
	s_delay_alu instid0(VALU_DEP_1) | instskip(NEXT) | instid1(VALU_DEP_1)
	v_lshlrev_b32_e32 v8, 2, v8
	v_add_lshl_u32 v20, v8, v10, 2
	ds_bpermute_b32 v8, v20, v3
	s_waitcnt lgkmcnt(1)
	ds_bpermute_b32 v9, v20, v4
	;; [unrolled: 19-line block ×4, first 2 shown]
	v_cmpx_le_u32_e64 v25, v6
	s_cbranch_execz .LBB92_53
; %bb.52:
	s_waitcnt lgkmcnt(0)
	v_cmp_lt_u64_e32 vcc_lo, v[8:9], v[3:4]
	v_dual_cndmask_b32 v4, v4, v9 :: v_dual_cndmask_b32 v3, v3, v8
.LBB92_53:
	s_or_b32 exec_lo, exec_lo, s12
	s_waitcnt lgkmcnt(1)
	v_mov_b32_e32 v8, 0
	s_branch .LBB92_55
.LBB92_54:                              ;   in Loop: Header=BB92_55 Depth=1
	s_or_b32 exec_lo, exec_lo, s12
	s_delay_alu instid0(VALU_DEP_1)
	v_cmp_lt_u64_e32 vcc_lo, v[3:4], v[9:10]
	v_subrev_nc_u32_e32 v7, 32, v7
	v_dual_cndmask_b32 v4, v10, v4 :: v_dual_cndmask_b32 v3, v9, v3
.LBB92_55:                              ; =>This Loop Header: Depth=1
                                        ;     Child Loop BB92_58 Depth 2
	s_waitcnt lgkmcnt(0)
	s_delay_alu instid0(VALU_DEP_1) | instskip(NEXT) | instid1(VALU_DEP_2)
	v_dual_mov_b32 v10, v4 :: v_dual_and_b32 v5, 0xff, v5
	v_mov_b32_e32 v9, v3
	s_delay_alu instid0(VALU_DEP_2) | instskip(SKIP_2) | instid1(VALU_DEP_1)
	v_cmp_ne_u16_e32 vcc_lo, 2, v5
	v_cndmask_b32_e64 v5, 0, 1, vcc_lo
	;;#ASMSTART
	;;#ASMEND
	v_cmp_ne_u32_e32 vcc_lo, 0, v5
	s_cmp_lg_u32 vcc_lo, exec_lo
	s_cbranch_scc1 .LBB92_70
; %bb.56:                               ;   in Loop: Header=BB92_55 Depth=1
	v_lshlrev_b64 v[3:4], 4, v[7:8]
	s_mov_b32 s12, exec_lo
	s_delay_alu instid0(VALU_DEP_1) | instskip(NEXT) | instid1(VALU_DEP_2)
	v_add_co_u32 v11, vcc_lo, s16, v3
	v_add_co_ci_u32_e32 v12, vcc_lo, s17, v4, vcc_lo
	;;#ASMSTART
	global_load_dwordx4 v[3:6], v[11:12] off glc	
s_waitcnt vmcnt(0)
	;;#ASMEND
	v_and_b32_e32 v6, 0xff, v5
	s_delay_alu instid0(VALU_DEP_1)
	v_cmpx_eq_u16_e32 0, v6
	s_cbranch_execz .LBB92_60
; %bb.57:                               ;   in Loop: Header=BB92_55 Depth=1
	s_mov_b32 s13, 0
.LBB92_58:                              ;   Parent Loop BB92_55 Depth=1
                                        ; =>  This Inner Loop Header: Depth=2
	;;#ASMSTART
	global_load_dwordx4 v[3:6], v[11:12] off glc	
s_waitcnt vmcnt(0)
	;;#ASMEND
	v_and_b32_e32 v6, 0xff, v5
	s_delay_alu instid0(VALU_DEP_1) | instskip(SKIP_1) | instid1(SALU_CYCLE_1)
	v_cmp_ne_u16_e32 vcc_lo, 0, v6
	s_or_b32 s13, vcc_lo, s13
	s_and_not1_b32 exec_lo, exec_lo, s13
	s_cbranch_execnz .LBB92_58
; %bb.59:                               ;   in Loop: Header=BB92_55 Depth=1
	s_or_b32 exec_lo, exec_lo, s13
.LBB92_60:                              ;   in Loop: Header=BB92_55 Depth=1
	s_delay_alu instid0(SALU_CYCLE_1)
	s_or_b32 exec_lo, exec_lo, s12
	v_and_b32_e32 v6, 0xff, v5
	ds_bpermute_b32 v11, v13, v3
	ds_bpermute_b32 v12, v13, v4
	s_mov_b32 s12, exec_lo
	v_cmp_eq_u16_e32 vcc_lo, 2, v6
	v_and_or_b32 v6, vcc_lo, v14, 0x80000000
	s_delay_alu instid0(VALU_DEP_1) | instskip(NEXT) | instid1(VALU_DEP_1)
	v_ctz_i32_b32_e32 v6, v6
	v_cmpx_le_u32_e64 v15, v6
	s_cbranch_execz .LBB92_62
; %bb.61:                               ;   in Loop: Header=BB92_55 Depth=1
	s_waitcnt lgkmcnt(0)
	v_cmp_lt_u64_e32 vcc_lo, v[11:12], v[3:4]
	v_dual_cndmask_b32 v4, v4, v12 :: v_dual_cndmask_b32 v3, v3, v11
.LBB92_62:                              ;   in Loop: Header=BB92_55 Depth=1
	s_or_b32 exec_lo, exec_lo, s12
	s_waitcnt lgkmcnt(1)
	ds_bpermute_b32 v11, v16, v3
	s_waitcnt lgkmcnt(1)
	ds_bpermute_b32 v12, v16, v4
	s_mov_b32 s12, exec_lo
	v_cmpx_le_u32_e64 v19, v6
	s_cbranch_execz .LBB92_64
; %bb.63:                               ;   in Loop: Header=BB92_55 Depth=1
	s_waitcnt lgkmcnt(0)
	v_cmp_lt_u64_e32 vcc_lo, v[11:12], v[3:4]
	v_dual_cndmask_b32 v4, v4, v12 :: v_dual_cndmask_b32 v3, v3, v11
.LBB92_64:                              ;   in Loop: Header=BB92_55 Depth=1
	s_or_b32 exec_lo, exec_lo, s12
	s_waitcnt lgkmcnt(1)
	ds_bpermute_b32 v11, v20, v3
	s_waitcnt lgkmcnt(1)
	ds_bpermute_b32 v12, v20, v4
	s_mov_b32 s12, exec_lo
	;; [unrolled: 13-line block ×4, first 2 shown]
	v_cmpx_le_u32_e64 v25, v6
	s_cbranch_execz .LBB92_54
; %bb.69:                               ;   in Loop: Header=BB92_55 Depth=1
	s_waitcnt lgkmcnt(0)
	v_cmp_lt_u64_e32 vcc_lo, v[11:12], v[3:4]
	v_dual_cndmask_b32 v4, v4, v12 :: v_dual_cndmask_b32 v3, v3, v11
	s_branch .LBB92_54
.LBB92_70:                              ;   in Loop: Header=BB92_55 Depth=1
                                        ; implicit-def: $vgpr3_vgpr4
	s_cbranch_execz .LBB92_55
; %bb.71:
	s_and_saveexec_b32 s12, s3
	s_cbranch_execz .LBB92_73
; %bb.72:
	s_add_i32 s22, s15, 32
	s_mov_b32 s23, 0
	v_cmp_lt_u64_e32 vcc_lo, v[9:10], v[1:2]
	s_lshl_b64 s[22:23], s[22:23], 4
	v_dual_mov_b32 v3, 2 :: v_dual_mov_b32 v4, 0
	s_add_u32 s22, s16, s22
	s_addc_u32 s23, s17, s23
	v_dual_cndmask_b32 v2, v2, v10 :: v_dual_cndmask_b32 v1, v1, v9
	v_dual_mov_b32 v5, s22 :: v_dual_mov_b32 v6, s23
	;;#ASMSTART
	global_store_dwordx4 v[5:6], v[1:4] off	
s_waitcnt vmcnt(0)
	;;#ASMEND
.LBB92_73:
	s_or_b32 exec_lo, exec_lo, s12
	s_delay_alu instid0(SALU_CYCLE_1)
	s_and_b32 exec_lo, exec_lo, s2
	s_cbranch_execz .LBB92_75
; %bb.74:
	v_mov_b32_e32 v1, 0
	ds_store_b64 v1, v[9:10]
.LBB92_75:
	s_or_b32 exec_lo, exec_lo, s14
	v_mov_b32_e32 v1, 0
	s_waitcnt lgkmcnt(0)
	s_barrier
	buffer_gl0_inv
	ds_load_b64 v[1:2], v1
	s_waitcnt lgkmcnt(0)
	v_cmp_lt_u64_e32 vcc_lo, v[1:2], v[17:18]
	s_or_b32 vcc_lo, s2, vcc_lo
	v_dual_cndmask_b32 v2, v18, v2 :: v_dual_cndmask_b32 v1, v17, v1
	s_delay_alu instid0(VALU_DEP_1) | instskip(SKIP_1) | instid1(VALU_DEP_1)
	v_cmp_lt_u64_e32 vcc_lo, v[1:2], v[61:62]
	v_dual_cndmask_b32 v4, v62, v2 :: v_dual_cndmask_b32 v3, v61, v1
	v_cmp_lt_u64_e32 vcc_lo, v[3:4], v[63:64]
	v_dual_cndmask_b32 v6, v64, v4 :: v_dual_cndmask_b32 v5, v63, v3
	s_delay_alu instid0(VALU_DEP_1) | instskip(SKIP_1) | instid1(VALU_DEP_1)
	v_cmp_lt_u64_e32 vcc_lo, v[5:6], v[57:58]
	v_dual_cndmask_b32 v8, v58, v6 :: v_dual_cndmask_b32 v7, v57, v5
	v_cmp_lt_u64_e32 vcc_lo, v[7:8], v[59:60]
	;; [unrolled: 5-line block ×7, first 2 shown]
	v_dual_cndmask_b32 v30, v36, v28 :: v_dual_cndmask_b32 v29, v35, v27
	s_delay_alu instid0(VALU_DEP_1)
	v_cmp_lt_u64_e32 vcc_lo, v[29:30], v[53:54]
	v_dual_cndmask_b32 v32, v54, v30 :: v_dual_cndmask_b32 v31, v53, v29
	s_load_b128 s[12:15], s[0:1], 0x38
	s_branch .LBB92_96
.LBB92_76:
                                        ; implicit-def: $vgpr1_vgpr2_vgpr3_vgpr4_vgpr5_vgpr6_vgpr7_vgpr8_vgpr9_vgpr10_vgpr11_vgpr12_vgpr13_vgpr14_vgpr15_vgpr16_vgpr17_vgpr18_vgpr19_vgpr20_vgpr21_vgpr22_vgpr23_vgpr24_vgpr25_vgpr26_vgpr27_vgpr28_vgpr29_vgpr30_vgpr31_vgpr32
	s_load_b128 s[12:15], s[0:1], 0x38
	s_cbranch_execz .LBB92_96
; %bb.77:
	s_load_b32 s2, s[0:1], 0x48
	s_waitcnt lgkmcnt(0)
	s_bitcmp0_b32 s2, 0
	s_cbranch_scc1 .LBB92_79
; %bb.78:
	s_add_u32 s2, s4, -8
	s_addc_u32 s3, s5, -1
	s_load_b64 s[4:5], s[12:13], 0x0
	s_load_b64 s[2:3], s[2:3], 0x0
	s_waitcnt lgkmcnt(0)
	v_cmp_lt_u64_e64 s10, s[4:5], s[2:3]
	s_delay_alu instid0(VALU_DEP_1)
	s_and_b32 s10, s10, exec_lo
	s_cselect_b32 s11, s5, s3
	s_cselect_b32 s10, s4, s2
.LBB92_79:
	v_cmp_lt_u64_e32 vcc_lo, v[61:62], v[63:64]
	v_add_lshl_u32 v3, v82, v0, 3
	s_mov_b32 s2, exec_lo
	v_dual_cndmask_b32 v2, v64, v62 :: v_dual_cndmask_b32 v1, v63, v61
	s_delay_alu instid0(VALU_DEP_1) | instskip(SKIP_1) | instid1(VALU_DEP_1)
	v_cmp_lt_u64_e32 vcc_lo, v[1:2], v[57:58]
	v_dual_cndmask_b32 v2, v58, v2 :: v_dual_cndmask_b32 v1, v57, v1
	v_cmp_lt_u64_e32 vcc_lo, v[1:2], v[59:60]
	v_dual_cndmask_b32 v2, v60, v2 :: v_dual_cndmask_b32 v1, v59, v1
	s_delay_alu instid0(VALU_DEP_1) | instskip(SKIP_1) | instid1(VALU_DEP_1)
	v_cmp_lt_u64_e32 vcc_lo, v[1:2], v[49:50]
	v_dual_cndmask_b32 v2, v50, v2 :: v_dual_cndmask_b32 v1, v49, v1
	v_cmp_lt_u64_e32 vcc_lo, v[1:2], v[51:52]
	;; [unrolled: 5-line block ×7, first 2 shown]
	v_dual_cndmask_b32 v18, v56, v2 :: v_dual_cndmask_b32 v17, v55, v1
	ds_store_b64 v3, v[17:18]
	s_waitcnt lgkmcnt(0)
	s_barrier
	buffer_gl0_inv
	v_cmpx_gt_u32_e32 32, v0
	s_cbranch_execz .LBB92_91
; %bb.80:
	v_lshlrev_b32_e32 v1, 1, v0
	v_mbcnt_lo_u32_b32 v24, -1, 0
	s_mov_b32 s3, exec_lo
	s_delay_alu instid0(VALU_DEP_2) | instskip(NEXT) | instid1(VALU_DEP_2)
	v_and_b32_e32 v1, 0x1f8, v1
	v_and_b32_e32 v25, 15, v24
	s_delay_alu instid0(VALU_DEP_2)
	v_lshl_or_b32 v23, v0, 6, v1
	ds_load_2addr_b64 v[5:8], v23 offset1:1
	ds_load_2addr_b64 v[1:4], v23 offset0:2 offset1:3
	ds_load_2addr_b64 v[9:12], v23 offset0:4 offset1:5
	s_waitcnt lgkmcnt(2)
	v_cmp_lt_u64_e32 vcc_lo, v[5:6], v[7:8]
	v_dual_cndmask_b32 v14, v8, v6 :: v_dual_cndmask_b32 v13, v7, v5
	s_waitcnt lgkmcnt(1)
	s_delay_alu instid0(VALU_DEP_1) | instskip(SKIP_1) | instid1(VALU_DEP_1)
	v_cmp_lt_u64_e32 vcc_lo, v[13:14], v[1:2]
	v_dual_cndmask_b32 v14, v2, v14 :: v_dual_cndmask_b32 v13, v1, v13
	v_cmp_lt_u64_e32 vcc_lo, v[13:14], v[3:4]
	v_dual_cndmask_b32 v20, v4, v14 :: v_dual_cndmask_b32 v19, v3, v13
	ds_load_2addr_b64 v[13:16], v23 offset0:6 offset1:7
	s_waitcnt lgkmcnt(1)
	v_cmp_lt_u64_e32 vcc_lo, v[19:20], v[9:10]
	v_dual_cndmask_b32 v20, v10, v20 :: v_dual_cndmask_b32 v19, v9, v19
	s_delay_alu instid0(VALU_DEP_1) | instskip(SKIP_2) | instid1(VALU_DEP_1)
	v_cmp_lt_u64_e32 vcc_lo, v[19:20], v[11:12]
	v_dual_cndmask_b32 v20, v12, v20 :: v_dual_cndmask_b32 v19, v11, v19
	s_waitcnt lgkmcnt(0)
	v_cmp_lt_u64_e32 vcc_lo, v[19:20], v[13:14]
	v_dual_cndmask_b32 v20, v14, v20 :: v_dual_cndmask_b32 v19, v13, v19
	s_delay_alu instid0(VALU_DEP_1) | instskip(SKIP_1) | instid1(VALU_DEP_1)
	v_cmp_lt_u64_e32 vcc_lo, v[19:20], v[15:16]
	v_dual_cndmask_b32 v20, v16, v20 :: v_dual_cndmask_b32 v19, v15, v19
	v_mov_b32_dpp v22, v20 row_shr:1 row_mask:0xf bank_mask:0xf
	s_delay_alu instid0(VALU_DEP_2)
	v_mov_b32_dpp v21, v19 row_shr:1 row_mask:0xf bank_mask:0xf
	v_cmpx_ne_u32_e32 0, v25
; %bb.81:
	s_delay_alu instid0(VALU_DEP_2)
	v_cmp_lt_u64_e32 vcc_lo, v[21:22], v[19:20]
	v_dual_cndmask_b32 v20, v20, v22 :: v_dual_cndmask_b32 v19, v19, v21
; %bb.82:
	s_or_b32 exec_lo, exec_lo, s3
	s_delay_alu instid0(VALU_DEP_1) | instskip(NEXT) | instid1(VALU_DEP_2)
	v_mov_b32_dpp v21, v19 row_shr:2 row_mask:0xf bank_mask:0xf
	v_mov_b32_dpp v22, v20 row_shr:2 row_mask:0xf bank_mask:0xf
	s_mov_b32 s3, exec_lo
	v_cmpx_lt_u32_e32 1, v25
; %bb.83:
	s_delay_alu instid0(VALU_DEP_2)
	v_cmp_lt_u64_e32 vcc_lo, v[21:22], v[19:20]
	v_dual_cndmask_b32 v20, v20, v22 :: v_dual_cndmask_b32 v19, v19, v21
; %bb.84:
	s_or_b32 exec_lo, exec_lo, s3
	s_delay_alu instid0(VALU_DEP_1) | instskip(NEXT) | instid1(VALU_DEP_2)
	v_mov_b32_dpp v21, v19 row_shr:4 row_mask:0xf bank_mask:0xf
	v_mov_b32_dpp v22, v20 row_shr:4 row_mask:0xf bank_mask:0xf
	s_mov_b32 s3, exec_lo
	v_cmpx_lt_u32_e32 3, v25
	;; [unrolled: 11-line block ×3, first 2 shown]
; %bb.87:
	s_delay_alu instid0(VALU_DEP_2)
	v_cmp_lt_u64_e32 vcc_lo, v[21:22], v[19:20]
	v_dual_cndmask_b32 v20, v20, v22 :: v_dual_cndmask_b32 v19, v19, v21
; %bb.88:
	s_or_b32 exec_lo, exec_lo, s3
	ds_swizzle_b32 v21, v19 offset:swizzle(BROADCAST,32,15)
	ds_swizzle_b32 v22, v20 offset:swizzle(BROADCAST,32,15)
	v_and_b32_e32 v25, 16, v24
	s_mov_b32 s3, exec_lo
	s_delay_alu instid0(VALU_DEP_1)
	v_cmpx_ne_u32_e32 0, v25
	s_cbranch_execz .LBB92_90
; %bb.89:
	s_waitcnt lgkmcnt(0)
	v_cmp_lt_u64_e32 vcc_lo, v[21:22], v[19:20]
	v_dual_cndmask_b32 v19, v19, v21 :: v_dual_cndmask_b32 v20, v20, v22
.LBB92_90:
	s_or_b32 exec_lo, exec_lo, s3
	s_waitcnt lgkmcnt(1)
	v_add_nc_u32_e32 v21, -1, v24
	s_delay_alu instid0(VALU_DEP_1) | instskip(SKIP_1) | instid1(VALU_DEP_1)
	v_cmp_gt_i32_e32 vcc_lo, 0, v21
	v_cndmask_b32_e32 v21, v21, v24, vcc_lo
	v_lshlrev_b32_e32 v21, 2, v21
	ds_bpermute_b32 v19, v21, v19
	ds_bpermute_b32 v20, v21, v20
	s_waitcnt lgkmcnt(0)
	v_cmp_lt_u64_e32 vcc_lo, v[19:20], v[5:6]
	v_dual_cndmask_b32 v6, v6, v20 :: v_dual_cndmask_b32 v5, v5, v19
	v_cmp_eq_u32_e32 vcc_lo, 0, v0
	s_delay_alu instid0(VALU_DEP_2) | instskip(NEXT) | instid1(VALU_DEP_1)
	v_dual_cndmask_b32 v6, v6, v18 :: v_dual_cndmask_b32 v5, v5, v17
	v_cmp_lt_u64_e32 vcc_lo, v[5:6], v[7:8]
	v_dual_cndmask_b32 v8, v8, v6 :: v_dual_cndmask_b32 v7, v7, v5
	s_delay_alu instid0(VALU_DEP_1) | instskip(SKIP_1) | instid1(VALU_DEP_1)
	v_cmp_lt_u64_e32 vcc_lo, v[7:8], v[1:2]
	v_dual_cndmask_b32 v2, v2, v8 :: v_dual_cndmask_b32 v1, v1, v7
	v_cmp_lt_u64_e32 vcc_lo, v[1:2], v[3:4]
	v_dual_cndmask_b32 v4, v4, v2 :: v_dual_cndmask_b32 v3, v3, v1
	s_delay_alu instid0(VALU_DEP_1) | instskip(SKIP_1) | instid1(VALU_DEP_1)
	v_cmp_lt_u64_e32 vcc_lo, v[3:4], v[9:10]
	;; [unrolled: 5-line block ×3, first 2 shown]
	v_dual_cndmask_b32 v14, v14, v12 :: v_dual_cndmask_b32 v13, v13, v11
	v_cmp_lt_u64_e32 vcc_lo, v[13:14], v[15:16]
	v_dual_cndmask_b32 v16, v16, v14 :: v_dual_cndmask_b32 v15, v15, v13
	ds_store_2addr_b64 v23, v[5:6], v[7:8] offset1:1
	ds_store_2addr_b64 v23, v[1:2], v[3:4] offset0:2 offset1:3
	ds_store_2addr_b64 v23, v[9:10], v[11:12] offset0:4 offset1:5
	;; [unrolled: 1-line block ×3, first 2 shown]
.LBB92_91:
	s_or_b32 exec_lo, exec_lo, s2
	v_cmp_eq_u32_e32 vcc_lo, 0, v0
	v_dual_mov_b32 v1, s10 :: v_dual_mov_b32 v2, s11
	s_mov_b32 s3, exec_lo
	s_waitcnt lgkmcnt(0)
	s_barrier
	buffer_gl0_inv
	v_cmpx_ne_u32_e32 0, v0
	s_cbranch_execz .LBB92_93
; %bb.92:
	v_add_nc_u32_e32 v1, -1, v0
	s_delay_alu instid0(VALU_DEP_1) | instskip(NEXT) | instid1(VALU_DEP_1)
	v_lshrrev_b32_e32 v2, 5, v1
	v_add_lshl_u32 v1, v2, v1, 3
	ds_load_b64 v[1:2], v1
	s_waitcnt lgkmcnt(0)
	v_cmp_lt_u64_e64 s2, s[10:11], v[1:2]
	s_delay_alu instid0(VALU_DEP_1)
	v_cndmask_b32_e64 v2, v2, s11, s2
	v_cndmask_b32_e64 v1, v1, s10, s2
.LBB92_93:
	s_or_b32 exec_lo, exec_lo, s3
	s_delay_alu instid0(VALU_DEP_1) | instskip(NEXT) | instid1(VALU_DEP_1)
	v_cmp_lt_u64_e64 s2, v[1:2], v[61:62]
	v_cndmask_b32_e64 v4, v62, v2, s2
	v_cndmask_b32_e64 v3, v61, v1, s2
	s_delay_alu instid0(VALU_DEP_1) | instskip(NEXT) | instid1(VALU_DEP_1)
	v_cmp_lt_u64_e64 s2, v[3:4], v[63:64]
	v_cndmask_b32_e64 v6, v64, v4, s2
	v_cndmask_b32_e64 v5, v63, v3, s2
	;; [unrolled: 4-line block ×15, first 2 shown]
	s_and_saveexec_b32 s2, vcc_lo
	s_cbranch_execz .LBB92_95
; %bb.94:
	v_dual_mov_b32 v36, 0 :: v_dual_mov_b32 v35, 2
	s_add_u32 s4, s16, 0x200
	s_addc_u32 s5, s17, 0
	s_delay_alu instid0(SALU_CYCLE_1)
	v_dual_mov_b32 v38, s5 :: v_dual_mov_b32 v37, s4
	ds_load_b64 v[33:34], v36 offset:2096
	s_waitcnt lgkmcnt(0)
	v_cmp_lt_u64_e32 vcc_lo, s[10:11], v[33:34]
	v_cndmask_b32_e64 v34, v34, s11, vcc_lo
	v_cndmask_b32_e64 v33, v33, s10, vcc_lo
	;;#ASMSTART
	global_store_dwordx4 v[37:38], v[33:36] off	
s_waitcnt vmcnt(0)
	;;#ASMEND
.LBB92_95:
	s_or_b32 exec_lo, exec_lo, s2
.LBB92_96:
	v_lshlrev_b32_e32 v33, 7, v0
	s_add_u32 s2, s6, s8
	s_addc_u32 s3, s7, s9
	s_and_b32 vcc_lo, exec_lo, s20
	s_mov_b32 s4, -1
	s_waitcnt lgkmcnt(0)
	s_barrier
	buffer_gl0_inv
	s_cbranch_vccz .LBB92_98
; %bb.97:
	v_lshl_add_u32 v34, v81, 3, v33
	v_lshrrev_b32_e32 v35, 5, v78
	v_lshrrev_b32_e32 v36, 5, v77
	v_add_lshl_u32 v37, v82, v0, 3
	v_lshrrev_b32_e32 v51, 5, v71
	ds_store_2addr_b64 v34, v[1:2], v[3:4] offset1:1
	ds_store_2addr_b64 v34, v[5:6], v[7:8] offset0:2 offset1:3
	ds_store_2addr_b64 v34, v[9:10], v[11:12] offset0:4 offset1:5
	;; [unrolled: 1-line block ×7, first 2 shown]
	v_lshrrev_b32_e32 v34, 5, v79
	v_add_lshl_u32 v39, v35, v0, 3
	v_add_lshl_u32 v40, v36, v0, 3
	s_waitcnt lgkmcnt(0)
	s_barrier
	v_add_lshl_u32 v38, v34, v0, 3
	buffer_gl0_inv
	v_lshrrev_b32_e32 v52, 5, v70
	ds_load_b64 v[34:35], v37
	ds_load_b64 v[36:37], v38 offset:2048
	ds_load_b64 v[38:39], v39 offset:4096
	;; [unrolled: 1-line block ×3, first 2 shown]
	v_lshrrev_b32_e32 v42, 5, v76
	v_lshrrev_b32_e32 v50, 5, v72
	;; [unrolled: 1-line block ×5, first 2 shown]
	v_add_lshl_u32 v53, v51, v0, 3
	v_lshrrev_b32_e32 v51, 5, v69
	v_add_lshl_u32 v54, v52, v0, 3
	v_lshrrev_b32_e32 v52, 5, v68
	v_lshrrev_b32_e32 v55, 5, v67
	;; [unrolled: 1-line block ×4, first 2 shown]
	v_add_lshl_u32 v42, v42, v0, 3
	v_add_lshl_u32 v50, v50, v0, 3
	;; [unrolled: 1-line block ×10, first 2 shown]
	ds_load_b64 v[42:43], v42 offset:8192
	ds_load_b64 v[44:45], v46 offset:10240
	;; [unrolled: 1-line block ×12, first 2 shown]
	v_add_co_u32 v64, s5, s2, v80
	s_delay_alu instid0(VALU_DEP_1)
	v_add_co_ci_u32_e64 v95, null, s3, 0, s5
	s_waitcnt lgkmcnt(14)
	global_store_b64 v80, v[36:37], s[2:3] offset:2048
	v_add_co_u32 v36, vcc_lo, 0x1000, v64
	v_add_co_ci_u32_e32 v37, vcc_lo, 0, v95, vcc_lo
	v_add_co_u32 v85, vcc_lo, v64, 0x2000
	v_add_co_ci_u32_e32 v86, vcc_lo, 0, v95, vcc_lo
	;; [unrolled: 2-line block ×6, first 2 shown]
	s_waitcnt lgkmcnt(13)
	global_store_b64 v[85:86], v[38:39], off offset:-4096
	s_waitcnt lgkmcnt(11)
	global_store_b64 v[85:86], v[42:43], off
	s_waitcnt lgkmcnt(9)
	global_store_b64 v[91:92], v[46:47], off offset:-4096
	s_waitcnt lgkmcnt(7)
	s_clause 0x3
	global_store_b64 v[91:92], v[50:51], off
	global_store_b64 v[36:37], v[40:41], off offset:2048
	global_store_b64 v[87:88], v[44:45], off offset:2048
	;; [unrolled: 1-line block ×3, first 2 shown]
	s_waitcnt lgkmcnt(6)
	global_store_b64 v[93:94], v[52:53], off offset:2048
	v_add_co_u32 v36, vcc_lo, v64, 0x6000
	v_add_co_ci_u32_e32 v37, vcc_lo, 0, v95, vcc_lo
	v_add_co_u32 v38, vcc_lo, 0x5000, v64
	v_add_co_ci_u32_e32 v39, vcc_lo, 0, v95, vcc_lo
	;; [unrolled: 2-line block ×4, first 2 shown]
	s_mov_b32 s4, 0
	s_waitcnt lgkmcnt(5)
	s_clause 0x1
	global_store_b64 v[36:37], v[54:55], off offset:-4096
	global_store_b64 v80, v[34:35], s[2:3]
	s_waitcnt lgkmcnt(3)
	s_clause 0x1
	global_store_b64 v[36:37], v[58:59], off
	global_store_b64 v[38:39], v[56:57], off offset:2048
	s_waitcnt lgkmcnt(2)
	global_store_b64 v[40:41], v[60:61], off offset:2048
	s_waitcnt lgkmcnt(1)
	global_store_b64 v[42:43], v[62:63], off
	s_waitcnt lgkmcnt(0)
	global_store_b64 v[42:43], v[83:84], off offset:2048
.LBB92_98:
	s_and_not1_b32 vcc_lo, exec_lo, s4
	s_cbranch_vccnz .LBB92_171
; %bb.99:
	v_lshl_add_u32 v33, v81, 3, v33
	v_add_co_u32 v34, s2, s2, v80
	s_delay_alu instid0(VALU_DEP_1)
	v_add_co_ci_u32_e64 v35, null, s3, 0, s2
	ds_store_2addr_b64 v33, v[1:2], v[3:4] offset1:1
	ds_store_2addr_b64 v33, v[5:6], v[7:8] offset0:2 offset1:3
	ds_store_2addr_b64 v33, v[9:10], v[11:12] offset0:4 offset1:5
	;; [unrolled: 1-line block ×7, first 2 shown]
	v_lshrrev_b32_e32 v1, 5, v79
	v_lshrrev_b32_e32 v2, 5, v78
	;; [unrolled: 1-line block ×3, first 2 shown]
	v_add_lshl_u32 v4, v82, v0, 3
	v_lshrrev_b32_e32 v10, 5, v76
	v_add_lshl_u32 v1, v1, v0, 3
	v_lshrrev_b32_e32 v11, 5, v75
	;; [unrolled: 2-line block ×4, first 2 shown]
	s_waitcnt lgkmcnt(0)
	s_waitcnt_vscnt null, 0x0
	s_barrier
	buffer_gl0_inv
	ds_load_b64 v[4:5], v4
	ds_load_b64 v[2:3], v1 offset:2048
	ds_load_b64 v[6:7], v6 offset:4096
	;; [unrolled: 1-line block ×3, first 2 shown]
	v_add_lshl_u32 v1, v10, v0, 3
	v_lshrrev_b32_e32 v18, 5, v72
	v_add_lshl_u32 v14, v11, v0, 3
	v_lshrrev_b32_e32 v19, 5, v71
	v_lshrrev_b32_e32 v20, 5, v70
	v_add_lshl_u32 v15, v12, v0, 3
	v_add_lshl_u32 v16, v13, v0, 3
	ds_load_b64 v[10:11], v1 offset:8192
	ds_load_b64 v[12:13], v14 offset:10240
	;; [unrolled: 1-line block ×4, first 2 shown]
	v_add_lshl_u32 v1, v18, v0, 3
	v_lshrrev_b32_e32 v18, 5, v69
	v_add_lshl_u32 v21, v19, v0, 3
	v_add_lshl_u32 v22, v20, v0, 3
	v_lshrrev_b32_e32 v19, 5, v68
	v_lshrrev_b32_e32 v20, 5, v67
	;; [unrolled: 1-line block ×4, first 2 shown]
	v_add_lshl_u32 v25, v18, v0, 3
	v_add_lshl_u32 v26, v19, v0, 3
	;; [unrolled: 1-line block ×5, first 2 shown]
	ds_load_b64 v[18:19], v1 offset:16384
	ds_load_b64 v[20:21], v21 offset:18432
	;; [unrolled: 1-line block ×8, first 2 shown]
	v_mov_b32_e32 v1, 0
	s_mov_b32 s2, exec_lo
	v_cmpx_gt_u32_e64 s18, v0
	s_cbranch_execnz .LBB92_187
; %bb.100:
	s_or_b32 exec_lo, exec_lo, s2
	s_delay_alu instid0(SALU_CYCLE_1)
	s_mov_b32 s2, exec_lo
	v_cmpx_gt_u32_e64 s18, v79
	s_cbranch_execnz .LBB92_188
.LBB92_101:
	s_or_b32 exec_lo, exec_lo, s2
	s_delay_alu instid0(SALU_CYCLE_1)
	s_mov_b32 s2, exec_lo
	v_cmpx_gt_u32_e64 s18, v78
	s_cbranch_execnz .LBB92_189
.LBB92_102:
	s_or_b32 exec_lo, exec_lo, s2
	s_delay_alu instid0(SALU_CYCLE_1)
	s_mov_b32 s2, exec_lo
	v_cmpx_gt_u32_e64 s18, v77
	s_cbranch_execnz .LBB92_190
.LBB92_103:
	s_or_b32 exec_lo, exec_lo, s2
	s_delay_alu instid0(SALU_CYCLE_1)
	s_mov_b32 s2, exec_lo
	v_cmpx_gt_u32_e64 s18, v76
	s_cbranch_execnz .LBB92_191
.LBB92_104:
	s_or_b32 exec_lo, exec_lo, s2
	s_delay_alu instid0(SALU_CYCLE_1)
	s_mov_b32 s2, exec_lo
	v_cmpx_gt_u32_e64 s18, v75
	s_cbranch_execnz .LBB92_192
.LBB92_105:
	s_or_b32 exec_lo, exec_lo, s2
	s_delay_alu instid0(SALU_CYCLE_1)
	s_mov_b32 s2, exec_lo
	v_cmpx_gt_u32_e64 s18, v74
	s_cbranch_execnz .LBB92_193
.LBB92_106:
	s_or_b32 exec_lo, exec_lo, s2
	s_delay_alu instid0(SALU_CYCLE_1)
	s_mov_b32 s2, exec_lo
	v_cmpx_gt_u32_e64 s18, v73
	s_cbranch_execnz .LBB92_194
.LBB92_107:
	s_or_b32 exec_lo, exec_lo, s2
	s_delay_alu instid0(SALU_CYCLE_1)
	s_mov_b32 s2, exec_lo
	v_cmpx_gt_u32_e64 s18, v72
	s_cbranch_execnz .LBB92_195
.LBB92_108:
	s_or_b32 exec_lo, exec_lo, s2
	s_delay_alu instid0(SALU_CYCLE_1)
	s_mov_b32 s2, exec_lo
	v_cmpx_gt_u32_e64 s18, v71
	s_cbranch_execnz .LBB92_196
.LBB92_109:
	s_or_b32 exec_lo, exec_lo, s2
	s_delay_alu instid0(SALU_CYCLE_1)
	s_mov_b32 s2, exec_lo
	v_cmpx_gt_u32_e64 s18, v70
	s_cbranch_execnz .LBB92_197
.LBB92_110:
	s_or_b32 exec_lo, exec_lo, s2
	s_delay_alu instid0(SALU_CYCLE_1)
	s_mov_b32 s2, exec_lo
	v_cmpx_gt_u32_e64 s18, v69
	s_cbranch_execnz .LBB92_198
.LBB92_111:
	s_or_b32 exec_lo, exec_lo, s2
	s_delay_alu instid0(SALU_CYCLE_1)
	s_mov_b32 s2, exec_lo
	v_cmpx_gt_u32_e64 s18, v68
	s_cbranch_execnz .LBB92_199
.LBB92_112:
	s_or_b32 exec_lo, exec_lo, s2
	s_delay_alu instid0(SALU_CYCLE_1)
	s_mov_b32 s2, exec_lo
	v_cmpx_gt_u32_e64 s18, v67
	s_cbranch_execnz .LBB92_200
.LBB92_113:
	s_or_b32 exec_lo, exec_lo, s2
	s_delay_alu instid0(SALU_CYCLE_1)
	s_mov_b32 s2, exec_lo
	v_cmpx_gt_u32_e64 s18, v66
	s_cbranch_execnz .LBB92_201
.LBB92_114:
	s_or_b32 exec_lo, exec_lo, s2
	s_delay_alu instid0(SALU_CYCLE_1)
	s_mov_b32 s2, exec_lo
	v_cmpx_gt_u32_e64 s18, v65
	s_cbranch_execz .LBB92_116
.LBB92_115:
	v_add_co_u32 v34, vcc_lo, 0x7000, v34
	v_add_co_ci_u32_e32 v35, vcc_lo, 0, v35, vcc_lo
	s_waitcnt lgkmcnt(0)
	global_store_b64 v[34:35], v[32:33], off offset:2048
.LBB92_116:
	s_or_b32 exec_lo, exec_lo, s2
	s_load_b32 s0, s[0:1], 0x48
	s_waitcnt lgkmcnt(0)
	s_bfe_u32 s0, s0, 0x10008
	s_delay_alu instid0(SALU_CYCLE_1)
	s_cmp_eq_u32 s0, 0
	s_cbranch_scc1 .LBB92_171
; %bb.117:
	s_add_u32 s0, s18, -1
	s_addc_u32 s1, s19, -1
	s_delay_alu instid0(SALU_CYCLE_1)
	s_lshr_b64 s[2:3], s[0:1], 4
	s_mov_b32 s1, exec_lo
	v_cmpx_eq_u64_e64 s[2:3], v[0:1]
	s_cbranch_execz .LBB92_171
; %bb.118:
	s_and_b32 s0, s0, 15
	s_mov_b32 s1, 0
	s_delay_alu instid0(SALU_CYCLE_1) | instskip(NEXT) | instid1(VALU_DEP_1)
	v_cmp_lt_i64_e64 s2, s[0:1], 8
	s_and_b32 vcc_lo, exec_lo, s2
	s_mov_b32 s2, -1
	s_cbranch_vccnz .LBB92_145
; %bb.119:
	v_cmp_lt_i64_e64 s2, s[0:1], 12
	s_delay_alu instid0(VALU_DEP_1)
	s_and_b32 vcc_lo, exec_lo, s2
	s_mov_b32 s2, -1
	s_cbranch_vccnz .LBB92_132
; %bb.120:
	v_cmp_lt_i64_e64 s2, s[0:1], 14
	s_delay_alu instid0(VALU_DEP_1)
	s_and_b32 vcc_lo, exec_lo, s2
	s_mov_b32 s2, -1
	s_cbranch_vccnz .LBB92_126
; %bb.121:
	v_cmp_gt_i64_e64 s2, s[0:1], 14
	s_delay_alu instid0(VALU_DEP_1)
	s_and_b32 vcc_lo, exec_lo, s2
	s_mov_b32 s2, -1
	s_cbranch_vccz .LBB92_123
; %bb.122:
	v_mov_b32_e32 v0, 0
	s_mov_b32 s2, 0
	global_store_b64 v0, v[32:33], s[14:15]
.LBB92_123:
	s_and_not1_b32 vcc_lo, exec_lo, s2
	s_cbranch_vccnz .LBB92_125
; %bb.124:
	v_mov_b32_e32 v0, 0
	global_store_b64 v0, v[30:31], s[14:15]
.LBB92_125:
	s_mov_b32 s2, 0
.LBB92_126:
	s_delay_alu instid0(SALU_CYCLE_1)
	s_and_not1_b32 vcc_lo, exec_lo, s2
	s_cbranch_vccnz .LBB92_131
; %bb.127:
	v_cmp_gt_i64_e64 s2, s[0:1], 12
	s_delay_alu instid0(VALU_DEP_1)
	s_and_b32 vcc_lo, exec_lo, s2
	s_mov_b32 s2, -1
	s_cbranch_vccz .LBB92_129
; %bb.128:
	v_mov_b32_e32 v0, 0
	s_mov_b32 s2, 0
	global_store_b64 v0, v[28:29], s[14:15]
.LBB92_129:
	s_and_not1_b32 vcc_lo, exec_lo, s2
	s_cbranch_vccnz .LBB92_131
; %bb.130:
	v_mov_b32_e32 v0, 0
	global_store_b64 v0, v[26:27], s[14:15]
.LBB92_131:
	s_mov_b32 s2, 0
.LBB92_132:
	s_delay_alu instid0(SALU_CYCLE_1)
	s_and_not1_b32 vcc_lo, exec_lo, s2
	s_cbranch_vccnz .LBB92_144
; %bb.133:
	v_cmp_lt_i64_e64 s2, s[0:1], 10
	s_delay_alu instid0(VALU_DEP_1)
	s_and_b32 vcc_lo, exec_lo, s2
	s_mov_b32 s2, -1
	s_cbranch_vccnz .LBB92_139
; %bb.134:
	v_cmp_gt_i64_e64 s2, s[0:1], 10
	s_delay_alu instid0(VALU_DEP_1)
	s_and_b32 vcc_lo, exec_lo, s2
	s_mov_b32 s2, -1
	s_cbranch_vccz .LBB92_136
; %bb.135:
	v_mov_b32_e32 v0, 0
	s_mov_b32 s2, 0
	global_store_b64 v0, v[24:25], s[14:15]
.LBB92_136:
	s_and_not1_b32 vcc_lo, exec_lo, s2
	s_cbranch_vccnz .LBB92_138
; %bb.137:
	v_mov_b32_e32 v0, 0
	global_store_b64 v0, v[22:23], s[14:15]
.LBB92_138:
	s_mov_b32 s2, 0
.LBB92_139:
	s_delay_alu instid0(SALU_CYCLE_1)
	s_and_not1_b32 vcc_lo, exec_lo, s2
	s_cbranch_vccnz .LBB92_144
; %bb.140:
	v_cmp_gt_i64_e64 s2, s[0:1], 8
	s_delay_alu instid0(VALU_DEP_1)
	s_and_b32 vcc_lo, exec_lo, s2
	s_mov_b32 s2, -1
	s_cbranch_vccz .LBB92_142
; %bb.141:
	v_mov_b32_e32 v0, 0
	s_mov_b32 s2, 0
	global_store_b64 v0, v[20:21], s[14:15]
.LBB92_142:
	s_and_not1_b32 vcc_lo, exec_lo, s2
	s_cbranch_vccnz .LBB92_144
; %bb.143:
	v_mov_b32_e32 v0, 0
	global_store_b64 v0, v[18:19], s[14:15]
.LBB92_144:
	s_mov_b32 s2, 0
.LBB92_145:
	s_delay_alu instid0(SALU_CYCLE_1)
	s_and_not1_b32 vcc_lo, exec_lo, s2
	s_cbranch_vccnz .LBB92_171
; %bb.146:
	v_cmp_lt_i64_e64 s2, s[0:1], 4
	s_delay_alu instid0(VALU_DEP_1)
	s_and_b32 vcc_lo, exec_lo, s2
	s_mov_b32 s2, -1
	s_cbranch_vccnz .LBB92_159
; %bb.147:
	v_cmp_lt_i64_e64 s2, s[0:1], 6
	s_delay_alu instid0(VALU_DEP_1)
	s_and_b32 vcc_lo, exec_lo, s2
	s_mov_b32 s2, -1
	s_cbranch_vccnz .LBB92_153
; %bb.148:
	v_cmp_gt_i64_e64 s2, s[0:1], 6
	s_delay_alu instid0(VALU_DEP_1)
	s_and_b32 vcc_lo, exec_lo, s2
	s_mov_b32 s2, -1
	s_cbranch_vccz .LBB92_150
; %bb.149:
	v_mov_b32_e32 v0, 0
	s_mov_b32 s2, 0
	global_store_b64 v0, v[16:17], s[14:15]
.LBB92_150:
	s_and_not1_b32 vcc_lo, exec_lo, s2
	s_cbranch_vccnz .LBB92_152
; %bb.151:
	v_mov_b32_e32 v0, 0
	global_store_b64 v0, v[14:15], s[14:15]
.LBB92_152:
	s_mov_b32 s2, 0
.LBB92_153:
	s_delay_alu instid0(SALU_CYCLE_1)
	s_and_not1_b32 vcc_lo, exec_lo, s2
	s_cbranch_vccnz .LBB92_158
; %bb.154:
	v_cmp_gt_i64_e64 s2, s[0:1], 4
	s_delay_alu instid0(VALU_DEP_1)
	s_and_b32 vcc_lo, exec_lo, s2
	s_mov_b32 s2, -1
	s_cbranch_vccz .LBB92_156
; %bb.155:
	v_mov_b32_e32 v0, 0
	s_mov_b32 s2, 0
	global_store_b64 v0, v[12:13], s[14:15]
.LBB92_156:
	s_and_not1_b32 vcc_lo, exec_lo, s2
	s_cbranch_vccnz .LBB92_158
; %bb.157:
	v_mov_b32_e32 v0, 0
	global_store_b64 v0, v[10:11], s[14:15]
.LBB92_158:
	s_mov_b32 s2, 0
.LBB92_159:
	s_delay_alu instid0(SALU_CYCLE_1)
	s_and_not1_b32 vcc_lo, exec_lo, s2
	s_cbranch_vccnz .LBB92_171
; %bb.160:
	v_cmp_lt_i64_e64 s2, s[0:1], 2
	s_delay_alu instid0(VALU_DEP_1)
	s_and_b32 vcc_lo, exec_lo, s2
	s_mov_b32 s2, -1
	s_cbranch_vccnz .LBB92_166
; %bb.161:
	v_cmp_gt_i64_e64 s2, s[0:1], 2
	s_delay_alu instid0(VALU_DEP_1)
	s_and_b32 vcc_lo, exec_lo, s2
	s_mov_b32 s2, -1
	s_cbranch_vccz .LBB92_163
; %bb.162:
	v_mov_b32_e32 v0, 0
	s_mov_b32 s2, 0
	global_store_b64 v0, v[8:9], s[14:15]
.LBB92_163:
	s_and_not1_b32 vcc_lo, exec_lo, s2
	s_cbranch_vccnz .LBB92_165
; %bb.164:
	v_mov_b32_e32 v0, 0
	global_store_b64 v0, v[6:7], s[14:15]
.LBB92_165:
	s_mov_b32 s2, 0
.LBB92_166:
	s_delay_alu instid0(SALU_CYCLE_1)
	s_and_not1_b32 vcc_lo, exec_lo, s2
	s_cbranch_vccnz .LBB92_171
; %bb.167:
	s_cmp_eq_u64 s[0:1], 1
	s_mov_b32 s0, -1
	s_cbranch_scc1 .LBB92_169
; %bb.168:
	v_mov_b32_e32 v0, 0
	s_mov_b32 s0, 0
	global_store_b64 v0, v[4:5], s[14:15]
.LBB92_169:
	s_and_not1_b32 vcc_lo, exec_lo, s0
	s_cbranch_vccnz .LBB92_171
; %bb.170:
	v_mov_b32_e32 v0, 0
	global_store_b64 v0, v[2:3], s[14:15]
.LBB92_171:
	s_nop 0
	s_sendmsg sendmsg(MSG_DEALLOC_VGPRS)
	s_endpgm
.LBB92_172:
	global_load_b64 v[33:34], v[35:36], off
	v_dual_mov_b32 v1, s36 :: v_dual_mov_b32 v2, s37
	v_dual_mov_b32 v3, s38 :: v_dual_mov_b32 v4, s39
	;; [unrolled: 1-line block ×16, first 2 shown]
	s_or_b32 exec_lo, exec_lo, s3
	s_delay_alu instid0(SALU_CYCLE_1)
	s_mov_b32 s2, exec_lo
	v_cmpx_gt_u32_e64 s18, v79
	s_cbranch_execz .LBB92_5
.LBB92_173:
	global_load_b64 v[3:4], v[35:36], off offset:2048
	s_or_b32 exec_lo, exec_lo, s2
	s_delay_alu instid0(SALU_CYCLE_1)
	s_mov_b32 s2, exec_lo
	v_cmpx_gt_u32_e64 s18, v78
	s_cbranch_execz .LBB92_6
.LBB92_174:
	v_add_co_u32 v1, vcc_lo, 0x1000, v35
	v_add_co_ci_u32_e32 v2, vcc_lo, 0, v36, vcc_lo
	global_load_b64 v[5:6], v[1:2], off
	s_or_b32 exec_lo, exec_lo, s2
	s_delay_alu instid0(SALU_CYCLE_1)
	s_mov_b32 s2, exec_lo
	v_cmpx_gt_u32_e64 s18, v77
	s_cbranch_execz .LBB92_7
.LBB92_175:
	v_add_co_u32 v1, vcc_lo, 0x1000, v35
	v_add_co_ci_u32_e32 v2, vcc_lo, 0, v36, vcc_lo
	global_load_b64 v[7:8], v[1:2], off offset:2048
	s_or_b32 exec_lo, exec_lo, s2
	s_delay_alu instid0(SALU_CYCLE_1)
	s_mov_b32 s2, exec_lo
	v_cmpx_gt_u32_e64 s18, v76
	s_cbranch_execz .LBB92_8
.LBB92_176:
	v_add_co_u32 v1, vcc_lo, 0x2000, v35
	v_add_co_ci_u32_e32 v2, vcc_lo, 0, v36, vcc_lo
	global_load_b64 v[9:10], v[1:2], off
	s_or_b32 exec_lo, exec_lo, s2
	s_delay_alu instid0(SALU_CYCLE_1)
	s_mov_b32 s2, exec_lo
	v_cmpx_gt_u32_e64 s18, v75
	s_cbranch_execz .LBB92_9
.LBB92_177:
	v_add_co_u32 v1, vcc_lo, 0x2000, v35
	v_add_co_ci_u32_e32 v2, vcc_lo, 0, v36, vcc_lo
	global_load_b64 v[11:12], v[1:2], off offset:2048
	s_or_b32 exec_lo, exec_lo, s2
	s_delay_alu instid0(SALU_CYCLE_1)
	s_mov_b32 s2, exec_lo
	v_cmpx_gt_u32_e64 s18, v74
	s_cbranch_execz .LBB92_10
.LBB92_178:
	v_add_co_u32 v1, vcc_lo, 0x3000, v35
	v_add_co_ci_u32_e32 v2, vcc_lo, 0, v36, vcc_lo
	global_load_b64 v[13:14], v[1:2], off
	s_or_b32 exec_lo, exec_lo, s2
	s_delay_alu instid0(SALU_CYCLE_1)
	s_mov_b32 s2, exec_lo
	v_cmpx_gt_u32_e64 s18, v73
	s_cbranch_execz .LBB92_11
.LBB92_179:
	v_add_co_u32 v1, vcc_lo, 0x3000, v35
	v_add_co_ci_u32_e32 v2, vcc_lo, 0, v36, vcc_lo
	global_load_b64 v[15:16], v[1:2], off offset:2048
	s_or_b32 exec_lo, exec_lo, s2
	s_delay_alu instid0(SALU_CYCLE_1)
	s_mov_b32 s2, exec_lo
	v_cmpx_gt_u32_e64 s18, v72
	s_cbranch_execz .LBB92_12
.LBB92_180:
	v_add_co_u32 v1, vcc_lo, 0x4000, v35
	v_add_co_ci_u32_e32 v2, vcc_lo, 0, v36, vcc_lo
	global_load_b64 v[17:18], v[1:2], off
	s_or_b32 exec_lo, exec_lo, s2
	s_delay_alu instid0(SALU_CYCLE_1)
	s_mov_b32 s2, exec_lo
	v_cmpx_gt_u32_e64 s18, v71
	s_cbranch_execz .LBB92_13
.LBB92_181:
	v_add_co_u32 v1, vcc_lo, 0x4000, v35
	v_add_co_ci_u32_e32 v2, vcc_lo, 0, v36, vcc_lo
	global_load_b64 v[19:20], v[1:2], off offset:2048
	s_or_b32 exec_lo, exec_lo, s2
	s_delay_alu instid0(SALU_CYCLE_1)
	s_mov_b32 s2, exec_lo
	v_cmpx_gt_u32_e64 s18, v70
	s_cbranch_execz .LBB92_14
.LBB92_182:
	v_add_co_u32 v1, vcc_lo, 0x5000, v35
	v_add_co_ci_u32_e32 v2, vcc_lo, 0, v36, vcc_lo
	global_load_b64 v[21:22], v[1:2], off
	s_or_b32 exec_lo, exec_lo, s2
	s_delay_alu instid0(SALU_CYCLE_1)
	s_mov_b32 s2, exec_lo
	v_cmpx_gt_u32_e64 s18, v69
	s_cbranch_execz .LBB92_15
.LBB92_183:
	v_add_co_u32 v1, vcc_lo, 0x5000, v35
	v_add_co_ci_u32_e32 v2, vcc_lo, 0, v36, vcc_lo
	global_load_b64 v[23:24], v[1:2], off offset:2048
	s_or_b32 exec_lo, exec_lo, s2
	s_delay_alu instid0(SALU_CYCLE_1)
	s_mov_b32 s2, exec_lo
	v_cmpx_gt_u32_e64 s18, v68
	s_cbranch_execz .LBB92_16
.LBB92_184:
	v_add_co_u32 v1, vcc_lo, 0x6000, v35
	v_add_co_ci_u32_e32 v2, vcc_lo, 0, v36, vcc_lo
	global_load_b64 v[25:26], v[1:2], off
	s_or_b32 exec_lo, exec_lo, s2
	s_delay_alu instid0(SALU_CYCLE_1)
	s_mov_b32 s2, exec_lo
	v_cmpx_gt_u32_e64 s18, v67
	s_cbranch_execz .LBB92_17
.LBB92_185:
	v_add_co_u32 v1, vcc_lo, 0x6000, v35
	v_add_co_ci_u32_e32 v2, vcc_lo, 0, v36, vcc_lo
	global_load_b64 v[27:28], v[1:2], off offset:2048
	s_or_b32 exec_lo, exec_lo, s2
	s_delay_alu instid0(SALU_CYCLE_1)
	s_mov_b32 s2, exec_lo
	v_cmpx_gt_u32_e64 s18, v66
	s_cbranch_execz .LBB92_18
.LBB92_186:
	v_add_co_u32 v1, vcc_lo, 0x7000, v35
	v_add_co_ci_u32_e32 v2, vcc_lo, 0, v36, vcc_lo
	global_load_b64 v[29:30], v[1:2], off
	s_or_b32 exec_lo, exec_lo, s2
	s_delay_alu instid0(SALU_CYCLE_1)
	s_mov_b32 s2, exec_lo
	v_cmpx_gt_u32_e64 s18, v65
	s_cbranch_execnz .LBB92_19
	s_branch .LBB92_20
.LBB92_187:
	s_waitcnt lgkmcnt(15)
	global_store_b64 v[34:35], v[4:5], off
	s_or_b32 exec_lo, exec_lo, s2
	s_delay_alu instid0(SALU_CYCLE_1)
	s_mov_b32 s2, exec_lo
	v_cmpx_gt_u32_e64 s18, v79
	s_cbranch_execz .LBB92_101
.LBB92_188:
	s_waitcnt lgkmcnt(14)
	global_store_b64 v[34:35], v[2:3], off offset:2048
	s_or_b32 exec_lo, exec_lo, s2
	s_delay_alu instid0(SALU_CYCLE_1)
	s_mov_b32 s2, exec_lo
	v_cmpx_gt_u32_e64 s18, v78
	s_cbranch_execz .LBB92_102
.LBB92_189:
	v_add_co_u32 v36, vcc_lo, 0x1000, v34
	v_add_co_ci_u32_e32 v37, vcc_lo, 0, v35, vcc_lo
	s_waitcnt lgkmcnt(13)
	global_store_b64 v[36:37], v[6:7], off
	s_or_b32 exec_lo, exec_lo, s2
	s_delay_alu instid0(SALU_CYCLE_1)
	s_mov_b32 s2, exec_lo
	v_cmpx_gt_u32_e64 s18, v77
	s_cbranch_execz .LBB92_103
.LBB92_190:
	v_add_co_u32 v36, vcc_lo, 0x1000, v34
	v_add_co_ci_u32_e32 v37, vcc_lo, 0, v35, vcc_lo
	s_waitcnt lgkmcnt(12)
	global_store_b64 v[36:37], v[8:9], off offset:2048
	s_or_b32 exec_lo, exec_lo, s2
	s_delay_alu instid0(SALU_CYCLE_1)
	s_mov_b32 s2, exec_lo
	v_cmpx_gt_u32_e64 s18, v76
	s_cbranch_execz .LBB92_104
.LBB92_191:
	v_add_co_u32 v36, vcc_lo, 0x2000, v34
	v_add_co_ci_u32_e32 v37, vcc_lo, 0, v35, vcc_lo
	s_waitcnt lgkmcnt(11)
	global_store_b64 v[36:37], v[10:11], off
	s_or_b32 exec_lo, exec_lo, s2
	s_delay_alu instid0(SALU_CYCLE_1)
	s_mov_b32 s2, exec_lo
	v_cmpx_gt_u32_e64 s18, v75
	s_cbranch_execz .LBB92_105
.LBB92_192:
	v_add_co_u32 v36, vcc_lo, 0x2000, v34
	v_add_co_ci_u32_e32 v37, vcc_lo, 0, v35, vcc_lo
	s_waitcnt lgkmcnt(10)
	global_store_b64 v[36:37], v[12:13], off offset:2048
	s_or_b32 exec_lo, exec_lo, s2
	s_delay_alu instid0(SALU_CYCLE_1)
	s_mov_b32 s2, exec_lo
	v_cmpx_gt_u32_e64 s18, v74
	s_cbranch_execz .LBB92_106
.LBB92_193:
	v_add_co_u32 v36, vcc_lo, 0x3000, v34
	v_add_co_ci_u32_e32 v37, vcc_lo, 0, v35, vcc_lo
	s_waitcnt lgkmcnt(9)
	global_store_b64 v[36:37], v[14:15], off
	s_or_b32 exec_lo, exec_lo, s2
	s_delay_alu instid0(SALU_CYCLE_1)
	s_mov_b32 s2, exec_lo
	v_cmpx_gt_u32_e64 s18, v73
	s_cbranch_execz .LBB92_107
.LBB92_194:
	v_add_co_u32 v36, vcc_lo, 0x3000, v34
	v_add_co_ci_u32_e32 v37, vcc_lo, 0, v35, vcc_lo
	s_waitcnt lgkmcnt(8)
	global_store_b64 v[36:37], v[16:17], off offset:2048
	s_or_b32 exec_lo, exec_lo, s2
	s_delay_alu instid0(SALU_CYCLE_1)
	s_mov_b32 s2, exec_lo
	v_cmpx_gt_u32_e64 s18, v72
	s_cbranch_execz .LBB92_108
.LBB92_195:
	v_add_co_u32 v36, vcc_lo, 0x4000, v34
	v_add_co_ci_u32_e32 v37, vcc_lo, 0, v35, vcc_lo
	s_waitcnt lgkmcnt(7)
	global_store_b64 v[36:37], v[18:19], off
	s_or_b32 exec_lo, exec_lo, s2
	s_delay_alu instid0(SALU_CYCLE_1)
	s_mov_b32 s2, exec_lo
	v_cmpx_gt_u32_e64 s18, v71
	s_cbranch_execz .LBB92_109
.LBB92_196:
	v_add_co_u32 v36, vcc_lo, 0x4000, v34
	v_add_co_ci_u32_e32 v37, vcc_lo, 0, v35, vcc_lo
	s_waitcnt lgkmcnt(6)
	global_store_b64 v[36:37], v[20:21], off offset:2048
	s_or_b32 exec_lo, exec_lo, s2
	s_delay_alu instid0(SALU_CYCLE_1)
	s_mov_b32 s2, exec_lo
	v_cmpx_gt_u32_e64 s18, v70
	s_cbranch_execz .LBB92_110
.LBB92_197:
	v_add_co_u32 v36, vcc_lo, 0x5000, v34
	v_add_co_ci_u32_e32 v37, vcc_lo, 0, v35, vcc_lo
	s_waitcnt lgkmcnt(5)
	global_store_b64 v[36:37], v[22:23], off
	s_or_b32 exec_lo, exec_lo, s2
	s_delay_alu instid0(SALU_CYCLE_1)
	s_mov_b32 s2, exec_lo
	v_cmpx_gt_u32_e64 s18, v69
	s_cbranch_execz .LBB92_111
.LBB92_198:
	v_add_co_u32 v36, vcc_lo, 0x5000, v34
	v_add_co_ci_u32_e32 v37, vcc_lo, 0, v35, vcc_lo
	s_waitcnt lgkmcnt(4)
	global_store_b64 v[36:37], v[24:25], off offset:2048
	s_or_b32 exec_lo, exec_lo, s2
	s_delay_alu instid0(SALU_CYCLE_1)
	s_mov_b32 s2, exec_lo
	v_cmpx_gt_u32_e64 s18, v68
	s_cbranch_execz .LBB92_112
.LBB92_199:
	v_add_co_u32 v36, vcc_lo, 0x6000, v34
	v_add_co_ci_u32_e32 v37, vcc_lo, 0, v35, vcc_lo
	s_waitcnt lgkmcnt(3)
	global_store_b64 v[36:37], v[26:27], off
	s_or_b32 exec_lo, exec_lo, s2
	s_delay_alu instid0(SALU_CYCLE_1)
	s_mov_b32 s2, exec_lo
	v_cmpx_gt_u32_e64 s18, v67
	s_cbranch_execz .LBB92_113
.LBB92_200:
	v_add_co_u32 v36, vcc_lo, 0x6000, v34
	v_add_co_ci_u32_e32 v37, vcc_lo, 0, v35, vcc_lo
	s_waitcnt lgkmcnt(2)
	global_store_b64 v[36:37], v[28:29], off offset:2048
	s_or_b32 exec_lo, exec_lo, s2
	s_delay_alu instid0(SALU_CYCLE_1)
	s_mov_b32 s2, exec_lo
	v_cmpx_gt_u32_e64 s18, v66
	s_cbranch_execz .LBB92_114
.LBB92_201:
	v_add_co_u32 v36, vcc_lo, 0x7000, v34
	v_add_co_ci_u32_e32 v37, vcc_lo, 0, v35, vcc_lo
	s_waitcnt lgkmcnt(1)
	global_store_b64 v[36:37], v[30:31], off
	s_or_b32 exec_lo, exec_lo, s2
	s_delay_alu instid0(SALU_CYCLE_1)
	s_mov_b32 s2, exec_lo
	v_cmpx_gt_u32_e64 s18, v65
	s_cbranch_execnz .LBB92_115
	s_branch .LBB92_116
	.section	.rodata,"a",@progbits
	.p2align	6, 0x0
	.amdhsa_kernel _ZN7rocprim6detail20lookback_scan_kernelILNS0_25lookback_scan_determinismE0ELb1ENS0_19wrapped_scan_configINS_14default_configEyEEPyS6_N6hipcub3MinEyyNS0_19lookback_scan_stateIyLb0ELb1EEEEEvT2_T3_mT5_T4_T7_jPT6_SH_bb
		.amdhsa_group_segment_fixed_size 33792
		.amdhsa_private_segment_fixed_size 0
		.amdhsa_kernarg_size 76
		.amdhsa_user_sgpr_count 15
		.amdhsa_user_sgpr_dispatch_ptr 0
		.amdhsa_user_sgpr_queue_ptr 0
		.amdhsa_user_sgpr_kernarg_segment_ptr 1
		.amdhsa_user_sgpr_dispatch_id 0
		.amdhsa_user_sgpr_private_segment_size 0
		.amdhsa_wavefront_size32 1
		.amdhsa_uses_dynamic_stack 0
		.amdhsa_enable_private_segment 0
		.amdhsa_system_sgpr_workgroup_id_x 1
		.amdhsa_system_sgpr_workgroup_id_y 0
		.amdhsa_system_sgpr_workgroup_id_z 0
		.amdhsa_system_sgpr_workgroup_info 0
		.amdhsa_system_vgpr_workitem_id 0
		.amdhsa_next_free_vgpr 96
		.amdhsa_next_free_sgpr 68
		.amdhsa_reserve_vcc 1
		.amdhsa_float_round_mode_32 0
		.amdhsa_float_round_mode_16_64 0
		.amdhsa_float_denorm_mode_32 3
		.amdhsa_float_denorm_mode_16_64 3
		.amdhsa_dx10_clamp 1
		.amdhsa_ieee_mode 1
		.amdhsa_fp16_overflow 0
		.amdhsa_workgroup_processor_mode 1
		.amdhsa_memory_ordered 1
		.amdhsa_forward_progress 0
		.amdhsa_shared_vgpr_count 0
		.amdhsa_exception_fp_ieee_invalid_op 0
		.amdhsa_exception_fp_denorm_src 0
		.amdhsa_exception_fp_ieee_div_zero 0
		.amdhsa_exception_fp_ieee_overflow 0
		.amdhsa_exception_fp_ieee_underflow 0
		.amdhsa_exception_fp_ieee_inexact 0
		.amdhsa_exception_int_div_zero 0
	.end_amdhsa_kernel
	.section	.text._ZN7rocprim6detail20lookback_scan_kernelILNS0_25lookback_scan_determinismE0ELb1ENS0_19wrapped_scan_configINS_14default_configEyEEPyS6_N6hipcub3MinEyyNS0_19lookback_scan_stateIyLb0ELb1EEEEEvT2_T3_mT5_T4_T7_jPT6_SH_bb,"axG",@progbits,_ZN7rocprim6detail20lookback_scan_kernelILNS0_25lookback_scan_determinismE0ELb1ENS0_19wrapped_scan_configINS_14default_configEyEEPyS6_N6hipcub3MinEyyNS0_19lookback_scan_stateIyLb0ELb1EEEEEvT2_T3_mT5_T4_T7_jPT6_SH_bb,comdat
.Lfunc_end92:
	.size	_ZN7rocprim6detail20lookback_scan_kernelILNS0_25lookback_scan_determinismE0ELb1ENS0_19wrapped_scan_configINS_14default_configEyEEPyS6_N6hipcub3MinEyyNS0_19lookback_scan_stateIyLb0ELb1EEEEEvT2_T3_mT5_T4_T7_jPT6_SH_bb, .Lfunc_end92-_ZN7rocprim6detail20lookback_scan_kernelILNS0_25lookback_scan_determinismE0ELb1ENS0_19wrapped_scan_configINS_14default_configEyEEPyS6_N6hipcub3MinEyyNS0_19lookback_scan_stateIyLb0ELb1EEEEEvT2_T3_mT5_T4_T7_jPT6_SH_bb
                                        ; -- End function
	.section	.AMDGPU.csdata,"",@progbits
; Kernel info:
; codeLenInByte = 11108
; NumSgprs: 70
; NumVgprs: 96
; ScratchSize: 0
; MemoryBound: 1
; FloatMode: 240
; IeeeMode: 1
; LDSByteSize: 33792 bytes/workgroup (compile time only)
; SGPRBlocks: 8
; VGPRBlocks: 11
; NumSGPRsForWavesPerEU: 70
; NumVGPRsForWavesPerEU: 96
; Occupancy: 6
; WaveLimiterHint : 1
; COMPUTE_PGM_RSRC2:SCRATCH_EN: 0
; COMPUTE_PGM_RSRC2:USER_SGPR: 15
; COMPUTE_PGM_RSRC2:TRAP_HANDLER: 0
; COMPUTE_PGM_RSRC2:TGID_X_EN: 1
; COMPUTE_PGM_RSRC2:TGID_Y_EN: 0
; COMPUTE_PGM_RSRC2:TGID_Z_EN: 0
; COMPUTE_PGM_RSRC2:TIDIG_COMP_CNT: 0
	.section	.text._ZN7rocprim6detail18single_scan_kernelILb1ENS0_19wrapped_scan_configINS_14default_configEyEEPyS5_N6hipcub3MinEyyEEvT1_mT4_T2_T3_,"axG",@progbits,_ZN7rocprim6detail18single_scan_kernelILb1ENS0_19wrapped_scan_configINS_14default_configEyEEPyS5_N6hipcub3MinEyyEEvT1_mT4_T2_T3_,comdat
	.protected	_ZN7rocprim6detail18single_scan_kernelILb1ENS0_19wrapped_scan_configINS_14default_configEyEEPyS5_N6hipcub3MinEyyEEvT1_mT4_T2_T3_ ; -- Begin function _ZN7rocprim6detail18single_scan_kernelILb1ENS0_19wrapped_scan_configINS_14default_configEyEEPyS5_N6hipcub3MinEyyEEvT1_mT4_T2_T3_
	.globl	_ZN7rocprim6detail18single_scan_kernelILb1ENS0_19wrapped_scan_configINS_14default_configEyEEPyS5_N6hipcub3MinEyyEEvT1_mT4_T2_T3_
	.p2align	8
	.type	_ZN7rocprim6detail18single_scan_kernelILb1ENS0_19wrapped_scan_configINS_14default_configEyEEPyS5_N6hipcub3MinEyyEEvT1_mT4_T2_T3_,@function
_ZN7rocprim6detail18single_scan_kernelILb1ENS0_19wrapped_scan_configINS_14default_configEyEEPyS5_N6hipcub3MinEyyEEvT1_mT4_T2_T3_: ; @_ZN7rocprim6detail18single_scan_kernelILb1ENS0_19wrapped_scan_configINS_14default_configEyEEPyS5_N6hipcub3MinEyyEEvT1_mT4_T2_T3_
; %bb.0:
	s_load_b256 s[36:43], s[0:1], 0x0
	s_waitcnt lgkmcnt(0)
	s_load_b64 s[0:1], s[36:37], 0x0
	v_cmp_gt_u32_e32 vcc_lo, s38, v0
	s_waitcnt lgkmcnt(0)
	s_mov_b32 s2, s0
	s_mov_b32 s3, s1
	;; [unrolled: 1-line block ×30, first 2 shown]
	s_delay_alu instid0(SALU_CYCLE_1) | instskip(SKIP_2) | instid1(VALU_DEP_3)
	v_dual_mov_b32 v32, s31 :: v_dual_lshlrev_b32 v53, 3, v0
	v_dual_mov_b32 v1, s0 :: v_dual_mov_b32 v34, s1
	v_dual_mov_b32 v31, s30 :: v_dual_mov_b32 v30, s29
	v_add_co_u32 v35, s33, s36, v53
	s_delay_alu instid0(VALU_DEP_1)
	v_add_co_ci_u32_e64 v36, null, s37, 0, s33
	v_dual_mov_b32 v29, s28 :: v_dual_mov_b32 v28, s27
	v_dual_mov_b32 v27, s26 :: v_dual_mov_b32 v26, s25
	;; [unrolled: 1-line block ×14, first 2 shown]
	v_mov_b32_e32 v33, s0
	s_and_saveexec_b32 s33, vcc_lo
	s_cbranch_execz .LBB93_2
; %bb.1:
	global_load_b64 v[33:34], v[35:36], off
	v_dual_mov_b32 v32, s31 :: v_dual_mov_b32 v31, s30
	v_dual_mov_b32 v30, s29 :: v_dual_mov_b32 v29, s28
	;; [unrolled: 1-line block ×16, first 2 shown]
.LBB93_2:
	s_or_b32 exec_lo, exec_lo, s33
	v_or_b32_e32 v1, 0x100, v0
	s_delay_alu instid0(VALU_DEP_1) | instskip(NEXT) | instid1(VALU_DEP_1)
	v_cmp_gt_u32_e64 s0, s38, v1
	s_and_saveexec_b32 s1, s0
	s_cbranch_execz .LBB93_4
; %bb.3:
	global_load_b64 v[3:4], v[35:36], off offset:2048
.LBB93_4:
	s_or_b32 exec_lo, exec_lo, s1
	v_or_b32_e32 v2, 0x200, v0
	s_delay_alu instid0(VALU_DEP_1) | instskip(NEXT) | instid1(VALU_DEP_1)
	v_cmp_gt_u32_e64 s1, s38, v2
	s_and_saveexec_b32 s3, s1
	s_cbranch_execz .LBB93_6
; %bb.5:
	v_add_co_u32 v5, s2, 0x1000, v35
	s_delay_alu instid0(VALU_DEP_1)
	v_add_co_ci_u32_e64 v6, s2, 0, v36, s2
	global_load_b64 v[5:6], v[5:6], off
.LBB93_6:
	s_or_b32 exec_lo, exec_lo, s3
	v_or_b32_e32 v37, 0x300, v0
	s_delay_alu instid0(VALU_DEP_1) | instskip(NEXT) | instid1(VALU_DEP_1)
	v_cmp_gt_u32_e64 s2, s38, v37
	s_and_saveexec_b32 s4, s2
	s_cbranch_execz .LBB93_8
; %bb.7:
	v_add_co_u32 v7, s3, 0x1000, v35
	s_delay_alu instid0(VALU_DEP_1)
	v_add_co_ci_u32_e64 v8, s3, 0, v36, s3
	global_load_b64 v[7:8], v[7:8], off offset:2048
.LBB93_8:
	s_or_b32 exec_lo, exec_lo, s4
	v_or_b32_e32 v38, 0x400, v0
	s_delay_alu instid0(VALU_DEP_1) | instskip(NEXT) | instid1(VALU_DEP_1)
	v_cmp_gt_u32_e64 s3, s38, v38
	s_and_saveexec_b32 s5, s3
	s_cbranch_execz .LBB93_10
; %bb.9:
	v_add_co_u32 v9, s4, 0x2000, v35
	s_delay_alu instid0(VALU_DEP_1)
	v_add_co_ci_u32_e64 v10, s4, 0, v36, s4
	global_load_b64 v[9:10], v[9:10], off
.LBB93_10:
	s_or_b32 exec_lo, exec_lo, s5
	v_or_b32_e32 v39, 0x500, v0
	s_delay_alu instid0(VALU_DEP_1) | instskip(NEXT) | instid1(VALU_DEP_1)
	v_cmp_gt_u32_e64 s4, s38, v39
	s_and_saveexec_b32 s6, s4
	s_cbranch_execz .LBB93_12
; %bb.11:
	v_add_co_u32 v11, s5, 0x2000, v35
	s_delay_alu instid0(VALU_DEP_1)
	v_add_co_ci_u32_e64 v12, s5, 0, v36, s5
	global_load_b64 v[11:12], v[11:12], off offset:2048
.LBB93_12:
	;; [unrolled: 24-line block ×7, first 2 shown]
	s_or_b32 exec_lo, exec_lo, s16
	v_lshrrev_b32_e32 v1, 2, v1
	v_lshrrev_b32_e32 v2, 2, v2
	;; [unrolled: 1-line block ×5, first 2 shown]
	v_and_b32_e32 v1, 0x78, v1
	v_lshrrev_b32_e32 v38, 2, v39
	v_and_b32_e32 v2, 0xf8, v2
	v_and_b32_e32 v35, 56, v35
	s_mov_b32 s16, exec_lo
	v_add_nc_u32_e32 v55, v1, v53
	v_and_b32_e32 v1, 0xf8, v36
	v_add_nc_u32_e32 v56, v2, v53
	v_and_b32_e32 v2, 0x1f8, v38
	v_add_nc_u32_e32 v54, v35, v53
	s_waitcnt vmcnt(0)
	ds_store_b64 v54, v[33:34]
	ds_store_b64 v55, v[3:4] offset:2048
	v_add_nc_u32_e32 v57, v1, v53
	v_lshrrev_b32_e32 v1, 2, v40
	v_add_nc_u32_e32 v59, v2, v53
	v_lshrrev_b32_e32 v2, 2, v41
	v_lshrrev_b32_e32 v3, 2, v42
	;; [unrolled: 1-line block ×3, first 2 shown]
	v_and_b32_e32 v1, 0x1f8, v1
	v_and_b32_e32 v35, 0x1f8, v37
	ds_store_b64 v56, v[5:6] offset:4096
	v_and_b32_e32 v3, 0x3f8, v3
	v_and_b32_e32 v4, 0x3f8, v4
	v_add_nc_u32_e32 v60, v1, v53
	v_and_b32_e32 v1, 0x1f8, v2
	v_lshrrev_b32_e32 v2, 2, v44
	v_add_nc_u32_e32 v62, v3, v53
	v_lshrrev_b32_e32 v3, 2, v47
	v_add_nc_u32_e32 v63, v4, v53
	v_add_nc_u32_e32 v61, v1, v53
	v_and_b32_e32 v1, 0x3f8, v2
	v_lshrrev_b32_e32 v2, 2, v45
	v_and_b32_e32 v3, 0x3f8, v3
	v_lshrrev_b32_e32 v4, 2, v48
	v_add_nc_u32_e32 v58, v35, v53
	v_add_nc_u32_e32 v64, v1, v53
	v_and_b32_e32 v1, 0x3f8, v2
	v_lshrrev_b32_e32 v2, 2, v46
	v_add_nc_u32_e32 v67, v3, v53
	v_lshrrev_b32_e32 v3, 1, v0
	v_and_b32_e32 v4, 0x3f8, v4
	v_add_nc_u32_e32 v65, v1, v53
	v_and_b32_e32 v1, 0x3f8, v2
	v_lshrrev_b32_e32 v2, 2, v49
	ds_store_b64 v57, v[7:8] offset:6144
	ds_store_b64 v58, v[9:10] offset:8192
	v_add_nc_u32_e32 v68, v4, v53
	ds_store_b64 v59, v[11:12] offset:10240
	v_add_nc_u32_e32 v66, v1, v53
	v_and_b32_e32 v1, 0x3f8, v2
	v_lshlrev_b32_e32 v2, 4, v0
	ds_store_b64 v60, v[13:14] offset:12288
	ds_store_b64 v61, v[15:16] offset:14336
	;; [unrolled: 1-line block ×4, first 2 shown]
	v_add_nc_u32_e32 v69, v1, v53
	v_add_lshl_u32 v70, v3, v2, 3
	ds_store_b64 v64, v[21:22] offset:20480
	ds_store_b64 v65, v[23:24] offset:22528
	;; [unrolled: 1-line block ×6, first 2 shown]
	s_waitcnt lgkmcnt(0)
	s_barrier
	buffer_gl0_inv
	ds_load_2addr_b64 v[5:8], v70 offset1:1
	ds_load_2addr_b64 v[1:4], v70 offset0:2 offset1:3
	ds_load_2addr_b64 v[17:20], v70 offset0:4 offset1:5
	;; [unrolled: 1-line block ×6, first 2 shown]
	s_waitcnt lgkmcnt(6)
	v_cmp_lt_u64_e64 s15, v[5:6], v[7:8]
	s_delay_alu instid0(VALU_DEP_1) | instskip(SKIP_2) | instid1(VALU_DEP_1)
	v_cndmask_b32_e64 v10, v8, v6, s15
	v_cndmask_b32_e64 v9, v7, v5, s15
	s_waitcnt lgkmcnt(5)
	v_cmp_lt_u64_e64 s15, v[9:10], v[1:2]
	s_delay_alu instid0(VALU_DEP_1) | instskip(SKIP_1) | instid1(VALU_DEP_1)
	v_cndmask_b32_e64 v10, v2, v10, s15
	v_cndmask_b32_e64 v9, v1, v9, s15
	v_cmp_lt_u64_e64 s15, v[9:10], v[3:4]
	s_delay_alu instid0(VALU_DEP_1) | instskip(SKIP_2) | instid1(VALU_DEP_1)
	v_cndmask_b32_e64 v10, v4, v10, s15
	v_cndmask_b32_e64 v9, v3, v9, s15
	s_waitcnt lgkmcnt(4)
	v_cmp_lt_u64_e64 s15, v[9:10], v[17:18]
	s_delay_alu instid0(VALU_DEP_1) | instskip(SKIP_1) | instid1(VALU_DEP_1)
	v_cndmask_b32_e64 v10, v18, v10, s15
	v_cndmask_b32_e64 v9, v17, v9, s15
	;; [unrolled: 9-line block ×5, first 2 shown]
	v_cmp_lt_u64_e64 s15, v[9:10], v[23:24]
	s_delay_alu instid0(VALU_DEP_1)
	v_cndmask_b32_e64 v34, v24, v10, s15
	v_cndmask_b32_e64 v33, v23, v9, s15
	ds_load_2addr_b64 v[9:12], v70 offset0:14 offset1:15
	s_waitcnt lgkmcnt(0)
	s_barrier
	buffer_gl0_inv
	v_cmp_lt_u64_e64 s15, v[33:34], v[29:30]
	s_delay_alu instid0(VALU_DEP_1) | instskip(SKIP_1) | instid1(VALU_DEP_1)
	v_cndmask_b32_e64 v34, v30, v34, s15
	v_cndmask_b32_e64 v33, v29, v33, s15
	v_cmp_lt_u64_e64 s15, v[33:34], v[31:32]
	s_delay_alu instid0(VALU_DEP_1) | instskip(SKIP_1) | instid1(VALU_DEP_1)
	v_cndmask_b32_e64 v34, v32, v34, s15
	v_cndmask_b32_e64 v33, v31, v33, s15
	;; [unrolled: 4-line block ×3, first 2 shown]
	v_cmp_lt_u64_e64 s15, v[33:34], v[11:12]
	s_delay_alu instid0(VALU_DEP_1)
	v_cndmask_b32_e64 v12, v12, v34, s15
	v_cndmask_b32_e64 v11, v11, v33, s15
	ds_store_b64 v54, v[11:12]
	s_waitcnt lgkmcnt(0)
	s_barrier
	buffer_gl0_inv
	v_cmpx_gt_u32_e32 32, v0
	s_cbranch_execz .LBB93_44
; %bb.33:
	v_lshlrev_b32_e32 v33, 1, v0
	v_mbcnt_lo_u32_b32 v72, -1, 0
	s_mov_b32 s17, exec_lo
	s_delay_alu instid0(VALU_DEP_2) | instskip(NEXT) | instid1(VALU_DEP_2)
	v_and_b32_e32 v33, 0x1f8, v33
	v_and_b32_e32 v73, 15, v72
	s_delay_alu instid0(VALU_DEP_2)
	v_lshl_or_b32 v71, v0, 6, v33
	ds_load_2addr_b64 v[37:40], v71 offset1:1
	ds_load_2addr_b64 v[33:36], v71 offset0:2 offset1:3
	ds_load_2addr_b64 v[41:44], v71 offset0:4 offset1:5
	s_waitcnt lgkmcnt(2)
	v_cmp_lt_u64_e64 s15, v[37:38], v[39:40]
	s_delay_alu instid0(VALU_DEP_1) | instskip(SKIP_2) | instid1(VALU_DEP_1)
	v_cndmask_b32_e64 v46, v40, v38, s15
	v_cndmask_b32_e64 v45, v39, v37, s15
	s_waitcnt lgkmcnt(1)
	v_cmp_lt_u64_e64 s15, v[45:46], v[33:34]
	s_delay_alu instid0(VALU_DEP_1) | instskip(SKIP_1) | instid1(VALU_DEP_1)
	v_cndmask_b32_e64 v46, v34, v46, s15
	v_cndmask_b32_e64 v45, v33, v45, s15
	v_cmp_lt_u64_e64 s15, v[45:46], v[35:36]
	s_delay_alu instid0(VALU_DEP_1) | instskip(SKIP_4) | instid1(VALU_DEP_1)
	v_cndmask_b32_e64 v50, v36, v46, s15
	v_cndmask_b32_e64 v49, v35, v45, s15
	ds_load_2addr_b64 v[45:48], v71 offset0:6 offset1:7
	s_waitcnt lgkmcnt(1)
	v_cmp_lt_u64_e64 s15, v[49:50], v[41:42]
	v_cndmask_b32_e64 v50, v42, v50, s15
	v_cndmask_b32_e64 v49, v41, v49, s15
	s_delay_alu instid0(VALU_DEP_1) | instskip(NEXT) | instid1(VALU_DEP_1)
	v_cmp_lt_u64_e64 s15, v[49:50], v[43:44]
	v_cndmask_b32_e64 v50, v44, v50, s15
	v_cndmask_b32_e64 v49, v43, v49, s15
	s_waitcnt lgkmcnt(0)
	s_delay_alu instid0(VALU_DEP_1) | instskip(NEXT) | instid1(VALU_DEP_1)
	v_cmp_lt_u64_e64 s15, v[49:50], v[45:46]
	v_cndmask_b32_e64 v50, v46, v50, s15
	v_cndmask_b32_e64 v49, v45, v49, s15
	s_delay_alu instid0(VALU_DEP_1) | instskip(NEXT) | instid1(VALU_DEP_1)
	v_cmp_lt_u64_e64 s15, v[49:50], v[47:48]
	v_cndmask_b32_e64 v50, v48, v50, s15
	v_cndmask_b32_e64 v49, v47, v49, s15
	s_delay_alu instid0(VALU_DEP_2) | instskip(NEXT) | instid1(VALU_DEP_2)
	v_mov_b32_dpp v52, v50 row_shr:1 row_mask:0xf bank_mask:0xf
	v_mov_b32_dpp v51, v49 row_shr:1 row_mask:0xf bank_mask:0xf
	v_cmpx_ne_u32_e32 0, v73
; %bb.34:
	s_delay_alu instid0(VALU_DEP_2) | instskip(NEXT) | instid1(VALU_DEP_1)
	v_cmp_lt_u64_e64 s15, v[51:52], v[49:50]
	v_cndmask_b32_e64 v50, v50, v52, s15
	v_cndmask_b32_e64 v49, v49, v51, s15
; %bb.35:
	s_or_b32 exec_lo, exec_lo, s17
	s_delay_alu instid0(VALU_DEP_1) | instskip(NEXT) | instid1(VALU_DEP_3)
	v_mov_b32_dpp v51, v49 row_shr:2 row_mask:0xf bank_mask:0xf
	v_mov_b32_dpp v52, v50 row_shr:2 row_mask:0xf bank_mask:0xf
	s_mov_b32 s17, exec_lo
	v_cmpx_lt_u32_e32 1, v73
; %bb.36:
	s_delay_alu instid0(VALU_DEP_2) | instskip(NEXT) | instid1(VALU_DEP_1)
	v_cmp_lt_u64_e64 s15, v[51:52], v[49:50]
	v_cndmask_b32_e64 v50, v50, v52, s15
	v_cndmask_b32_e64 v49, v49, v51, s15
; %bb.37:
	s_or_b32 exec_lo, exec_lo, s17
	s_delay_alu instid0(VALU_DEP_1) | instskip(NEXT) | instid1(VALU_DEP_3)
	v_mov_b32_dpp v51, v49 row_shr:4 row_mask:0xf bank_mask:0xf
	v_mov_b32_dpp v52, v50 row_shr:4 row_mask:0xf bank_mask:0xf
	s_mov_b32 s17, exec_lo
	v_cmpx_lt_u32_e32 3, v73
; %bb.38:
	s_delay_alu instid0(VALU_DEP_2) | instskip(NEXT) | instid1(VALU_DEP_1)
	v_cmp_lt_u64_e64 s15, v[51:52], v[49:50]
	v_cndmask_b32_e64 v50, v50, v52, s15
	v_cndmask_b32_e64 v49, v49, v51, s15
; %bb.39:
	s_or_b32 exec_lo, exec_lo, s17
	s_delay_alu instid0(VALU_DEP_1) | instskip(NEXT) | instid1(VALU_DEP_3)
	v_mov_b32_dpp v51, v49 row_shr:8 row_mask:0xf bank_mask:0xf
	v_mov_b32_dpp v52, v50 row_shr:8 row_mask:0xf bank_mask:0xf
	s_mov_b32 s17, exec_lo
	v_cmpx_lt_u32_e32 7, v73
; %bb.40:
	s_delay_alu instid0(VALU_DEP_2) | instskip(NEXT) | instid1(VALU_DEP_1)
	v_cmp_lt_u64_e64 s15, v[51:52], v[49:50]
	v_cndmask_b32_e64 v50, v50, v52, s15
	v_cndmask_b32_e64 v49, v49, v51, s15
; %bb.41:
	s_or_b32 exec_lo, exec_lo, s17
	ds_swizzle_b32 v51, v49 offset:swizzle(BROADCAST,32,15)
	ds_swizzle_b32 v52, v50 offset:swizzle(BROADCAST,32,15)
	v_and_b32_e32 v73, 16, v72
	s_mov_b32 s17, exec_lo
	s_delay_alu instid0(VALU_DEP_1)
	v_cmpx_ne_u32_e32 0, v73
	s_cbranch_execz .LBB93_43
; %bb.42:
	s_waitcnt lgkmcnt(0)
	v_cmp_lt_u64_e64 s15, v[51:52], v[49:50]
	s_delay_alu instid0(VALU_DEP_1)
	v_cndmask_b32_e64 v49, v49, v51, s15
	v_cndmask_b32_e64 v50, v50, v52, s15
.LBB93_43:
	s_or_b32 exec_lo, exec_lo, s17
	s_waitcnt lgkmcnt(1)
	v_add_nc_u32_e32 v51, -1, v72
	s_delay_alu instid0(VALU_DEP_1) | instskip(NEXT) | instid1(VALU_DEP_1)
	v_cmp_gt_i32_e64 s15, 0, v51
	v_cndmask_b32_e64 v51, v51, v72, s15
	s_delay_alu instid0(VALU_DEP_1) | instskip(SKIP_4) | instid1(VALU_DEP_1)
	v_lshlrev_b32_e32 v51, 2, v51
	ds_bpermute_b32 v49, v51, v49
	ds_bpermute_b32 v50, v51, v50
	s_waitcnt lgkmcnt(0)
	v_cmp_lt_u64_e64 s15, v[49:50], v[37:38]
	v_cndmask_b32_e64 v37, v37, v49, s15
	v_cndmask_b32_e64 v38, v38, v50, s15
	v_cmp_eq_u32_e64 s15, 0, v0
	s_delay_alu instid0(VALU_DEP_1) | instskip(NEXT) | instid1(VALU_DEP_4)
	v_cndmask_b32_e64 v12, v38, v12, s15
	v_cndmask_b32_e64 v11, v37, v11, s15
	s_delay_alu instid0(VALU_DEP_1) | instskip(NEXT) | instid1(VALU_DEP_1)
	v_cmp_lt_u64_e64 s15, v[11:12], v[39:40]
	v_cndmask_b32_e64 v38, v40, v12, s15
	v_cndmask_b32_e64 v37, v39, v11, s15
	s_delay_alu instid0(VALU_DEP_1) | instskip(NEXT) | instid1(VALU_DEP_1)
	v_cmp_lt_u64_e64 s15, v[37:38], v[33:34]
	;; [unrolled: 4-line block ×7, first 2 shown]
	v_cndmask_b32_e64 v46, v48, v44, s15
	v_cndmask_b32_e64 v45, v47, v43, s15
	ds_store_2addr_b64 v71, v[11:12], v[37:38] offset1:1
	ds_store_2addr_b64 v71, v[33:34], v[35:36] offset0:2 offset1:3
	ds_store_2addr_b64 v71, v[39:40], v[41:42] offset0:4 offset1:5
	;; [unrolled: 1-line block ×3, first 2 shown]
.LBB93_44:
	s_or_b32 exec_lo, exec_lo, s16
	v_dual_mov_b32 v11, s40 :: v_dual_mov_b32 v12, s41
	s_mov_b32 s16, exec_lo
	s_waitcnt lgkmcnt(0)
	s_barrier
	buffer_gl0_inv
	v_cmpx_ne_u32_e32 0, v0
	s_cbranch_execz .LBB93_46
; %bb.45:
	v_add_nc_u32_e32 v0, -1, v0
	s_delay_alu instid0(VALU_DEP_1) | instskip(NEXT) | instid1(VALU_DEP_1)
	v_lshrrev_b32_e32 v11, 5, v0
	v_add_lshl_u32 v0, v11, v0, 3
	ds_load_b64 v[11:12], v0
	s_waitcnt lgkmcnt(0)
	v_cmp_lt_u64_e64 s15, s[40:41], v[11:12]
	s_delay_alu instid0(VALU_DEP_1)
	v_cndmask_b32_e64 v12, v12, s41, s15
	v_cndmask_b32_e64 v11, v11, s40, s15
.LBB93_46:
	s_or_b32 exec_lo, exec_lo, s16
	s_delay_alu instid0(VALU_DEP_1) | instskip(SKIP_4) | instid1(VALU_DEP_1)
	v_cmp_lt_u64_e64 s15, v[11:12], v[5:6]
	s_barrier
	buffer_gl0_inv
	v_cndmask_b32_e64 v6, v6, v12, s15
	v_cndmask_b32_e64 v5, v5, v11, s15
	v_cmp_lt_u64_e64 s15, v[5:6], v[7:8]
	s_delay_alu instid0(VALU_DEP_1) | instskip(SKIP_1) | instid1(VALU_DEP_1)
	v_cndmask_b32_e64 v8, v8, v6, s15
	v_cndmask_b32_e64 v7, v7, v5, s15
	v_cmp_lt_u64_e64 s15, v[7:8], v[1:2]
	s_delay_alu instid0(VALU_DEP_1) | instskip(SKIP_4) | instid1(VALU_DEP_1)
	v_cndmask_b32_e64 v2, v2, v8, s15
	v_cndmask_b32_e64 v1, v1, v7, s15
	ds_store_2addr_b64 v70, v[11:12], v[5:6] offset1:1
	ds_store_2addr_b64 v70, v[7:8], v[1:2] offset0:2 offset1:3
	v_cmp_lt_u64_e64 s15, v[1:2], v[3:4]
	v_cndmask_b32_e64 v4, v4, v2, s15
	v_cndmask_b32_e64 v3, v3, v1, s15
	s_delay_alu instid0(VALU_DEP_1) | instskip(NEXT) | instid1(VALU_DEP_1)
	v_cmp_lt_u64_e64 s15, v[3:4], v[17:18]
	v_cndmask_b32_e64 v18, v18, v4, s15
	v_cndmask_b32_e64 v17, v17, v3, s15
	s_delay_alu instid0(VALU_DEP_1) | instskip(NEXT) | instid1(VALU_DEP_1)
	;; [unrolled: 4-line block ×11, first 2 shown]
	v_cmp_lt_u64_e64 s15, v[31:32], v[9:10]
	v_cndmask_b32_e64 v1, v10, v32, s15
	v_cndmask_b32_e64 v0, v9, v31, s15
	ds_store_2addr_b64 v70, v[3:4], v[17:18] offset0:4 offset1:5
	ds_store_2addr_b64 v70, v[19:20], v[13:14] offset0:6 offset1:7
	;; [unrolled: 1-line block ×6, first 2 shown]
	s_waitcnt lgkmcnt(0)
	s_barrier
	buffer_gl0_inv
	ds_load_b64 v[30:31], v55 offset:2048
	ds_load_b64 v[28:29], v56 offset:4096
	;; [unrolled: 1-line block ×15, first 2 shown]
	v_add_co_u32 v2, s15, s42, v53
	s_delay_alu instid0(VALU_DEP_1)
	v_add_co_ci_u32_e64 v3, null, s43, 0, s15
	s_and_saveexec_b32 s15, vcc_lo
	s_cbranch_execnz .LBB93_63
; %bb.47:
	s_or_b32 exec_lo, exec_lo, s15
	s_and_saveexec_b32 s15, s0
	s_cbranch_execnz .LBB93_64
.LBB93_48:
	s_or_b32 exec_lo, exec_lo, s15
	s_and_saveexec_b32 s0, s1
	s_cbranch_execnz .LBB93_65
.LBB93_49:
	s_or_b32 exec_lo, exec_lo, s0
	s_and_saveexec_b32 s0, s2
	s_cbranch_execnz .LBB93_66
.LBB93_50:
	s_or_b32 exec_lo, exec_lo, s0
	s_and_saveexec_b32 s0, s3
	s_cbranch_execnz .LBB93_67
.LBB93_51:
	s_or_b32 exec_lo, exec_lo, s0
	s_and_saveexec_b32 s0, s4
	s_cbranch_execnz .LBB93_68
.LBB93_52:
	s_or_b32 exec_lo, exec_lo, s0
	s_and_saveexec_b32 s0, s5
	s_cbranch_execnz .LBB93_69
.LBB93_53:
	s_or_b32 exec_lo, exec_lo, s0
	s_and_saveexec_b32 s0, s6
	s_cbranch_execnz .LBB93_70
.LBB93_54:
	s_or_b32 exec_lo, exec_lo, s0
	s_and_saveexec_b32 s0, s7
	s_cbranch_execnz .LBB93_71
.LBB93_55:
	s_or_b32 exec_lo, exec_lo, s0
	s_and_saveexec_b32 s0, s8
	s_cbranch_execnz .LBB93_72
.LBB93_56:
	s_or_b32 exec_lo, exec_lo, s0
	s_and_saveexec_b32 s0, s9
	s_cbranch_execnz .LBB93_73
.LBB93_57:
	s_or_b32 exec_lo, exec_lo, s0
	s_and_saveexec_b32 s0, s10
	s_cbranch_execnz .LBB93_74
.LBB93_58:
	s_or_b32 exec_lo, exec_lo, s0
	s_and_saveexec_b32 s0, s11
	s_cbranch_execnz .LBB93_75
.LBB93_59:
	s_or_b32 exec_lo, exec_lo, s0
	s_and_saveexec_b32 s0, s12
	s_cbranch_execnz .LBB93_76
.LBB93_60:
	s_or_b32 exec_lo, exec_lo, s0
	s_and_saveexec_b32 s0, s13
	s_cbranch_execnz .LBB93_77
.LBB93_61:
	s_or_b32 exec_lo, exec_lo, s0
	s_and_saveexec_b32 s0, s14
	s_cbranch_execnz .LBB93_78
.LBB93_62:
	s_nop 0
	s_sendmsg sendmsg(MSG_DEALLOC_VGPRS)
	s_endpgm
.LBB93_63:
	ds_load_b64 v[32:33], v54
	s_waitcnt lgkmcnt(0)
	global_store_b64 v[2:3], v[32:33], off
	s_or_b32 exec_lo, exec_lo, s15
	s_and_saveexec_b32 s15, s0
	s_cbranch_execz .LBB93_48
.LBB93_64:
	s_waitcnt lgkmcnt(14)
	global_store_b64 v[2:3], v[30:31], off offset:2048
	s_or_b32 exec_lo, exec_lo, s15
	s_and_saveexec_b32 s0, s1
	s_cbranch_execz .LBB93_49
.LBB93_65:
	s_waitcnt lgkmcnt(14)
	v_add_co_u32 v30, vcc_lo, 0x1000, v2
	v_add_co_ci_u32_e32 v31, vcc_lo, 0, v3, vcc_lo
	s_waitcnt lgkmcnt(13)
	global_store_b64 v[30:31], v[28:29], off
	s_or_b32 exec_lo, exec_lo, s0
	s_and_saveexec_b32 s0, s2
	s_cbranch_execz .LBB93_50
.LBB93_66:
	s_waitcnt lgkmcnt(13)
	v_add_co_u32 v28, vcc_lo, 0x1000, v2
	v_add_co_ci_u32_e32 v29, vcc_lo, 0, v3, vcc_lo
	s_waitcnt lgkmcnt(12)
	global_store_b64 v[28:29], v[26:27], off offset:2048
	s_or_b32 exec_lo, exec_lo, s0
	s_and_saveexec_b32 s0, s3
	s_cbranch_execz .LBB93_51
.LBB93_67:
	s_waitcnt lgkmcnt(12)
	v_add_co_u32 v26, vcc_lo, 0x2000, v2
	v_add_co_ci_u32_e32 v27, vcc_lo, 0, v3, vcc_lo
	s_waitcnt lgkmcnt(11)
	global_store_b64 v[26:27], v[24:25], off
	s_or_b32 exec_lo, exec_lo, s0
	s_and_saveexec_b32 s0, s4
	s_cbranch_execz .LBB93_52
.LBB93_68:
	s_waitcnt lgkmcnt(11)
	v_add_co_u32 v24, vcc_lo, 0x2000, v2
	v_add_co_ci_u32_e32 v25, vcc_lo, 0, v3, vcc_lo
	s_waitcnt lgkmcnt(10)
	global_store_b64 v[24:25], v[22:23], off offset:2048
	s_or_b32 exec_lo, exec_lo, s0
	s_and_saveexec_b32 s0, s5
	s_cbranch_execz .LBB93_53
.LBB93_69:
	s_waitcnt lgkmcnt(10)
	v_add_co_u32 v22, vcc_lo, 0x3000, v2
	v_add_co_ci_u32_e32 v23, vcc_lo, 0, v3, vcc_lo
	s_waitcnt lgkmcnt(9)
	global_store_b64 v[22:23], v[20:21], off
	s_or_b32 exec_lo, exec_lo, s0
	s_and_saveexec_b32 s0, s6
	s_cbranch_execz .LBB93_54
.LBB93_70:
	s_waitcnt lgkmcnt(9)
	v_add_co_u32 v20, vcc_lo, 0x3000, v2
	v_add_co_ci_u32_e32 v21, vcc_lo, 0, v3, vcc_lo
	s_waitcnt lgkmcnt(8)
	global_store_b64 v[20:21], v[18:19], off offset:2048
	s_or_b32 exec_lo, exec_lo, s0
	s_and_saveexec_b32 s0, s7
	s_cbranch_execz .LBB93_55
.LBB93_71:
	s_waitcnt lgkmcnt(8)
	v_add_co_u32 v18, vcc_lo, 0x4000, v2
	v_add_co_ci_u32_e32 v19, vcc_lo, 0, v3, vcc_lo
	s_waitcnt lgkmcnt(7)
	global_store_b64 v[18:19], v[16:17], off
	s_or_b32 exec_lo, exec_lo, s0
	s_and_saveexec_b32 s0, s8
	s_cbranch_execz .LBB93_56
.LBB93_72:
	s_waitcnt lgkmcnt(7)
	v_add_co_u32 v16, vcc_lo, 0x4000, v2
	v_add_co_ci_u32_e32 v17, vcc_lo, 0, v3, vcc_lo
	s_waitcnt lgkmcnt(6)
	global_store_b64 v[16:17], v[14:15], off offset:2048
	s_or_b32 exec_lo, exec_lo, s0
	s_and_saveexec_b32 s0, s9
	s_cbranch_execz .LBB93_57
.LBB93_73:
	s_waitcnt lgkmcnt(6)
	v_add_co_u32 v14, vcc_lo, 0x5000, v2
	v_add_co_ci_u32_e32 v15, vcc_lo, 0, v3, vcc_lo
	s_waitcnt lgkmcnt(5)
	global_store_b64 v[14:15], v[12:13], off
	s_or_b32 exec_lo, exec_lo, s0
	s_and_saveexec_b32 s0, s10
	s_cbranch_execz .LBB93_58
.LBB93_74:
	s_waitcnt lgkmcnt(5)
	v_add_co_u32 v12, vcc_lo, 0x5000, v2
	v_add_co_ci_u32_e32 v13, vcc_lo, 0, v3, vcc_lo
	s_waitcnt lgkmcnt(4)
	global_store_b64 v[12:13], v[10:11], off offset:2048
	s_or_b32 exec_lo, exec_lo, s0
	s_and_saveexec_b32 s0, s11
	s_cbranch_execz .LBB93_59
.LBB93_75:
	s_waitcnt lgkmcnt(4)
	v_add_co_u32 v10, vcc_lo, 0x6000, v2
	v_add_co_ci_u32_e32 v11, vcc_lo, 0, v3, vcc_lo
	s_waitcnt lgkmcnt(3)
	global_store_b64 v[10:11], v[8:9], off
	s_or_b32 exec_lo, exec_lo, s0
	s_and_saveexec_b32 s0, s12
	s_cbranch_execz .LBB93_60
.LBB93_76:
	s_waitcnt lgkmcnt(3)
	v_add_co_u32 v8, vcc_lo, 0x6000, v2
	v_add_co_ci_u32_e32 v9, vcc_lo, 0, v3, vcc_lo
	s_waitcnt lgkmcnt(2)
	global_store_b64 v[8:9], v[6:7], off offset:2048
	s_or_b32 exec_lo, exec_lo, s0
	s_and_saveexec_b32 s0, s13
	s_cbranch_execz .LBB93_61
.LBB93_77:
	s_waitcnt lgkmcnt(2)
	v_add_co_u32 v6, vcc_lo, 0x7000, v2
	v_add_co_ci_u32_e32 v7, vcc_lo, 0, v3, vcc_lo
	s_waitcnt lgkmcnt(1)
	global_store_b64 v[6:7], v[4:5], off
	s_or_b32 exec_lo, exec_lo, s0
	s_and_saveexec_b32 s0, s14
	s_cbranch_execz .LBB93_62
.LBB93_78:
	v_add_co_u32 v2, vcc_lo, 0x7000, v2
	v_add_co_ci_u32_e32 v3, vcc_lo, 0, v3, vcc_lo
	s_waitcnt lgkmcnt(0)
	global_store_b64 v[2:3], v[0:1], off offset:2048
	s_nop 0
	s_sendmsg sendmsg(MSG_DEALLOC_VGPRS)
	s_endpgm
	.section	.rodata,"a",@progbits
	.p2align	6, 0x0
	.amdhsa_kernel _ZN7rocprim6detail18single_scan_kernelILb1ENS0_19wrapped_scan_configINS_14default_configEyEEPyS5_N6hipcub3MinEyyEEvT1_mT4_T2_T3_
		.amdhsa_group_segment_fixed_size 33792
		.amdhsa_private_segment_fixed_size 0
		.amdhsa_kernarg_size 36
		.amdhsa_user_sgpr_count 15
		.amdhsa_user_sgpr_dispatch_ptr 0
		.amdhsa_user_sgpr_queue_ptr 0
		.amdhsa_user_sgpr_kernarg_segment_ptr 1
		.amdhsa_user_sgpr_dispatch_id 0
		.amdhsa_user_sgpr_private_segment_size 0
		.amdhsa_wavefront_size32 1
		.amdhsa_uses_dynamic_stack 0
		.amdhsa_enable_private_segment 0
		.amdhsa_system_sgpr_workgroup_id_x 1
		.amdhsa_system_sgpr_workgroup_id_y 0
		.amdhsa_system_sgpr_workgroup_id_z 0
		.amdhsa_system_sgpr_workgroup_info 0
		.amdhsa_system_vgpr_workitem_id 0
		.amdhsa_next_free_vgpr 74
		.amdhsa_next_free_sgpr 44
		.amdhsa_reserve_vcc 1
		.amdhsa_float_round_mode_32 0
		.amdhsa_float_round_mode_16_64 0
		.amdhsa_float_denorm_mode_32 3
		.amdhsa_float_denorm_mode_16_64 3
		.amdhsa_dx10_clamp 1
		.amdhsa_ieee_mode 1
		.amdhsa_fp16_overflow 0
		.amdhsa_workgroup_processor_mode 1
		.amdhsa_memory_ordered 1
		.amdhsa_forward_progress 0
		.amdhsa_shared_vgpr_count 0
		.amdhsa_exception_fp_ieee_invalid_op 0
		.amdhsa_exception_fp_denorm_src 0
		.amdhsa_exception_fp_ieee_div_zero 0
		.amdhsa_exception_fp_ieee_overflow 0
		.amdhsa_exception_fp_ieee_underflow 0
		.amdhsa_exception_fp_ieee_inexact 0
		.amdhsa_exception_int_div_zero 0
	.end_amdhsa_kernel
	.section	.text._ZN7rocprim6detail18single_scan_kernelILb1ENS0_19wrapped_scan_configINS_14default_configEyEEPyS5_N6hipcub3MinEyyEEvT1_mT4_T2_T3_,"axG",@progbits,_ZN7rocprim6detail18single_scan_kernelILb1ENS0_19wrapped_scan_configINS_14default_configEyEEPyS5_N6hipcub3MinEyyEEvT1_mT4_T2_T3_,comdat
.Lfunc_end93:
	.size	_ZN7rocprim6detail18single_scan_kernelILb1ENS0_19wrapped_scan_configINS_14default_configEyEEPyS5_N6hipcub3MinEyyEEvT1_mT4_T2_T3_, .Lfunc_end93-_ZN7rocprim6detail18single_scan_kernelILb1ENS0_19wrapped_scan_configINS_14default_configEyEEPyS5_N6hipcub3MinEyyEEvT1_mT4_T2_T3_
                                        ; -- End function
	.section	.AMDGPU.csdata,"",@progbits
; Kernel info:
; codeLenInByte = 4920
; NumSgprs: 46
; NumVgprs: 74
; ScratchSize: 0
; MemoryBound: 1
; FloatMode: 240
; IeeeMode: 1
; LDSByteSize: 33792 bytes/workgroup (compile time only)
; SGPRBlocks: 5
; VGPRBlocks: 9
; NumSGPRsForWavesPerEU: 46
; NumVGPRsForWavesPerEU: 74
; Occupancy: 6
; WaveLimiterHint : 0
; COMPUTE_PGM_RSRC2:SCRATCH_EN: 0
; COMPUTE_PGM_RSRC2:USER_SGPR: 15
; COMPUTE_PGM_RSRC2:TRAP_HANDLER: 0
; COMPUTE_PGM_RSRC2:TGID_X_EN: 1
; COMPUTE_PGM_RSRC2:TGID_Y_EN: 0
; COMPUTE_PGM_RSRC2:TGID_Z_EN: 0
; COMPUTE_PGM_RSRC2:TIDIG_COMP_CNT: 0
	.section	.text._ZN7rocprim6detail25device_scan_by_key_kernelILNS0_25lookback_scan_determinismE0ELb1ENS0_26wrapped_scan_by_key_configINS_14default_configEiiEEPiN6hipcub22TransformInputIteratorIiNS7_6CastOpIiEES6_lEEPliNS7_8EqualityENS7_3SumENS0_19lookback_scan_stateINS_5tupleIJibEEELb1ELb1EEEiEEvT2_T3_T4_T5_T6_T7_T8_mmmPKNSG_IJT9_bEEE,"axG",@progbits,_ZN7rocprim6detail25device_scan_by_key_kernelILNS0_25lookback_scan_determinismE0ELb1ENS0_26wrapped_scan_by_key_configINS_14default_configEiiEEPiN6hipcub22TransformInputIteratorIiNS7_6CastOpIiEES6_lEEPliNS7_8EqualityENS7_3SumENS0_19lookback_scan_stateINS_5tupleIJibEEELb1ELb1EEEiEEvT2_T3_T4_T5_T6_T7_T8_mmmPKNSG_IJT9_bEEE,comdat
	.protected	_ZN7rocprim6detail25device_scan_by_key_kernelILNS0_25lookback_scan_determinismE0ELb1ENS0_26wrapped_scan_by_key_configINS_14default_configEiiEEPiN6hipcub22TransformInputIteratorIiNS7_6CastOpIiEES6_lEEPliNS7_8EqualityENS7_3SumENS0_19lookback_scan_stateINS_5tupleIJibEEELb1ELb1EEEiEEvT2_T3_T4_T5_T6_T7_T8_mmmPKNSG_IJT9_bEEE ; -- Begin function _ZN7rocprim6detail25device_scan_by_key_kernelILNS0_25lookback_scan_determinismE0ELb1ENS0_26wrapped_scan_by_key_configINS_14default_configEiiEEPiN6hipcub22TransformInputIteratorIiNS7_6CastOpIiEES6_lEEPliNS7_8EqualityENS7_3SumENS0_19lookback_scan_stateINS_5tupleIJibEEELb1ELb1EEEiEEvT2_T3_T4_T5_T6_T7_T8_mmmPKNSG_IJT9_bEEE
	.globl	_ZN7rocprim6detail25device_scan_by_key_kernelILNS0_25lookback_scan_determinismE0ELb1ENS0_26wrapped_scan_by_key_configINS_14default_configEiiEEPiN6hipcub22TransformInputIteratorIiNS7_6CastOpIiEES6_lEEPliNS7_8EqualityENS7_3SumENS0_19lookback_scan_stateINS_5tupleIJibEEELb1ELb1EEEiEEvT2_T3_T4_T5_T6_T7_T8_mmmPKNSG_IJT9_bEEE
	.p2align	8
	.type	_ZN7rocprim6detail25device_scan_by_key_kernelILNS0_25lookback_scan_determinismE0ELb1ENS0_26wrapped_scan_by_key_configINS_14default_configEiiEEPiN6hipcub22TransformInputIteratorIiNS7_6CastOpIiEES6_lEEPliNS7_8EqualityENS7_3SumENS0_19lookback_scan_stateINS_5tupleIJibEEELb1ELb1EEEiEEvT2_T3_T4_T5_T6_T7_T8_mmmPKNSG_IJT9_bEEE,@function
_ZN7rocprim6detail25device_scan_by_key_kernelILNS0_25lookback_scan_determinismE0ELb1ENS0_26wrapped_scan_by_key_configINS_14default_configEiiEEPiN6hipcub22TransformInputIteratorIiNS7_6CastOpIiEES6_lEEPliNS7_8EqualityENS7_3SumENS0_19lookback_scan_stateINS_5tupleIJibEEELb1ELb1EEEiEEvT2_T3_T4_T5_T6_T7_T8_mmmPKNSG_IJT9_bEEE: ; @_ZN7rocprim6detail25device_scan_by_key_kernelILNS0_25lookback_scan_determinismE0ELb1ENS0_26wrapped_scan_by_key_configINS_14default_configEiiEEPiN6hipcub22TransformInputIteratorIiNS7_6CastOpIiEES6_lEEPliNS7_8EqualityENS7_3SumENS0_19lookback_scan_stateINS_5tupleIJibEEELb1ELb1EEEiEEvT2_T3_T4_T5_T6_T7_T8_mmmPKNSG_IJT9_bEEE
; %bb.0:
	s_endpgm
	.section	.rodata,"a",@progbits
	.p2align	6, 0x0
	.amdhsa_kernel _ZN7rocprim6detail25device_scan_by_key_kernelILNS0_25lookback_scan_determinismE0ELb1ENS0_26wrapped_scan_by_key_configINS_14default_configEiiEEPiN6hipcub22TransformInputIteratorIiNS7_6CastOpIiEES6_lEEPliNS7_8EqualityENS7_3SumENS0_19lookback_scan_stateINS_5tupleIJibEEELb1ELb1EEEiEEvT2_T3_T4_T5_T6_T7_T8_mmmPKNSG_IJT9_bEEE
		.amdhsa_group_segment_fixed_size 0
		.amdhsa_private_segment_fixed_size 0
		.amdhsa_kernarg_size 80
		.amdhsa_user_sgpr_count 15
		.amdhsa_user_sgpr_dispatch_ptr 0
		.amdhsa_user_sgpr_queue_ptr 0
		.amdhsa_user_sgpr_kernarg_segment_ptr 1
		.amdhsa_user_sgpr_dispatch_id 0
		.amdhsa_user_sgpr_private_segment_size 0
		.amdhsa_wavefront_size32 1
		.amdhsa_uses_dynamic_stack 0
		.amdhsa_enable_private_segment 0
		.amdhsa_system_sgpr_workgroup_id_x 1
		.amdhsa_system_sgpr_workgroup_id_y 0
		.amdhsa_system_sgpr_workgroup_id_z 0
		.amdhsa_system_sgpr_workgroup_info 0
		.amdhsa_system_vgpr_workitem_id 0
		.amdhsa_next_free_vgpr 1
		.amdhsa_next_free_sgpr 1
		.amdhsa_reserve_vcc 0
		.amdhsa_float_round_mode_32 0
		.amdhsa_float_round_mode_16_64 0
		.amdhsa_float_denorm_mode_32 3
		.amdhsa_float_denorm_mode_16_64 3
		.amdhsa_dx10_clamp 1
		.amdhsa_ieee_mode 1
		.amdhsa_fp16_overflow 0
		.amdhsa_workgroup_processor_mode 1
		.amdhsa_memory_ordered 1
		.amdhsa_forward_progress 0
		.amdhsa_shared_vgpr_count 0
		.amdhsa_exception_fp_ieee_invalid_op 0
		.amdhsa_exception_fp_denorm_src 0
		.amdhsa_exception_fp_ieee_div_zero 0
		.amdhsa_exception_fp_ieee_overflow 0
		.amdhsa_exception_fp_ieee_underflow 0
		.amdhsa_exception_fp_ieee_inexact 0
		.amdhsa_exception_int_div_zero 0
	.end_amdhsa_kernel
	.section	.text._ZN7rocprim6detail25device_scan_by_key_kernelILNS0_25lookback_scan_determinismE0ELb1ENS0_26wrapped_scan_by_key_configINS_14default_configEiiEEPiN6hipcub22TransformInputIteratorIiNS7_6CastOpIiEES6_lEEPliNS7_8EqualityENS7_3SumENS0_19lookback_scan_stateINS_5tupleIJibEEELb1ELb1EEEiEEvT2_T3_T4_T5_T6_T7_T8_mmmPKNSG_IJT9_bEEE,"axG",@progbits,_ZN7rocprim6detail25device_scan_by_key_kernelILNS0_25lookback_scan_determinismE0ELb1ENS0_26wrapped_scan_by_key_configINS_14default_configEiiEEPiN6hipcub22TransformInputIteratorIiNS7_6CastOpIiEES6_lEEPliNS7_8EqualityENS7_3SumENS0_19lookback_scan_stateINS_5tupleIJibEEELb1ELb1EEEiEEvT2_T3_T4_T5_T6_T7_T8_mmmPKNSG_IJT9_bEEE,comdat
.Lfunc_end94:
	.size	_ZN7rocprim6detail25device_scan_by_key_kernelILNS0_25lookback_scan_determinismE0ELb1ENS0_26wrapped_scan_by_key_configINS_14default_configEiiEEPiN6hipcub22TransformInputIteratorIiNS7_6CastOpIiEES6_lEEPliNS7_8EqualityENS7_3SumENS0_19lookback_scan_stateINS_5tupleIJibEEELb1ELb1EEEiEEvT2_T3_T4_T5_T6_T7_T8_mmmPKNSG_IJT9_bEEE, .Lfunc_end94-_ZN7rocprim6detail25device_scan_by_key_kernelILNS0_25lookback_scan_determinismE0ELb1ENS0_26wrapped_scan_by_key_configINS_14default_configEiiEEPiN6hipcub22TransformInputIteratorIiNS7_6CastOpIiEES6_lEEPliNS7_8EqualityENS7_3SumENS0_19lookback_scan_stateINS_5tupleIJibEEELb1ELb1EEEiEEvT2_T3_T4_T5_T6_T7_T8_mmmPKNSG_IJT9_bEEE
                                        ; -- End function
	.section	.AMDGPU.csdata,"",@progbits
; Kernel info:
; codeLenInByte = 4
; NumSgprs: 0
; NumVgprs: 0
; ScratchSize: 0
; MemoryBound: 0
; FloatMode: 240
; IeeeMode: 1
; LDSByteSize: 0 bytes/workgroup (compile time only)
; SGPRBlocks: 0
; VGPRBlocks: 0
; NumSGPRsForWavesPerEU: 1
; NumVGPRsForWavesPerEU: 1
; Occupancy: 16
; WaveLimiterHint : 0
; COMPUTE_PGM_RSRC2:SCRATCH_EN: 0
; COMPUTE_PGM_RSRC2:USER_SGPR: 15
; COMPUTE_PGM_RSRC2:TRAP_HANDLER: 0
; COMPUTE_PGM_RSRC2:TGID_X_EN: 1
; COMPUTE_PGM_RSRC2:TGID_Y_EN: 0
; COMPUTE_PGM_RSRC2:TGID_Z_EN: 0
; COMPUTE_PGM_RSRC2:TIDIG_COMP_CNT: 0
	.section	.text._ZN7rocprim6detail25device_scan_by_key_kernelILNS0_25lookback_scan_determinismE0ELb1ENS0_26wrapped_scan_by_key_configINS_14default_configEiiEEPiN6hipcub22TransformInputIteratorIiNS7_6CastOpIiEES6_lEEPliNS7_8EqualityENS7_3SumENS0_19lookback_scan_stateINS_5tupleIJibEEELb0ELb1EEEiEEvT2_T3_T4_T5_T6_T7_T8_mmmPKNSG_IJT9_bEEE,"axG",@progbits,_ZN7rocprim6detail25device_scan_by_key_kernelILNS0_25lookback_scan_determinismE0ELb1ENS0_26wrapped_scan_by_key_configINS_14default_configEiiEEPiN6hipcub22TransformInputIteratorIiNS7_6CastOpIiEES6_lEEPliNS7_8EqualityENS7_3SumENS0_19lookback_scan_stateINS_5tupleIJibEEELb0ELb1EEEiEEvT2_T3_T4_T5_T6_T7_T8_mmmPKNSG_IJT9_bEEE,comdat
	.protected	_ZN7rocprim6detail25device_scan_by_key_kernelILNS0_25lookback_scan_determinismE0ELb1ENS0_26wrapped_scan_by_key_configINS_14default_configEiiEEPiN6hipcub22TransformInputIteratorIiNS7_6CastOpIiEES6_lEEPliNS7_8EqualityENS7_3SumENS0_19lookback_scan_stateINS_5tupleIJibEEELb0ELb1EEEiEEvT2_T3_T4_T5_T6_T7_T8_mmmPKNSG_IJT9_bEEE ; -- Begin function _ZN7rocprim6detail25device_scan_by_key_kernelILNS0_25lookback_scan_determinismE0ELb1ENS0_26wrapped_scan_by_key_configINS_14default_configEiiEEPiN6hipcub22TransformInputIteratorIiNS7_6CastOpIiEES6_lEEPliNS7_8EqualityENS7_3SumENS0_19lookback_scan_stateINS_5tupleIJibEEELb0ELb1EEEiEEvT2_T3_T4_T5_T6_T7_T8_mmmPKNSG_IJT9_bEEE
	.globl	_ZN7rocprim6detail25device_scan_by_key_kernelILNS0_25lookback_scan_determinismE0ELb1ENS0_26wrapped_scan_by_key_configINS_14default_configEiiEEPiN6hipcub22TransformInputIteratorIiNS7_6CastOpIiEES6_lEEPliNS7_8EqualityENS7_3SumENS0_19lookback_scan_stateINS_5tupleIJibEEELb0ELb1EEEiEEvT2_T3_T4_T5_T6_T7_T8_mmmPKNSG_IJT9_bEEE
	.p2align	8
	.type	_ZN7rocprim6detail25device_scan_by_key_kernelILNS0_25lookback_scan_determinismE0ELb1ENS0_26wrapped_scan_by_key_configINS_14default_configEiiEEPiN6hipcub22TransformInputIteratorIiNS7_6CastOpIiEES6_lEEPliNS7_8EqualityENS7_3SumENS0_19lookback_scan_stateINS_5tupleIJibEEELb0ELb1EEEiEEvT2_T3_T4_T5_T6_T7_T8_mmmPKNSG_IJT9_bEEE,@function
_ZN7rocprim6detail25device_scan_by_key_kernelILNS0_25lookback_scan_determinismE0ELb1ENS0_26wrapped_scan_by_key_configINS_14default_configEiiEEPiN6hipcub22TransformInputIteratorIiNS7_6CastOpIiEES6_lEEPliNS7_8EqualityENS7_3SumENS0_19lookback_scan_stateINS_5tupleIJibEEELb0ELb1EEEiEEvT2_T3_T4_T5_T6_T7_T8_mmmPKNSG_IJT9_bEEE: ; @_ZN7rocprim6detail25device_scan_by_key_kernelILNS0_25lookback_scan_determinismE0ELb1ENS0_26wrapped_scan_by_key_configINS_14default_configEiiEEPiN6hipcub22TransformInputIteratorIiNS7_6CastOpIiEES6_lEEPliNS7_8EqualityENS7_3SumENS0_19lookback_scan_stateINS_5tupleIJibEEELb0ELb1EEEiEEvT2_T3_T4_T5_T6_T7_T8_mmmPKNSG_IJT9_bEEE
; %bb.0:
	s_clause 0x1
	s_load_b128 s[4:7], s[0:1], 0x0
	s_load_b256 s[16:23], s[0:1], 0x28
	s_mov_b32 s13, 0
	s_mul_i32 s12, s15, 0x900
	s_clause 0x1
	s_load_b32 s33, s[0:1], 0x20
	s_load_b64 s[28:29], s[0:1], 0x48
	s_lshl_b64 s[2:3], s[12:13], 2
	v_lshlrev_b32_e32 v13, 2, v0
	s_waitcnt lgkmcnt(0)
	s_add_u32 s34, s4, s2
	s_addc_u32 s35, s5, s3
	s_add_u32 s30, s6, s2
	s_addc_u32 s31, s7, s3
	;; [unrolled: 2-line block ×3, first 2 shown]
	s_add_u32 s4, s22, -1
	s_addc_u32 s5, s23, -1
	s_mul_i32 s14, s4, 0xfffff700
	v_cmp_ge_u64_e64 s19, s[2:3], s[4:5]
	s_delay_alu instid0(VALU_DEP_1)
	s_and_b32 vcc_lo, exec_lo, s19
	s_cbranch_vccz .LBB95_29
; %bb.1:
	s_load_b32 s10, s[34:35], 0x0
	s_add_i32 s36, s14, s18
	v_add_co_u32 v1, s2, s34, v13
	s_delay_alu instid0(VALU_DEP_1)
	v_add_co_ci_u32_e64 v2, null, s35, 0, s2
	v_cmp_gt_u32_e32 vcc_lo, s36, v0
	s_waitcnt lgkmcnt(0)
	v_mov_b32_e32 v3, s10
	s_and_saveexec_b32 s2, vcc_lo
	s_cbranch_execz .LBB95_3
; %bb.2:
	global_load_b32 v3, v[1:2], off
.LBB95_3:
	s_or_b32 exec_lo, exec_lo, s2
	v_or_b32_e32 v4, 0x100, v0
	s_delay_alu instid0(VALU_DEP_1) | instskip(SKIP_1) | instid1(VALU_DEP_2)
	v_cmp_gt_u32_e64 s2, s36, v4
	v_mov_b32_e32 v4, s10
	s_and_saveexec_b32 s3, s2
	s_cbranch_execz .LBB95_5
; %bb.4:
	global_load_b32 v4, v[1:2], off offset:1024
.LBB95_5:
	s_or_b32 exec_lo, exec_lo, s3
	v_or_b32_e32 v5, 0x200, v0
	s_delay_alu instid0(VALU_DEP_1) | instskip(SKIP_1) | instid1(VALU_DEP_2)
	v_cmp_gt_u32_e64 s3, s36, v5
	v_mov_b32_e32 v5, s10
	s_and_saveexec_b32 s4, s3
	s_cbranch_execz .LBB95_7
; %bb.6:
	global_load_b32 v5, v[1:2], off offset:2048
.LBB95_7:
	;; [unrolled: 10-line block ×3, first 2 shown]
	s_or_b32 exec_lo, exec_lo, s5
	v_or_b32_e32 v7, 0x400, v0
	s_delay_alu instid0(VALU_DEP_1) | instskip(SKIP_1) | instid1(VALU_DEP_2)
	v_cmp_gt_u32_e64 s5, s36, v7
	v_mov_b32_e32 v7, s10
	s_and_saveexec_b32 s7, s5
	s_cbranch_execz .LBB95_11
; %bb.10:
	v_add_co_u32 v7, s6, 0x1000, v1
	s_delay_alu instid0(VALU_DEP_1)
	v_add_co_ci_u32_e64 v8, s6, 0, v2, s6
	global_load_b32 v7, v[7:8], off
.LBB95_11:
	s_or_b32 exec_lo, exec_lo, s7
	v_or_b32_e32 v8, 0x500, v0
	s_delay_alu instid0(VALU_DEP_1) | instskip(SKIP_1) | instid1(VALU_DEP_2)
	v_cmp_gt_u32_e64 s6, s36, v8
	v_mov_b32_e32 v8, s10
	s_and_saveexec_b32 s8, s6
	s_cbranch_execz .LBB95_13
; %bb.12:
	v_add_co_u32 v8, s7, 0x1000, v1
	s_delay_alu instid0(VALU_DEP_1)
	v_add_co_ci_u32_e64 v9, s7, 0, v2, s7
	global_load_b32 v8, v[8:9], off offset:1024
.LBB95_13:
	s_or_b32 exec_lo, exec_lo, s8
	v_or_b32_e32 v9, 0x600, v0
	s_delay_alu instid0(VALU_DEP_1) | instskip(SKIP_1) | instid1(VALU_DEP_2)
	v_cmp_gt_u32_e64 s7, s36, v9
	v_mov_b32_e32 v9, s10
	s_and_saveexec_b32 s9, s7
	s_cbranch_execz .LBB95_15
; %bb.14:
	v_add_co_u32 v9, s8, 0x1000, v1
	s_delay_alu instid0(VALU_DEP_1)
	v_add_co_ci_u32_e64 v10, s8, 0, v2, s8
	global_load_b32 v9, v[9:10], off offset:2048
.LBB95_15:
	;; [unrolled: 13-line block ×3, first 2 shown]
	s_or_b32 exec_lo, exec_lo, s11
	v_or_b32_e32 v11, 0x800, v0
	s_delay_alu instid0(VALU_DEP_1) | instskip(SKIP_1) | instid1(VALU_DEP_2)
	v_cmp_gt_u32_e64 s9, s36, v11
	v_mov_b32_e32 v11, s10
	s_and_saveexec_b32 s11, s9
	s_cbranch_execz .LBB95_19
; %bb.18:
	v_add_co_u32 v1, s10, 0x2000, v1
	s_delay_alu instid0(VALU_DEP_1)
	v_add_co_ci_u32_e64 v2, s10, 0, v2, s10
	global_load_b32 v11, v[1:2], off
.LBB95_19:
	s_or_b32 exec_lo, exec_lo, s11
	s_waitcnt vmcnt(0)
	ds_store_2addr_stride64_b32 v13, v3, v4 offset1:4
	ds_store_2addr_stride64_b32 v13, v5, v6 offset0:8 offset1:12
	ds_store_2addr_stride64_b32 v13, v7, v8 offset0:16 offset1:20
	;; [unrolled: 1-line block ×3, first 2 shown]
	ds_store_b32 v13, v11 offset:8192
	s_waitcnt lgkmcnt(0)
	s_barrier
	buffer_gl0_inv
	s_load_b32 s11, s[34:35], 0x0
	v_lshl_add_u32 v30, v0, 5, v13
	ds_load_b32 v27, v30
	ds_load_2addr_b32 v[25:26], v30 offset0:1 offset1:2
	ds_load_2addr_b32 v[22:23], v30 offset0:3 offset1:4
	;; [unrolled: 1-line block ×4, first 2 shown]
	s_waitcnt lgkmcnt(0)
	v_mov_b32_e32 v29, s11
	s_mov_b32 s11, exec_lo
	ds_store_b32 v13, v27 offset:10240
	s_waitcnt lgkmcnt(0)
	s_barrier
	buffer_gl0_inv
	v_cmpx_ne_u32_e32 0xff, v0
	s_cbranch_execz .LBB95_21
; %bb.20:
	ds_load_b32 v29, v13 offset:10244
.LBB95_21:
	s_or_b32 exec_lo, exec_lo, s11
	v_add_co_u32 v1, s10, s30, v13
	s_delay_alu instid0(VALU_DEP_1)
	v_add_co_ci_u32_e64 v2, null, s31, 0, s10
	s_waitcnt lgkmcnt(0)
	s_barrier
	buffer_gl0_inv
                                        ; implicit-def: $vgpr3
	s_and_saveexec_b32 s10, vcc_lo
	s_cbranch_execz .LBB95_30
; %bb.22:
	global_load_b32 v3, v[1:2], off
	s_or_b32 exec_lo, exec_lo, s10
                                        ; implicit-def: $vgpr4
	s_and_saveexec_b32 s10, s2
	s_cbranch_execnz .LBB95_31
.LBB95_23:
	s_or_b32 exec_lo, exec_lo, s10
                                        ; implicit-def: $vgpr5
	s_and_saveexec_b32 s2, s3
	s_cbranch_execz .LBB95_32
.LBB95_24:
	global_load_b32 v5, v[1:2], off offset:2048
	s_or_b32 exec_lo, exec_lo, s2
                                        ; implicit-def: $vgpr6
	s_and_saveexec_b32 s2, s4
	s_cbranch_execnz .LBB95_33
.LBB95_25:
	s_or_b32 exec_lo, exec_lo, s2
                                        ; implicit-def: $vgpr7
	s_and_saveexec_b32 s2, s5
	s_cbranch_execz .LBB95_34
.LBB95_26:
	v_add_co_u32 v7, vcc_lo, 0x1000, v1
	v_add_co_ci_u32_e32 v8, vcc_lo, 0, v2, vcc_lo
	global_load_b32 v7, v[7:8], off
	s_or_b32 exec_lo, exec_lo, s2
                                        ; implicit-def: $vgpr8
	s_and_saveexec_b32 s2, s6
	s_cbranch_execnz .LBB95_35
.LBB95_27:
	s_or_b32 exec_lo, exec_lo, s2
                                        ; implicit-def: $vgpr14
	s_and_saveexec_b32 s2, s7
	s_cbranch_execz .LBB95_36
.LBB95_28:
	v_add_co_u32 v14, vcc_lo, 0x1000, v1
	v_add_co_ci_u32_e32 v15, vcc_lo, 0, v2, vcc_lo
	global_load_b32 v14, v[14:15], off offset:2048
	s_or_b32 exec_lo, exec_lo, s2
                                        ; implicit-def: $vgpr15
	s_and_saveexec_b32 s2, s8
	s_cbranch_execz .LBB95_38
	s_branch .LBB95_37
.LBB95_29:
	s_mov_b32 s5, s13
                                        ; implicit-def: $sgpr2
                                        ; implicit-def: $vgpr1_vgpr2_vgpr3_vgpr4_vgpr5_vgpr6_vgpr7_vgpr8
                                        ; implicit-def: $vgpr24
                                        ; implicit-def: $vgpr14_vgpr15
                                        ; implicit-def: $vgpr16_vgpr17
                                        ; implicit-def: $vgpr18_vgpr19
                                        ; implicit-def: $vgpr20_vgpr21
                                        ; implicit-def: $sgpr6_sgpr7
	s_cbranch_execz .LBB95_64
	s_branch .LBB95_59
.LBB95_30:
	s_or_b32 exec_lo, exec_lo, s10
                                        ; implicit-def: $vgpr4
	s_and_saveexec_b32 s10, s2
	s_cbranch_execz .LBB95_23
.LBB95_31:
	global_load_b32 v4, v[1:2], off offset:1024
	s_or_b32 exec_lo, exec_lo, s10
                                        ; implicit-def: $vgpr5
	s_and_saveexec_b32 s2, s3
	s_cbranch_execnz .LBB95_24
.LBB95_32:
	s_or_b32 exec_lo, exec_lo, s2
                                        ; implicit-def: $vgpr6
	s_and_saveexec_b32 s2, s4
	s_cbranch_execz .LBB95_25
.LBB95_33:
	global_load_b32 v6, v[1:2], off offset:3072
	s_or_b32 exec_lo, exec_lo, s2
                                        ; implicit-def: $vgpr7
	s_and_saveexec_b32 s2, s5
	s_cbranch_execnz .LBB95_26
.LBB95_34:
	s_or_b32 exec_lo, exec_lo, s2
                                        ; implicit-def: $vgpr8
	s_and_saveexec_b32 s2, s6
	s_cbranch_execz .LBB95_27
.LBB95_35:
	v_add_co_u32 v14, vcc_lo, 0x1000, v1
	v_add_co_ci_u32_e32 v15, vcc_lo, 0, v2, vcc_lo
	global_load_b32 v8, v[14:15], off offset:1024
	s_or_b32 exec_lo, exec_lo, s2
                                        ; implicit-def: $vgpr14
	s_and_saveexec_b32 s2, s7
	s_cbranch_execnz .LBB95_28
.LBB95_36:
	s_or_b32 exec_lo, exec_lo, s2
                                        ; implicit-def: $vgpr15
	s_and_saveexec_b32 s2, s8
	s_cbranch_execz .LBB95_38
.LBB95_37:
	v_add_co_u32 v15, vcc_lo, 0x1000, v1
	v_add_co_ci_u32_e32 v16, vcc_lo, 0, v2, vcc_lo
	global_load_b32 v15, v[15:16], off offset:3072
.LBB95_38:
	s_or_b32 exec_lo, exec_lo, s2
	v_mul_u32_u24_e32 v31, 9, v0
                                        ; implicit-def: $vgpr16
	s_and_saveexec_b32 s2, s9
	s_cbranch_execz .LBB95_40
; %bb.39:
	v_add_co_u32 v1, vcc_lo, 0x2000, v1
	v_add_co_ci_u32_e32 v2, vcc_lo, 0, v2, vcc_lo
	global_load_b32 v16, v[1:2], off
.LBB95_40:
	s_or_b32 exec_lo, exec_lo, s2
	s_mov_b32 s4, 0
	s_waitcnt vmcnt(0)
	ds_store_2addr_stride64_b32 v13, v3, v4 offset1:4
	ds_store_2addr_stride64_b32 v13, v5, v6 offset0:8 offset1:12
	ds_store_2addr_stride64_b32 v13, v7, v8 offset0:16 offset1:20
	;; [unrolled: 1-line block ×3, first 2 shown]
	ds_store_b32 v13, v16 offset:8192
	s_mov_b32 s5, s4
	s_mov_b32 s6, s4
	;; [unrolled: 1-line block ×7, first 2 shown]
	v_dual_mov_b32 v14, 0 :: v_dual_mov_b32 v1, s4
	v_dual_mov_b32 v15, 0 :: v_dual_mov_b32 v2, s5
	;; [unrolled: 1-line block ×5, first 2 shown]
	s_delay_alu instid0(VALU_DEP_4)
	v_dual_mov_b32 v17, v15 :: v_dual_mov_b32 v16, v14
	v_dual_mov_b32 v19, v15 :: v_dual_mov_b32 v18, v14
	;; [unrolled: 1-line block ×3, first 2 shown]
	s_mov_b64 s[6:7], 0
	s_mov_b32 s5, 0
	s_mov_b32 s3, exec_lo
	s_waitcnt lgkmcnt(0)
	s_barrier
	buffer_gl0_inv
                                        ; implicit-def: $sgpr2
                                        ; implicit-def: $vgpr24
	v_cmpx_gt_u32_e64 s36, v31
	s_cbranch_execz .LBB95_58
; %bb.41:
	ds_load_b32 v14, v30
	s_mov_b32 s20, 0
	v_add_nc_u32_e32 v18, 1, v31
	s_mov_b32 s21, s20
	s_mov_b32 s22, s20
	;; [unrolled: 1-line block ×7, first 2 shown]
	v_dual_mov_b32 v16, 0 :: v_dual_mov_b32 v1, s20
	v_mov_b32_e32 v17, 0
	v_cmp_ne_u32_e32 vcc_lo, v27, v25
	v_cmp_eq_u32_e64 s2, v27, v25
	v_mov_b32_e32 v8, s27
	v_dual_mov_b32 v2, s21 :: v_dual_mov_b32 v3, s22
	v_cndmask_b32_e64 v15, 0, 1, vcc_lo
	v_cmp_gt_u32_e32 vcc_lo, s36, v18
	v_dual_mov_b32 v19, v17 :: v_dual_mov_b32 v18, v16
	v_dual_mov_b32 v21, v17 :: v_dual_mov_b32 v4, s23
	;; [unrolled: 1-line block ×3, first 2 shown]
	v_mov_b32_e32 v7, s26
	s_waitcnt lgkmcnt(0)
	v_cndmask_b32_e64 v14, s33, v14, s2
	v_mov_b32_e32 v20, v16
                                        ; implicit-def: $sgpr2
                                        ; implicit-def: $vgpr24
	s_and_saveexec_b32 s5, vcc_lo
	s_cbranch_execz .LBB95_57
; %bb.42:
	ds_load_2addr_b32 v[27:28], v30 offset0:1 offset1:2
	s_mov_b32 s21, s20
	s_mov_b32 s22, s20
	;; [unrolled: 1-line block ×7, first 2 shown]
	v_dual_mov_b32 v18, 0 :: v_dual_mov_b32 v1, s20
	v_dual_mov_b32 v19, 0 :: v_dual_add_nc_u32 v16, 2, v31
	v_cmp_ne_u32_e32 vcc_lo, v25, v26
	v_cmp_eq_u32_e64 s2, v25, v26
	v_mov_b32_e32 v8, s27
	v_dual_mov_b32 v2, s21 :: v_dual_mov_b32 v3, s22
	v_mov_b32_e32 v21, v19
	v_cndmask_b32_e64 v17, 0, 1, vcc_lo
	v_dual_mov_b32 v4, s23 :: v_dual_mov_b32 v5, s24
	v_dual_mov_b32 v6, s25 :: v_dual_mov_b32 v7, s26
	v_cmp_gt_u32_e32 vcc_lo, s36, v16
	s_waitcnt lgkmcnt(0)
	v_cndmask_b32_e64 v16, s33, v27, s2
	v_mov_b32_e32 v20, v18
                                        ; implicit-def: $sgpr2
                                        ; implicit-def: $vgpr24
	s_and_saveexec_b32 s8, vcc_lo
	s_cbranch_execz .LBB95_56
; %bb.43:
	v_cmp_eq_u32_e32 vcc_lo, v26, v22
	v_add_nc_u32_e32 v1, 3, v31
	s_mov_b32 s21, s20
	s_mov_b32 s22, s20
	;; [unrolled: 1-line block ×3, first 2 shown]
	v_cndmask_b32_e32 v18, s33, v28, vcc_lo
	v_cmp_ne_u32_e32 vcc_lo, v26, v22
	s_mov_b32 s24, s20
	s_mov_b32 s25, s20
	;; [unrolled: 1-line block ×4, first 2 shown]
	v_cndmask_b32_e64 v19, 0, 1, vcc_lo
	v_cmp_gt_u32_e32 vcc_lo, s36, v1
	v_dual_mov_b32 v20, 0 :: v_dual_mov_b32 v1, s20
	v_dual_mov_b32 v21, 0 :: v_dual_mov_b32 v2, s21
	;; [unrolled: 1-line block ×5, first 2 shown]
                                        ; implicit-def: $sgpr2
                                        ; implicit-def: $vgpr24
	s_and_saveexec_b32 s9, vcc_lo
	s_cbranch_execz .LBB95_55
; %bb.44:
	ds_load_2addr_b32 v[24:25], v30 offset0:3 offset1:4
	v_cmp_ne_u32_e32 vcc_lo, v22, v23
	s_mov_b32 s21, s20
	s_mov_b32 s22, s20
	;; [unrolled: 1-line block ×7, first 2 shown]
	v_add_nc_u32_e32 v1, 4, v31
	v_cmp_eq_u32_e64 s2, v22, v23
	v_cndmask_b32_e64 v21, 0, 1, vcc_lo
                                        ; implicit-def: $sgpr11
	s_delay_alu instid0(VALU_DEP_3)
	v_cmp_gt_u32_e32 vcc_lo, s36, v1
	v_dual_mov_b32 v1, s20 :: v_dual_mov_b32 v4, s23
	v_dual_mov_b32 v2, s21 :: v_dual_mov_b32 v3, s22
	v_mov_b32_e32 v6, s25
	s_waitcnt lgkmcnt(0)
	v_cndmask_b32_e64 v20, s33, v24, s2
	v_dual_mov_b32 v5, s24 :: v_dual_mov_b32 v8, s27
	v_mov_b32_e32 v7, s26
                                        ; implicit-def: $vgpr24
	s_and_saveexec_b32 s10, vcc_lo
	s_cbranch_execz .LBB95_54
; %bb.45:
	v_cmp_eq_u32_e32 vcc_lo, v23, v11
	v_mov_b32_e32 v5, 0
	v_add_nc_u32_e32 v3, 5, v31
	s_mov_b32 s2, 0
                                        ; implicit-def: $sgpr21
                                        ; implicit-def: $vgpr24
	s_delay_alu instid0(VALU_DEP_2)
	v_dual_cndmask_b32 v1, s33, v25 :: v_dual_mov_b32 v6, v5
	v_cmp_ne_u32_e32 vcc_lo, v23, v11
	v_mov_b32_e32 v4, v5
	v_mov_b32_e32 v7, v5
	;; [unrolled: 1-line block ×3, first 2 shown]
	v_cndmask_b32_e64 v2, 0, 1, vcc_lo
	v_cmp_gt_u32_e32 vcc_lo, s36, v3
	v_mov_b32_e32 v3, v5
	s_and_saveexec_b32 s11, vcc_lo
	s_cbranch_execz .LBB95_53
; %bb.46:
	ds_load_2addr_b32 v[22:23], v30 offset0:5 offset1:6
	v_dual_mov_b32 v6, v5 :: v_dual_add_nc_u32 v3, 6, v31
	v_cmp_ne_u32_e32 vcc_lo, v11, v12
	v_cmp_eq_u32_e64 s2, v11, v12
	v_mov_b32_e32 v7, v5
	v_mov_b32_e32 v8, v5
                                        ; implicit-def: $sgpr22
                                        ; implicit-def: $vgpr24
	v_cndmask_b32_e64 v4, 0, 1, vcc_lo
	v_cmp_gt_u32_e32 vcc_lo, s36, v3
	s_waitcnt lgkmcnt(0)
	v_cndmask_b32_e64 v3, s33, v22, s2
	s_and_saveexec_b32 s2, vcc_lo
	s_cbranch_execz .LBB95_52
; %bb.47:
	v_cmp_eq_u32_e32 vcc_lo, v12, v9
	s_mov_b32 s21, 0
	s_delay_alu instid0(SALU_CYCLE_1) | instskip(SKIP_3) | instid1(VALU_DEP_4)
	v_dual_mov_b32 v8, s21 :: v_dual_add_nc_u32 v7, 7, v31
                                        ; implicit-def: $sgpr22
                                        ; implicit-def: $vgpr24
	v_cndmask_b32_e32 v5, s33, v23, vcc_lo
	v_cmp_ne_u32_e32 vcc_lo, v12, v9
	v_cndmask_b32_e64 v6, 0, 1, vcc_lo
	v_cmp_gt_u32_e32 vcc_lo, s36, v7
	v_mov_b32_e32 v7, s21
	s_and_saveexec_b32 s20, vcc_lo
	s_cbranch_execz .LBB95_51
; %bb.48:
	ds_load_2addr_b32 v[11:12], v30 offset0:7 offset1:8
	v_cmp_ne_u32_e32 vcc_lo, v9, v10
	v_add_nc_u32_e32 v22, 8, v31
	s_mov_b32 s23, exec_lo
                                        ; implicit-def: $sgpr22
                                        ; implicit-def: $vgpr24
	v_cndmask_b32_e64 v8, 0, 1, vcc_lo
	v_cmp_eq_u32_e32 vcc_lo, v9, v10
	s_waitcnt lgkmcnt(0)
	v_cndmask_b32_e32 v7, s33, v11, vcc_lo
	v_cmpx_gt_u32_e64 s36, v22
	s_xor_b32 s23, exec_lo, s23
; %bb.49:
	v_cmp_ne_u32_e32 vcc_lo, v10, v29
	s_mov_b32 s21, exec_lo
	v_cndmask_b32_e64 v24, v12, s33, vcc_lo
	s_and_b32 s22, vcc_lo, exec_lo
; %bb.50:
	s_or_b32 exec_lo, exec_lo, s23
	s_delay_alu instid0(SALU_CYCLE_1)
	s_and_b32 s22, s22, exec_lo
	s_and_b32 s21, s21, exec_lo
.LBB95_51:
	s_or_b32 exec_lo, exec_lo, s20
	s_delay_alu instid0(SALU_CYCLE_1)
	s_and_b32 s22, s22, exec_lo
	s_and_b32 s20, s21, exec_lo
.LBB95_52:
	s_or_b32 exec_lo, exec_lo, s2
	s_delay_alu instid0(SALU_CYCLE_1)
	s_and_b32 s21, s22, exec_lo
	s_and_b32 s2, s20, exec_lo
.LBB95_53:
	s_or_b32 exec_lo, exec_lo, s11
	s_delay_alu instid0(SALU_CYCLE_1)
	s_and_b32 s11, s21, exec_lo
	s_and_b32 s20, s2, exec_lo
.LBB95_54:
	s_or_b32 exec_lo, exec_lo, s10
	s_delay_alu instid0(SALU_CYCLE_1)
	s_and_b32 s2, s11, exec_lo
	s_and_b32 s20, s20, exec_lo
.LBB95_55:
	s_or_b32 exec_lo, exec_lo, s9
	s_delay_alu instid0(SALU_CYCLE_1)
	s_and_b32 s2, s2, exec_lo
	s_and_b32 s20, s20, exec_lo
.LBB95_56:
	s_or_b32 exec_lo, exec_lo, s8
	s_delay_alu instid0(SALU_CYCLE_1)
	s_and_b32 s2, s2, exec_lo
	s_and_b32 s20, s20, exec_lo
.LBB95_57:
	s_or_b32 exec_lo, exec_lo, s5
	s_delay_alu instid0(SALU_CYCLE_1)
	s_and_b32 s2, s2, exec_lo
	s_and_b32 s5, s20, exec_lo
.LBB95_58:
	s_or_b32 exec_lo, exec_lo, s3
	s_delay_alu instid0(SALU_CYCLE_1)
	s_and_b32 vcc_lo, exec_lo, s4
	s_cbranch_vccz .LBB95_64
.LBB95_59:
	v_add_co_u32 v3, s2, s34, v13
	s_delay_alu instid0(VALU_DEP_1)
	v_add_co_ci_u32_e64 v4, null, s35, 0, s2
	s_clause 0x1
	global_load_b32 v5, v13, s[34:35] offset:1024
	global_load_b32 v6, v13, s[34:35] offset:2048
	v_add_co_u32 v1, vcc_lo, 0x1000, v3
	v_add_co_ci_u32_e32 v2, vcc_lo, 0, v4, vcc_lo
	v_add_co_u32 v3, vcc_lo, v3, 0x2000
	v_add_co_ci_u32_e32 v4, vcc_lo, 0, v4, vcc_lo
	s_clause 0x6
	global_load_b32 v7, v13, s[34:35] offset:3072
	global_load_b32 v8, v[1:2], off offset:1024
	global_load_b32 v9, v[1:2], off offset:2048
	global_load_b32 v10, v13, s[34:35]
	global_load_b32 v11, v[3:4], off
	global_load_b32 v3, v[3:4], off offset:-4096
	global_load_b32 v1, v[1:2], off offset:3072
	v_lshl_add_u32 v16, v0, 5, v13
	s_mov_b32 s2, 0
	s_waitcnt vmcnt(3)
	ds_store_2addr_stride64_b32 v13, v10, v5 offset1:4
	ds_store_2addr_stride64_b32 v13, v6, v7 offset0:8 offset1:12
	s_waitcnt vmcnt(1)
	ds_store_2addr_stride64_b32 v13, v3, v8 offset0:16 offset1:20
	s_waitcnt vmcnt(0)
	ds_store_2addr_stride64_b32 v13, v9, v1 offset0:24 offset1:28
	ds_store_b32 v13, v11 offset:8192
	s_waitcnt lgkmcnt(0)
	s_barrier
	buffer_gl0_inv
	s_load_b32 s3, s[34:35], 0x2400
	ds_load_2addr_b32 v[3:4], v16 offset1:1
	ds_load_2addr_b32 v[1:2], v16 offset0:2 offset1:3
	ds_load_2addr_b32 v[11:12], v16 offset0:6 offset1:7
	;; [unrolled: 1-line block ×3, first 2 shown]
	ds_load_b32 v25, v16 offset:32
	s_waitcnt lgkmcnt(0)
	ds_store_b32 v13, v3 offset:10240
	s_waitcnt lgkmcnt(0)
	s_barrier
	v_mov_b32_e32 v26, s3
	s_mov_b32 s3, exec_lo
	buffer_gl0_inv
	v_cmpx_ne_u32_e32 0xff, v0
	s_cbranch_execz .LBB95_61
; %bb.60:
	ds_load_b32 v26, v13 offset:10244
.LBB95_61:
	s_or_b32 exec_lo, exec_lo, s3
	v_add_co_u32 v7, s3, s30, v13
	s_delay_alu instid0(VALU_DEP_1) | instskip(SKIP_1) | instid1(VALU_DEP_2)
	v_add_co_ci_u32_e64 v8, null, s31, 0, s3
	s_waitcnt lgkmcnt(0)
	v_add_co_u32 v5, vcc_lo, 0x1000, v7
	s_delay_alu instid0(VALU_DEP_2)
	v_add_co_ci_u32_e32 v6, vcc_lo, 0, v8, vcc_lo
	v_add_co_u32 v7, vcc_lo, v7, 0x2000
	v_add_co_ci_u32_e32 v8, vcc_lo, 0, v8, vcc_lo
	s_barrier
	buffer_gl0_inv
	s_clause 0x8
	global_load_b32 v14, v13, s[30:31] offset:1024
	global_load_b32 v15, v13, s[30:31] offset:2048
	global_load_b32 v17, v13, s[30:31] offset:3072
	global_load_b32 v18, v[5:6], off offset:1024
	global_load_b32 v19, v[5:6], off offset:2048
	global_load_b32 v20, v13, s[30:31]
	global_load_b32 v21, v[7:8], off
	global_load_b32 v7, v[7:8], off offset:-4096
	global_load_b32 v5, v[5:6], off offset:3072
	s_mov_b32 s3, 1
	v_cmp_eq_u32_e32 vcc_lo, v3, v4
	v_mov_b32_e32 v3, s33
	s_waitcnt vmcnt(3)
	ds_store_2addr_stride64_b32 v13, v20, v14 offset1:4
	ds_store_2addr_stride64_b32 v13, v15, v17 offset0:8 offset1:12
	s_waitcnt vmcnt(1)
	ds_store_2addr_stride64_b32 v13, v7, v18 offset0:16 offset1:20
	s_waitcnt vmcnt(0)
	ds_store_2addr_stride64_b32 v13, v19, v5 offset0:24 offset1:28
	ds_store_b32 v13, v21 offset:8192
	s_waitcnt lgkmcnt(0)
	s_barrier
	buffer_gl0_inv
	ds_load_2addr_b32 v[7:8], v16 offset0:1 offset1:2
	ds_load_2addr_b32 v[21:22], v16 offset0:3 offset1:8
	;; [unrolled: 1-line block ×4, first 2 shown]
	v_dual_mov_b32 v15, s3 :: v_dual_mov_b32 v14, s2
	s_and_saveexec_b32 s2, vcc_lo
	s_cbranch_execz .LBB95_63
; %bb.62:
	ds_load_b32 v3, v16
	v_mov_b32_e32 v14, 0
	v_mov_b32_e32 v15, 0
.LBB95_63:
	s_or_b32 exec_lo, exec_lo, s2
	v_cmp_eq_u32_e32 vcc_lo, v4, v1
	s_waitcnt lgkmcnt(0)
	v_or_b32_e32 v14, v14, v3
	v_cmp_ne_u32_e64 s2, v25, v26
	s_mov_b32 s5, -1
                                        ; implicit-def: $sgpr6_sgpr7
	v_cndmask_b32_e32 v16, s33, v7, vcc_lo
	v_cmp_ne_u32_e32 vcc_lo, v4, v1
	v_cndmask_b32_e64 v17, 0, 1, vcc_lo
	v_cmp_eq_u32_e32 vcc_lo, v1, v2
	v_cndmask_b32_e32 v18, s33, v8, vcc_lo
	v_cmp_ne_u32_e32 vcc_lo, v1, v2
	v_cndmask_b32_e64 v19, 0, 1, vcc_lo
	v_cmp_eq_u32_e32 vcc_lo, v2, v9
	;; [unrolled: 4-line block ×3, first 2 shown]
	v_cndmask_b32_e32 v7, s33, v6, vcc_lo
	v_cmp_eq_u32_e32 vcc_lo, v11, v12
	v_cndmask_b32_e32 v5, s33, v5, vcc_lo
	v_cmp_eq_u32_e32 vcc_lo, v10, v11
	;; [unrolled: 2-line block ×3, first 2 shown]
	v_cndmask_b32_e64 v24, v22, s33, s2
	v_cndmask_b32_e32 v1, s33, v23, vcc_lo
	v_cmp_ne_u32_e32 vcc_lo, v12, v25
	v_cndmask_b32_e64 v8, 0, 1, vcc_lo
	v_cmp_ne_u32_e32 vcc_lo, v11, v12
	v_cndmask_b32_e64 v6, 0, 1, vcc_lo
	;; [unrolled: 2-line block ×4, first 2 shown]
.LBB95_64:
	v_dual_mov_b32 v23, s7 :: v_dual_mov_b32 v22, s6
	s_and_saveexec_b32 s3, s5
; %bb.65:
	v_cndmask_b32_e64 v25, 0, 1, s2
	s_delay_alu instid0(VALU_DEP_1)
	v_dual_mov_b32 v22, v24 :: v_dual_mov_b32 v23, v25
; %bb.66:
	s_or_b32 exec_lo, exec_lo, s3
	v_mbcnt_lo_u32_b32 v28, -1, 0
	s_cmp_lg_u32 s15, 0
	s_mov_b32 s10, 0
	s_barrier
	buffer_gl0_inv
	s_cbranch_scc0 .LBB95_102
; %bb.67:
	v_or_b32_e32 v10, v23, v8
	s_mov_b32 s11, 1
	s_delay_alu instid0(SALU_CYCLE_1) | instskip(SKIP_1) | instid1(VALU_DEP_3)
	v_cmp_gt_u64_e64 s2, s[10:11], v[16:17]
	v_cmp_gt_u64_e64 s3, s[10:11], v[18:19]
	v_or3_b32 v10, v10, v6, v4
	v_cmp_gt_u64_e64 s4, s[10:11], v[20:21]
	v_cmp_gt_u64_e64 s5, s[10:11], v[1:2]
	;; [unrolled: 1-line block ×3, first 2 shown]
	v_cndmask_b32_e64 v9, 0, v14, s2
	v_or3_b32 v10, v10, v2, v21
	v_cmp_gt_u64_e64 s7, s[10:11], v[5:6]
	v_cmp_gt_u64_e64 s8, s[10:11], v[7:8]
	s_delay_alu instid0(VALU_DEP_3) | instskip(NEXT) | instid1(VALU_DEP_1)
	v_or3_b32 v10, v10, v19, v17
	v_and_b32_e32 v10, 1, v10
	s_delay_alu instid0(VALU_DEP_1) | instskip(SKIP_4) | instid1(VALU_DEP_3)
	v_cmp_eq_u32_e32 vcc_lo, 1, v10
	v_cndmask_b32_e64 v10, v15, 1, vcc_lo
	v_add_nc_u32_e32 v9, v9, v16
	v_cmp_gt_u64_e32 vcc_lo, s[10:11], v[22:23]
	s_mov_b32 s10, exec_lo
	v_and_b32_e32 v11, 0xff, v10
	s_delay_alu instid0(VALU_DEP_3) | instskip(SKIP_1) | instid1(VALU_DEP_3)
	v_cndmask_b32_e64 v9, 0, v9, s3
	v_and_b32_e32 v13, 1, v10
	v_mov_b32_dpp v12, v11 row_shr:1 row_mask:0xf bank_mask:0xf
	s_delay_alu instid0(VALU_DEP_3) | instskip(NEXT) | instid1(VALU_DEP_1)
	v_add_nc_u32_e32 v9, v9, v18
	v_cndmask_b32_e64 v9, 0, v9, s4
	s_delay_alu instid0(VALU_DEP_1) | instskip(NEXT) | instid1(VALU_DEP_1)
	v_add_nc_u32_e32 v9, v9, v20
	v_cndmask_b32_e64 v9, 0, v9, s5
	s_delay_alu instid0(VALU_DEP_1) | instskip(NEXT) | instid1(VALU_DEP_1)
	;; [unrolled: 3-line block ×5, first 2 shown]
	v_add_nc_u32_e32 v9, v9, v7
	v_cndmask_b32_e32 v9, 0, v9, vcc_lo
	v_cmp_eq_u32_e32 vcc_lo, 1, v13
	s_delay_alu instid0(VALU_DEP_2) | instskip(NEXT) | instid1(VALU_DEP_1)
	v_add_nc_u32_e32 v9, v9, v22
	v_mov_b32_dpp v25, v9 row_shr:1 row_mask:0xf bank_mask:0xf
	v_and_b32_e32 v24, 1, v12
	s_delay_alu instid0(VALU_DEP_1) | instskip(SKIP_1) | instid1(VALU_DEP_4)
	v_cndmask_b32_e64 v24, v24, 1, vcc_lo
	v_cmp_eq_u16_e32 vcc_lo, 0, v11
	v_cndmask_b32_e32 v13, 0, v25, vcc_lo
	s_delay_alu instid0(VALU_DEP_3) | instskip(SKIP_1) | instid1(VALU_DEP_1)
	v_and_b32_e32 v25, 0xffff, v24
	v_and_b32_e32 v12, 15, v28
	v_cmp_eq_u32_e32 vcc_lo, 0, v12
	s_delay_alu instid0(VALU_DEP_3) | instskip(SKIP_2) | instid1(VALU_DEP_3)
	v_cndmask_b32_e32 v11, v25, v11, vcc_lo
	v_cndmask_b32_e64 v13, v13, 0, vcc_lo
	v_cndmask_b32_e32 v10, v24, v10, vcc_lo
	v_mov_b32_dpp v26, v11 row_shr:2 row_mask:0xf bank_mask:0xf
	s_delay_alu instid0(VALU_DEP_3) | instskip(SKIP_1) | instid1(VALU_DEP_2)
	v_add_nc_u32_e32 v9, v13, v9
	v_mov_b32_e32 v13, v11
	v_mov_b32_dpp v25, v9 row_shr:2 row_mask:0xf bank_mask:0xf
	v_cmpx_lt_u32_e32 1, v12
; %bb.68:
	v_cmp_eq_u16_e32 vcc_lo, 0, v24
	v_and_b32_e32 v10, 1, v24
	v_and_b32_e32 v11, 1, v26
	v_cndmask_b32_e32 v13, 0, v25, vcc_lo
	s_delay_alu instid0(VALU_DEP_3) | instskip(NEXT) | instid1(VALU_DEP_2)
	v_cmp_eq_u32_e32 vcc_lo, 1, v10
	v_add_nc_u32_e32 v9, v13, v9
	s_delay_alu instid0(VALU_DEP_4) | instskip(NEXT) | instid1(VALU_DEP_1)
	v_cndmask_b32_e64 v10, v11, 1, vcc_lo
	v_and_b32_e32 v13, 0xffff, v10
	v_mov_b32_e32 v11, v10
; %bb.69:
	s_or_b32 exec_lo, exec_lo, s10
	v_mov_b32_dpp v24, v9 row_shr:4 row_mask:0xf bank_mask:0xf
	s_delay_alu instid0(VALU_DEP_3)
	v_mov_b32_dpp v25, v13 row_shr:4 row_mask:0xf bank_mask:0xf
	s_mov_b32 s9, exec_lo
	v_cmpx_lt_u32_e32 3, v12
; %bb.70:
	v_cmp_eq_u16_e32 vcc_lo, 0, v11
	v_and_b32_e32 v10, 1, v11
	v_and_b32_e32 v13, 1, v25
	v_cndmask_b32_e32 v11, 0, v24, vcc_lo
	s_delay_alu instid0(VALU_DEP_3) | instskip(NEXT) | instid1(VALU_DEP_2)
	v_cmp_eq_u32_e32 vcc_lo, 1, v10
	v_add_nc_u32_e32 v9, v11, v9
	s_delay_alu instid0(VALU_DEP_4) | instskip(NEXT) | instid1(VALU_DEP_1)
	v_cndmask_b32_e64 v10, v13, 1, vcc_lo
	v_and_b32_e32 v13, 0xffff, v10
	v_mov_b32_e32 v11, v10
; %bb.71:
	s_or_b32 exec_lo, exec_lo, s9
	v_mov_b32_dpp v24, v9 row_shr:8 row_mask:0xf bank_mask:0xf
	s_delay_alu instid0(VALU_DEP_3)
	v_mov_b32_dpp v25, v13 row_shr:8 row_mask:0xf bank_mask:0xf
	s_mov_b32 s9, exec_lo
	v_cmpx_lt_u32_e32 7, v12
; %bb.72:
	v_cmp_eq_u16_e32 vcc_lo, 0, v11
	v_and_b32_e32 v10, 1, v11
	v_dual_cndmask_b32 v11, 0, v24 :: v_dual_and_b32 v12, 1, v25
	s_delay_alu instid0(VALU_DEP_2) | instskip(NEXT) | instid1(VALU_DEP_2)
	v_cmp_eq_u32_e32 vcc_lo, 1, v10
	v_add_nc_u32_e32 v9, v11, v9
	s_delay_alu instid0(VALU_DEP_3) | instskip(NEXT) | instid1(VALU_DEP_1)
	v_cndmask_b32_e64 v10, v12, 1, vcc_lo
	v_mov_b32_e32 v11, v10
	v_and_b32_e32 v13, 0xffff, v10
; %bb.73:
	s_or_b32 exec_lo, exec_lo, s9
	ds_swizzle_b32 v12, v9 offset:swizzle(BROADCAST,32,15)
	ds_swizzle_b32 v13, v13 offset:swizzle(BROADCAST,32,15)
	v_cmp_eq_u16_e32 vcc_lo, 0, v11
	v_bfe_i32 v24, v28, 4, 1
	v_and_b32_e32 v25, 16, v28
	v_or_b32_e32 v26, 31, v0
	s_mov_b32 s9, exec_lo
	s_waitcnt lgkmcnt(1)
	v_dual_cndmask_b32 v12, 0, v12 :: v_dual_and_b32 v11, 1, v11
	s_waitcnt lgkmcnt(0)
	v_and_b32_e32 v13, 1, v13
	s_delay_alu instid0(VALU_DEP_2) | instskip(NEXT) | instid1(VALU_DEP_3)
	v_cmp_eq_u32_e32 vcc_lo, 1, v11
	v_and_b32_e32 v12, v24, v12
	s_delay_alu instid0(VALU_DEP_3) | instskip(SKIP_2) | instid1(VALU_DEP_4)
	v_cndmask_b32_e64 v24, v13, 1, vcc_lo
	v_cmp_eq_u32_e32 vcc_lo, 0, v25
	v_lshrrev_b32_e32 v13, 5, v0
	v_add_nc_u32_e32 v11, v12, v9
	s_delay_alu instid0(VALU_DEP_4)
	v_cndmask_b32_e32 v12, v24, v10, vcc_lo
	v_cmpx_eq_u32_e64 v26, v0
	s_cbranch_execz .LBB95_75
; %bb.74:
	v_lshlrev_b32_e32 v9, 3, v13
	ds_store_b32 v9, v11
	ds_store_b8 v9, v12 offset:4
.LBB95_75:
	s_or_b32 exec_lo, exec_lo, s9
	s_delay_alu instid0(SALU_CYCLE_1)
	s_mov_b32 s10, exec_lo
	s_waitcnt lgkmcnt(0)
	s_barrier
	buffer_gl0_inv
	v_cmpx_gt_u32_e32 8, v0
	s_cbranch_execz .LBB95_81
; %bb.76:
	v_lshlrev_b32_e32 v24, 3, v0
	v_and_b32_e32 v25, 7, v28
	s_mov_b32 s9, exec_lo
	ds_load_b64 v[9:10], v24
	s_waitcnt lgkmcnt(0)
	v_dual_mov_b32 v27, v10 :: v_dual_and_b32 v26, 0xffffff00, v10
	v_mov_b32_dpp v29, v9 row_shr:1 row_mask:0xf bank_mask:0xf
	v_mov_b32_dpp v30, v10 row_shr:1 row_mask:0xf bank_mask:0xf
	v_cmpx_ne_u32_e32 0, v25
; %bb.77:
	v_and_b32_e32 v27, 1, v10
	s_delay_alu instid0(VALU_DEP_3) | instskip(SKIP_1) | instid1(VALU_DEP_3)
	v_and_b32_e32 v30, 1, v30
	v_and_b32_e32 v31, 0xff, v10
	v_cmp_eq_u32_e32 vcc_lo, 1, v27
	s_delay_alu instid0(VALU_DEP_3) | instskip(NEXT) | instid1(VALU_DEP_3)
	v_cndmask_b32_e64 v10, v30, 1, vcc_lo
	v_cmp_eq_u16_e32 vcc_lo, 0, v31
	v_cndmask_b32_e32 v27, 0, v29, vcc_lo
	s_delay_alu instid0(VALU_DEP_3) | instskip(NEXT) | instid1(VALU_DEP_2)
	v_and_b32_e32 v29, 0xffff, v10
	v_add_nc_u32_e32 v9, v27, v9
	s_delay_alu instid0(VALU_DEP_2)
	v_or_b32_e32 v27, v26, v29
; %bb.78:
	s_or_b32 exec_lo, exec_lo, s9
	s_delay_alu instid0(VALU_DEP_2) | instskip(NEXT) | instid1(VALU_DEP_2)
	v_mov_b32_dpp v29, v9 row_shr:2 row_mask:0xf bank_mask:0xf
	v_mov_b32_dpp v31, v27 row_shr:2 row_mask:0xf bank_mask:0xf
	v_mov_b32_e32 v30, v27
	s_mov_b32 s9, exec_lo
	v_cmpx_lt_u32_e32 1, v25
; %bb.79:
	v_and_b32_e32 v10, 1, v27
	v_and_b32_e32 v30, 1, v31
	s_delay_alu instid0(VALU_DEP_2) | instskip(NEXT) | instid1(VALU_DEP_2)
	v_cmp_eq_u32_e32 vcc_lo, 1, v10
	v_cndmask_b32_e64 v10, v30, 1, vcc_lo
	s_delay_alu instid0(VALU_DEP_1) | instskip(NEXT) | instid1(VALU_DEP_1)
	v_dual_mov_b32 v30, v10 :: v_dual_and_b32 v27, 0xff, v27
	v_cmp_eq_u16_e32 vcc_lo, 0, v27
	v_cndmask_b32_e32 v27, 0, v29, vcc_lo
	v_and_b32_e32 v29, 0xffff, v10
	s_delay_alu instid0(VALU_DEP_2) | instskip(NEXT) | instid1(VALU_DEP_2)
	v_add_nc_u32_e32 v9, v27, v9
	v_or_b32_e32 v27, v26, v29
; %bb.80:
	s_or_b32 exec_lo, exec_lo, s9
	s_delay_alu instid0(VALU_DEP_1) | instskip(SKIP_2) | instid1(VALU_DEP_3)
	v_mov_b32_dpp v26, v27 row_shr:4 row_mask:0xf bank_mask:0xf
	v_and_b32_e32 v29, 1, v30
	v_and_b32_e32 v27, 0xff, v30
	v_and_b32_e32 v26, 1, v26
	s_delay_alu instid0(VALU_DEP_3) | instskip(NEXT) | instid1(VALU_DEP_3)
	v_cmp_eq_u32_e64 s9, 1, v29
	v_cmp_eq_u16_e32 vcc_lo, 0, v27
	s_delay_alu instid0(VALU_DEP_2) | instskip(SKIP_2) | instid1(VALU_DEP_2)
	v_cndmask_b32_e64 v26, v26, 1, s9
	v_cmp_lt_u32_e64 s9, 3, v25
	v_mov_b32_dpp v25, v9 row_shr:4 row_mask:0xf bank_mask:0xf
	s_and_b32 vcc_lo, s9, vcc_lo
	s_delay_alu instid0(VALU_DEP_3) | instskip(NEXT) | instid1(VALU_DEP_2)
	v_cndmask_b32_e64 v10, v10, v26, s9
	v_cndmask_b32_e32 v25, 0, v25, vcc_lo
	s_delay_alu instid0(VALU_DEP_1)
	v_add_nc_u32_e32 v9, v25, v9
	ds_store_b32 v24, v9
	ds_store_b8 v24, v10 offset:4
.LBB95_81:
	s_or_b32 exec_lo, exec_lo, s10
	v_cmp_gt_u32_e32 vcc_lo, 32, v0
	v_dual_mov_b32 v29, 0 :: v_dual_mov_b32 v30, 0
	s_mov_b32 s10, exec_lo
	s_waitcnt lgkmcnt(0)
	s_barrier
	buffer_gl0_inv
	v_cmpx_lt_u32_e32 31, v0
	s_cbranch_execz .LBB95_83
; %bb.82:
	v_lshl_add_u32 v9, v13, 3, -8
	v_and_b32_e32 v10, 1, v12
	ds_load_b32 v29, v9
	ds_load_u8 v30, v9 offset:4
	v_and_b32_e32 v9, 0xff, v12
	s_delay_alu instid0(VALU_DEP_1) | instskip(SKIP_1) | instid1(VALU_DEP_1)
	v_cmp_eq_u16_e64 s9, 0, v9
	s_waitcnt lgkmcnt(1)
	v_cndmask_b32_e64 v9, 0, v29, s9
	v_cmp_eq_u32_e64 s9, 1, v10
	s_delay_alu instid0(VALU_DEP_2) | instskip(SKIP_1) | instid1(VALU_DEP_2)
	v_add_nc_u32_e32 v11, v9, v11
	s_waitcnt lgkmcnt(0)
	v_cndmask_b32_e64 v12, v30, 1, s9
.LBB95_83:
	s_or_b32 exec_lo, exec_lo, s10
	v_add_nc_u32_e32 v9, -1, v28
	s_delay_alu instid0(VALU_DEP_2) | instskip(NEXT) | instid1(VALU_DEP_2)
	v_and_b32_e32 v10, 0xff, v12
	v_cmp_gt_i32_e64 s9, 0, v9
	s_delay_alu instid0(VALU_DEP_1) | instskip(SKIP_1) | instid1(VALU_DEP_2)
	v_cndmask_b32_e64 v9, v9, v28, s9
	v_cmp_eq_u32_e64 s9, 0, v28
	v_lshlrev_b32_e32 v9, 2, v9
	ds_bpermute_b32 v31, v9, v11
	ds_bpermute_b32 v32, v9, v10
	s_and_saveexec_b32 s11, vcc_lo
	s_cbranch_execz .LBB95_101
; %bb.84:
	v_mov_b32_e32 v12, 0
	ds_load_b64 v[9:10], v12 offset:56
	s_waitcnt lgkmcnt(0)
	v_readfirstlane_b32 s22, v10
	s_and_saveexec_b32 s10, s9
	s_cbranch_execz .LBB95_86
; %bb.85:
	s_add_i32 s20, s15, 32
	s_mov_b32 s21, 0
	v_mov_b32_e32 v11, 1
	s_lshl_b64 s[24:25], s[20:21], 4
	s_mov_b32 s26, s21
	s_add_u32 s24, s16, s24
	s_addc_u32 s25, s17, s25
	s_and_b32 s27, s22, 0xff000000
	s_and_b32 s31, s22, 0xff0000
	s_mov_b32 s30, s21
	v_dual_mov_b32 v24, s24 :: v_dual_mov_b32 v25, s25
	s_or_b64 s[26:27], s[30:31], s[26:27]
	s_and_b32 s31, s22, 0xff00
	s_delay_alu instid0(SALU_CYCLE_1) | instskip(SKIP_1) | instid1(SALU_CYCLE_1)
	s_or_b64 s[26:27], s[26:27], s[30:31]
	s_and_b32 s31, s22, 0xff
	s_or_b64 s[20:21], s[26:27], s[30:31]
	s_delay_alu instid0(SALU_CYCLE_1)
	v_mov_b32_e32 v10, s21
	;;#ASMSTART
	global_store_dwordx4 v[24:25], v[9:12] off	
s_waitcnt vmcnt(0)
	;;#ASMEND
.LBB95_86:
	s_or_b32 exec_lo, exec_lo, s10
	v_xad_u32 v24, v28, -1, s15
	s_mov_b32 s20, 0
	s_mov_b32 s10, exec_lo
	s_delay_alu instid0(VALU_DEP_1) | instskip(NEXT) | instid1(VALU_DEP_1)
	v_add_nc_u32_e32 v11, 32, v24
	v_lshlrev_b64 v[10:11], 4, v[11:12]
	s_delay_alu instid0(VALU_DEP_1) | instskip(NEXT) | instid1(VALU_DEP_2)
	v_add_co_u32 v25, vcc_lo, s16, v10
	v_add_co_ci_u32_e32 v26, vcc_lo, s17, v11, vcc_lo
	;;#ASMSTART
	global_load_dwordx4 v[10:13], v[25:26] off glc	
s_waitcnt vmcnt(0)
	;;#ASMEND
	v_and_b32_e32 v13, 0xff, v12
	s_delay_alu instid0(VALU_DEP_1)
	v_cmpx_eq_u16_e32 0, v13
	s_cbranch_execz .LBB95_89
.LBB95_87:                              ; =>This Inner Loop Header: Depth=1
	;;#ASMSTART
	global_load_dwordx4 v[10:13], v[25:26] off glc	
s_waitcnt vmcnt(0)
	;;#ASMEND
	v_and_b32_e32 v13, 0xff, v12
	s_delay_alu instid0(VALU_DEP_1) | instskip(SKIP_1) | instid1(SALU_CYCLE_1)
	v_cmp_ne_u16_e32 vcc_lo, 0, v13
	s_or_b32 s20, vcc_lo, s20
	s_and_not1_b32 exec_lo, exec_lo, s20
	s_cbranch_execnz .LBB95_87
; %bb.88:
	s_or_b32 exec_lo, exec_lo, s20
.LBB95_89:
	s_delay_alu instid0(SALU_CYCLE_1)
	s_or_b32 exec_lo, exec_lo, s10
	v_cmp_ne_u32_e32 vcc_lo, 31, v28
	v_and_b32_e32 v26, 0xff, v11
	v_and_b32_e32 v25, 0xff, v12
	v_lshlrev_b32_e64 v34, v28, -1
	v_and_b32_e32 v11, 1, v11
	v_add_co_ci_u32_e32 v13, vcc_lo, 0, v28, vcc_lo
	s_delay_alu instid0(VALU_DEP_4) | instskip(SKIP_2) | instid1(VALU_DEP_3)
	v_cmp_eq_u16_e32 vcc_lo, 2, v25
	v_add_nc_u32_e32 v35, 1, v28
	s_mov_b32 s20, 0
	v_lshlrev_b32_e32 v33, 2, v13
	s_mov_b32 s21, 1
	v_and_or_b32 v25, vcc_lo, v34, 0x80000000
	v_cmp_gt_u32_e32 vcc_lo, 30, v28
	v_add_nc_u32_e32 v45, 16, v28
	ds_bpermute_b32 v13, v33, v26
	ds_bpermute_b32 v37, v33, v10
	v_cndmask_b32_e64 v27, 0, 1, vcc_lo
	v_cmp_eq_u32_e32 vcc_lo, 1, v11
	s_waitcnt lgkmcnt(1)
	v_and_b32_e32 v13, 1, v13
	s_delay_alu instid0(VALU_DEP_1) | instskip(SKIP_2) | instid1(VALU_DEP_3)
	v_cndmask_b32_e64 v11, v13, 1, vcc_lo
	v_ctz_i32_b32_e32 v13, v25
	v_lshlrev_b32_e32 v25, 1, v27
	v_and_b32_e32 v27, 0xffff, v11
	s_delay_alu instid0(VALU_DEP_3) | instskip(NEXT) | instid1(VALU_DEP_3)
	v_cmp_gt_u32_e32 vcc_lo, v35, v13
	v_add_lshl_u32 v36, v25, v28, 2
	v_mov_b32_e32 v25, v10
	v_cndmask_b32_e32 v11, v11, v26, vcc_lo
	v_cndmask_b32_e32 v27, v27, v26, vcc_lo
	s_delay_alu instid0(VALU_DEP_3) | instskip(NEXT) | instid1(VALU_DEP_3)
	v_cmp_gt_u64_e64 s10, s[20:21], v[25:26]
	v_and_b32_e32 v26, 1, v11
	ds_bpermute_b32 v38, v36, v27
	s_waitcnt lgkmcnt(1)
	v_cndmask_b32_e64 v25, 0, v37, s10
	v_cmp_eq_u16_e64 s10, 0, v11
	s_delay_alu instid0(VALU_DEP_2)
	v_cndmask_b32_e64 v25, v25, 0, vcc_lo
	v_cmp_gt_u32_e32 vcc_lo, 28, v28
	s_waitcnt lgkmcnt(0)
	v_and_b32_e32 v37, 1, v38
	v_cndmask_b32_e64 v38, 0, 1, vcc_lo
	v_cmp_eq_u32_e32 vcc_lo, 1, v26
	s_delay_alu instid0(VALU_DEP_2) | instskip(NEXT) | instid1(VALU_DEP_4)
	v_lshlrev_b32_e32 v38, 2, v38
	v_cndmask_b32_e64 v26, v37, 1, vcc_lo
	v_add_nc_u32_e32 v37, 2, v28
	s_delay_alu instid0(VALU_DEP_3) | instskip(NEXT) | instid1(VALU_DEP_3)
	v_add_lshl_u32 v38, v38, v28, 2
	v_and_b32_e32 v39, 0xffff, v26
	s_delay_alu instid0(VALU_DEP_3) | instskip(NEXT) | instid1(VALU_DEP_2)
	v_cmp_gt_u32_e32 vcc_lo, v37, v13
	v_dual_cndmask_b32 v27, v39, v27 :: v_dual_add_nc_u32 v10, v25, v10
	ds_bpermute_b32 v25, v36, v10
	v_dual_cndmask_b32 v26, v26, v11 :: v_dual_add_nc_u32 v39, 4, v28
	s_delay_alu instid0(VALU_DEP_1)
	v_and_b32_e32 v40, 1, v26
	s_waitcnt lgkmcnt(0)
	v_cndmask_b32_e64 v11, 0, v25, s10
	ds_bpermute_b32 v25, v38, v27
	v_cmp_eq_u16_e64 s10, 0, v26
	v_cndmask_b32_e64 v11, v11, 0, vcc_lo
	v_cmp_gt_u32_e32 vcc_lo, 24, v28
	s_delay_alu instid0(VALU_DEP_2)
	v_add_nc_u32_e32 v10, v11, v10
	v_cndmask_b32_e64 v41, 0, 1, vcc_lo
	v_cmp_eq_u32_e32 vcc_lo, 1, v40
	ds_bpermute_b32 v11, v38, v10
	v_lshlrev_b32_e32 v40, 3, v41
	s_waitcnt lgkmcnt(1)
	v_and_b32_e32 v25, 1, v25
	s_delay_alu instid0(VALU_DEP_2) | instskip(NEXT) | instid1(VALU_DEP_2)
	v_add_lshl_u32 v40, v40, v28, 2
	v_cndmask_b32_e64 v25, v25, 1, vcc_lo
	v_cmp_gt_u32_e32 vcc_lo, v39, v13
	s_delay_alu instid0(VALU_DEP_2) | instskip(SKIP_3) | instid1(VALU_DEP_3)
	v_and_b32_e32 v41, 0xffff, v25
	v_cndmask_b32_e32 v25, v25, v26, vcc_lo
	s_waitcnt lgkmcnt(0)
	v_cndmask_b32_e64 v11, 0, v11, s10
	v_cndmask_b32_e32 v26, v41, v27, vcc_lo
	s_delay_alu instid0(VALU_DEP_3) | instskip(SKIP_1) | instid1(VALU_DEP_4)
	v_and_b32_e32 v42, 1, v25
	v_add_nc_u32_e32 v41, 8, v28
	v_cndmask_b32_e64 v11, v11, 0, vcc_lo
	ds_bpermute_b32 v27, v40, v26
	v_cmp_gt_u32_e32 vcc_lo, 16, v28
	v_add_nc_u32_e32 v10, v11, v10
	v_cndmask_b32_e64 v43, 0, 1, vcc_lo
	v_cmp_eq_u32_e32 vcc_lo, 1, v42
	ds_bpermute_b32 v11, v40, v10
	v_lshlrev_b32_e32 v42, 4, v43
	s_delay_alu instid0(VALU_DEP_1) | instskip(SKIP_2) | instid1(VALU_DEP_1)
	v_add_lshl_u32 v44, v42, v28, 2
	s_waitcnt lgkmcnt(1)
	v_and_b32_e32 v27, 1, v27
	v_cndmask_b32_e64 v27, v27, 1, vcc_lo
	v_cmp_eq_u16_e32 vcc_lo, 0, v25
	s_delay_alu instid0(VALU_DEP_2) | instskip(SKIP_3) | instid1(VALU_DEP_2)
	v_and_b32_e32 v43, 0xffff, v27
	s_waitcnt lgkmcnt(0)
	v_cndmask_b32_e32 v11, 0, v11, vcc_lo
	v_cmp_gt_u32_e32 vcc_lo, v41, v13
	v_cndmask_b32_e64 v11, v11, 0, vcc_lo
	v_cndmask_b32_e32 v26, v43, v26, vcc_lo
	v_cndmask_b32_e32 v25, v27, v25, vcc_lo
	s_delay_alu instid0(VALU_DEP_3)
	v_add_nc_u32_e32 v10, v11, v10
	ds_bpermute_b32 v11, v44, v26
	v_and_b32_e32 v27, 0xff, v25
	v_and_b32_e32 v42, 1, v25
	ds_bpermute_b32 v26, v44, v10
	v_cmp_eq_u16_e32 vcc_lo, 0, v27
	s_waitcnt lgkmcnt(0)
	v_dual_cndmask_b32 v26, 0, v26 :: v_dual_and_b32 v11, 1, v11
	v_cmp_eq_u32_e32 vcc_lo, 1, v42
	s_delay_alu instid0(VALU_DEP_2) | instskip(SKIP_1) | instid1(VALU_DEP_4)
	v_cndmask_b32_e64 v11, v11, 1, vcc_lo
	v_cmp_gt_u32_e32 vcc_lo, v45, v13
	v_cndmask_b32_e64 v13, v26, 0, vcc_lo
	s_delay_alu instid0(VALU_DEP_3) | instskip(NEXT) | instid1(VALU_DEP_2)
	v_cndmask_b32_e32 v11, v11, v25, vcc_lo
	v_dual_mov_b32 v25, 0 :: v_dual_add_nc_u32 v10, v13, v10
	s_branch .LBB95_91
.LBB95_90:                              ;   in Loop: Header=BB95_91 Depth=1
	s_or_b32 exec_lo, exec_lo, s10
	v_and_b32_e32 v27, 0xff, v11
	v_and_b32_e32 v26, 0xff, v12
	;; [unrolled: 1-line block ×3, first 2 shown]
	ds_bpermute_b32 v46, v33, v10
	v_subrev_nc_u32_e32 v24, 32, v24
	ds_bpermute_b32 v13, v33, v27
	v_cmp_eq_u16_e32 vcc_lo, 2, v26
	v_and_or_b32 v26, vcc_lo, v34, 0x80000000
	v_cmp_eq_u32_e32 vcc_lo, 1, v11
	s_waitcnt lgkmcnt(0)
	v_and_b32_e32 v13, 1, v13
	s_delay_alu instid0(VALU_DEP_1) | instskip(SKIP_1) | instid1(VALU_DEP_2)
	v_cndmask_b32_e64 v11, v13, 1, vcc_lo
	v_ctz_i32_b32_e32 v13, v26
	v_dual_mov_b32 v26, v10 :: v_dual_and_b32 v47, 0xffff, v11
	s_delay_alu instid0(VALU_DEP_2) | instskip(NEXT) | instid1(VALU_DEP_2)
	v_cmp_gt_u32_e32 vcc_lo, v35, v13
	v_cmp_gt_u64_e64 s10, s[20:21], v[26:27]
	v_cndmask_b32_e32 v11, v11, v27, vcc_lo
	s_delay_alu instid0(VALU_DEP_2) | instskip(NEXT) | instid1(VALU_DEP_2)
	v_cndmask_b32_e64 v26, 0, v46, s10
	v_and_b32_e32 v46, 1, v11
	v_cmp_eq_u16_e64 s10, 0, v11
	s_delay_alu instid0(VALU_DEP_3) | instskip(SKIP_1) | instid1(VALU_DEP_4)
	v_cndmask_b32_e64 v26, v26, 0, vcc_lo
	v_cndmask_b32_e32 v47, v47, v27, vcc_lo
	v_cmp_eq_u32_e32 vcc_lo, 1, v46
	s_delay_alu instid0(VALU_DEP_3)
	v_add_nc_u32_e32 v10, v26, v10
	ds_bpermute_b32 v27, v36, v47
	ds_bpermute_b32 v26, v36, v10
	s_waitcnt lgkmcnt(1)
	v_and_b32_e32 v27, 1, v27
	s_waitcnt lgkmcnt(0)
	v_cndmask_b32_e64 v26, 0, v26, s10
	s_delay_alu instid0(VALU_DEP_2) | instskip(SKIP_1) | instid1(VALU_DEP_2)
	v_cndmask_b32_e64 v27, v27, 1, vcc_lo
	v_cmp_gt_u32_e32 vcc_lo, v37, v13
	v_and_b32_e32 v46, 0xffff, v27
	s_delay_alu instid0(VALU_DEP_4) | instskip(SKIP_1) | instid1(VALU_DEP_3)
	v_cndmask_b32_e64 v26, v26, 0, vcc_lo
	v_cndmask_b32_e32 v11, v27, v11, vcc_lo
	v_cndmask_b32_e32 v27, v46, v47, vcc_lo
	s_delay_alu instid0(VALU_DEP_3) | instskip(NEXT) | instid1(VALU_DEP_3)
	v_add_nc_u32_e32 v10, v26, v10
	v_and_b32_e32 v47, 1, v11
	ds_bpermute_b32 v46, v38, v27
	ds_bpermute_b32 v26, v38, v10
	v_cmp_eq_u32_e32 vcc_lo, 1, v47
	s_waitcnt lgkmcnt(1)
	v_and_b32_e32 v46, 1, v46
	s_delay_alu instid0(VALU_DEP_1) | instskip(SKIP_1) | instid1(VALU_DEP_2)
	v_cndmask_b32_e64 v46, v46, 1, vcc_lo
	v_cmp_eq_u16_e32 vcc_lo, 0, v11
	v_and_b32_e32 v47, 0xffff, v46
	s_waitcnt lgkmcnt(0)
	v_cndmask_b32_e32 v26, 0, v26, vcc_lo
	v_cmp_gt_u32_e32 vcc_lo, v39, v13
	s_delay_alu instid0(VALU_DEP_2) | instskip(NEXT) | instid1(VALU_DEP_1)
	v_cndmask_b32_e64 v26, v26, 0, vcc_lo
	v_dual_cndmask_b32 v27, v47, v27 :: v_dual_add_nc_u32 v10, v26, v10
	ds_bpermute_b32 v26, v40, v27
	v_cndmask_b32_e32 v11, v46, v11, vcc_lo
	ds_bpermute_b32 v46, v40, v10
	s_waitcnt lgkmcnt(1)
	v_and_b32_e32 v26, 1, v26
	v_and_b32_e32 v47, 1, v11
	v_cmp_eq_u16_e32 vcc_lo, 0, v11
	s_waitcnt lgkmcnt(0)
	v_cndmask_b32_e32 v46, 0, v46, vcc_lo
	s_delay_alu instid0(VALU_DEP_3) | instskip(SKIP_2) | instid1(VALU_DEP_4)
	v_cmp_eq_u32_e32 vcc_lo, 1, v47
	v_cndmask_b32_e64 v26, v26, 1, vcc_lo
	v_cmp_gt_u32_e32 vcc_lo, v41, v13
	v_cndmask_b32_e64 v46, v46, 0, vcc_lo
	s_delay_alu instid0(VALU_DEP_3) | instskip(NEXT) | instid1(VALU_DEP_2)
	v_dual_cndmask_b32 v11, v26, v11 :: v_dual_and_b32 v26, 0xffff, v26
	v_add_nc_u32_e32 v10, v46, v10
	s_delay_alu instid0(VALU_DEP_2) | instskip(NEXT) | instid1(VALU_DEP_3)
	v_and_b32_e32 v46, 0xff, v11
	v_cndmask_b32_e32 v26, v26, v27, vcc_lo
	v_and_b32_e32 v47, 1, v11
	ds_bpermute_b32 v27, v44, v10
	v_cmp_eq_u16_e32 vcc_lo, 0, v46
	ds_bpermute_b32 v26, v44, v26
	s_waitcnt lgkmcnt(1)
	v_cndmask_b32_e32 v27, 0, v27, vcc_lo
	v_cmp_eq_u32_e32 vcc_lo, 1, v47
	s_waitcnt lgkmcnt(0)
	v_cndmask_b32_e64 v26, v26, 1, vcc_lo
	v_cmp_gt_u32_e32 vcc_lo, v45, v13
	s_delay_alu instid0(VALU_DEP_2) | instskip(SKIP_1) | instid1(VALU_DEP_2)
	v_dual_cndmask_b32 v11, v26, v11 :: v_dual_and_b32 v26, 0xff, v42
	v_cndmask_b32_e64 v13, v27, 0, vcc_lo
	v_and_b32_e32 v11, 1, v11
	s_delay_alu instid0(VALU_DEP_3) | instskip(NEXT) | instid1(VALU_DEP_3)
	v_cmp_eq_u16_e32 vcc_lo, 0, v26
	v_add_nc_u32_e32 v10, v13, v10
	v_and_b32_e32 v13, 1, v42
	s_delay_alu instid0(VALU_DEP_2) | instskip(NEXT) | instid1(VALU_DEP_2)
	v_cndmask_b32_e32 v10, 0, v10, vcc_lo
	v_cmp_eq_u32_e32 vcc_lo, 1, v13
	s_delay_alu instid0(VALU_DEP_2)
	v_add_nc_u32_e32 v10, v10, v43
	v_cndmask_b32_e64 v11, v11, 1, vcc_lo
.LBB95_91:                              ; =>This Loop Header: Depth=1
                                        ;     Child Loop BB95_94 Depth 2
	s_delay_alu instid0(VALU_DEP_1) | instskip(NEXT) | instid1(VALU_DEP_2)
	v_dual_mov_b32 v43, v10 :: v_dual_and_b32 v12, 0xff, v12
	v_mov_b32_e32 v42, v11
	s_delay_alu instid0(VALU_DEP_2) | instskip(SKIP_2) | instid1(VALU_DEP_1)
	v_cmp_ne_u16_e32 vcc_lo, 2, v12
	v_cndmask_b32_e64 v12, 0, 1, vcc_lo
	;;#ASMSTART
	;;#ASMEND
	v_cmp_ne_u32_e32 vcc_lo, 0, v12
	s_cmp_lg_u32 vcc_lo, exec_lo
	s_cbranch_scc1 .LBB95_96
; %bb.92:                               ;   in Loop: Header=BB95_91 Depth=1
	v_lshlrev_b64 v[10:11], 4, v[24:25]
	s_mov_b32 s10, exec_lo
	s_delay_alu instid0(VALU_DEP_1) | instskip(NEXT) | instid1(VALU_DEP_2)
	v_add_co_u32 v26, vcc_lo, s16, v10
	v_add_co_ci_u32_e32 v27, vcc_lo, s17, v11, vcc_lo
	;;#ASMSTART
	global_load_dwordx4 v[10:13], v[26:27] off glc	
s_waitcnt vmcnt(0)
	;;#ASMEND
	v_and_b32_e32 v13, 0xff, v12
	s_delay_alu instid0(VALU_DEP_1)
	v_cmpx_eq_u16_e32 0, v13
	s_cbranch_execz .LBB95_90
; %bb.93:                               ;   in Loop: Header=BB95_91 Depth=1
	s_mov_b32 s23, 0
.LBB95_94:                              ;   Parent Loop BB95_91 Depth=1
                                        ; =>  This Inner Loop Header: Depth=2
	;;#ASMSTART
	global_load_dwordx4 v[10:13], v[26:27] off glc	
s_waitcnt vmcnt(0)
	;;#ASMEND
	v_and_b32_e32 v13, 0xff, v12
	s_delay_alu instid0(VALU_DEP_1) | instskip(SKIP_1) | instid1(SALU_CYCLE_1)
	v_cmp_ne_u16_e32 vcc_lo, 0, v13
	s_or_b32 s23, vcc_lo, s23
	s_and_not1_b32 exec_lo, exec_lo, s23
	s_cbranch_execnz .LBB95_94
; %bb.95:                               ;   in Loop: Header=BB95_91 Depth=1
	s_or_b32 exec_lo, exec_lo, s23
	s_branch .LBB95_90
.LBB95_96:                              ;   in Loop: Header=BB95_91 Depth=1
                                        ; implicit-def: $vgpr11
                                        ; implicit-def: $vgpr10
                                        ; implicit-def: $vgpr12
	s_cbranch_execz .LBB95_91
; %bb.97:
	s_and_saveexec_b32 s10, s9
	s_cbranch_execz .LBB95_99
; %bb.98:
	s_and_b32 s20, s22, 0xff
	s_mov_b32 s21, 0
	s_cmp_eq_u32 s20, 0
	v_and_b32_e32 v11, 1, v42
	s_cselect_b32 vcc_lo, -1, 0
	s_bitcmp1_b32 s22, 0
	v_cndmask_b32_e32 v10, 0, v43, vcc_lo
	s_cselect_b32 s22, -1, 0
	s_add_i32 s20, s15, 32
	v_mov_b32_e32 v12, 0
	s_lshl_b64 s[20:21], s[20:21], 4
	v_add_nc_u32_e32 v9, v10, v9
	s_add_u32 s20, s16, s20
	s_addc_u32 s21, s17, s21
	v_cndmask_b32_e64 v10, v11, 1, s22
	v_mov_b32_e32 v25, s21
	v_dual_mov_b32 v11, 2 :: v_dual_mov_b32 v24, s20
	;;#ASMSTART
	global_store_dwordx4 v[24:25], v[9:12] off	
s_waitcnt vmcnt(0)
	;;#ASMEND
.LBB95_99:
	s_or_b32 exec_lo, exec_lo, s10
	v_cmp_eq_u32_e32 vcc_lo, 0, v0
	s_and_b32 exec_lo, exec_lo, vcc_lo
	s_cbranch_execz .LBB95_101
; %bb.100:
	v_mov_b32_e32 v9, 0
	ds_store_b32 v9, v43 offset:56
	ds_store_b8 v9, v42 offset:60
.LBB95_101:
	s_or_b32 exec_lo, exec_lo, s11
	s_waitcnt lgkmcnt(0)
	v_cndmask_b32_e64 v10, v32, v30, s9
	v_mov_b32_e32 v9, 0
	s_barrier
	buffer_gl0_inv
	v_and_b32_e32 v10, 0xff, v10
	ds_load_b32 v11, v9 offset:56
	v_cndmask_b32_e64 v12, v31, v29, s9
	v_cmp_eq_u16_e32 vcc_lo, 0, v10
	s_waitcnt lgkmcnt(0)
	v_cndmask_b32_e32 v10, 0, v11, vcc_lo
	v_cmp_eq_u32_e32 vcc_lo, 0, v0
	s_delay_alu instid0(VALU_DEP_2) | instskip(SKIP_1) | instid1(VALU_DEP_2)
	v_add_nc_u32_e32 v12, v10, v12
	v_and_b32_e32 v10, 0xff, v15
	v_cndmask_b32_e32 v25, v12, v11, vcc_lo
	s_delay_alu instid0(VALU_DEP_2) | instskip(NEXT) | instid1(VALU_DEP_2)
	v_cmp_eq_u64_e32 vcc_lo, 0, v[9:10]
	v_cndmask_b32_e32 v9, 0, v25, vcc_lo
	s_delay_alu instid0(VALU_DEP_1) | instskip(NEXT) | instid1(VALU_DEP_1)
	v_add_nc_u32_e32 v12, v9, v14
	v_cndmask_b32_e64 v9, 0, v12, s2
	s_delay_alu instid0(VALU_DEP_1) | instskip(NEXT) | instid1(VALU_DEP_1)
	v_add_nc_u32_e32 v13, v9, v16
	v_cndmask_b32_e64 v9, 0, v13, s3
	;; [unrolled: 3-line block ×7, first 2 shown]
	s_delay_alu instid0(VALU_DEP_1)
	v_add_nc_u32_e32 v31, v9, v7
	s_branch .LBB95_124
.LBB95_102:
                                        ; implicit-def: $vgpr25
                                        ; implicit-def: $vgpr12
                                        ; implicit-def: $vgpr13
                                        ; implicit-def: $vgpr24
                                        ; implicit-def: $vgpr26
                                        ; implicit-def: $vgpr27
                                        ; implicit-def: $vgpr29
                                        ; implicit-def: $vgpr30
                                        ; implicit-def: $vgpr31
	s_cbranch_execz .LBB95_124
; %bb.103:
	s_cmp_eq_u64 s[28:29], 0
	s_cbranch_scc1 .LBB95_105
; %bb.104:
	s_load_b32 s33, s[28:29], 0x0
.LBB95_105:
	s_mov_b32 s10, 0
	s_mov_b32 s11, 1
	v_and_b32_e32 v10, 1, v2
	v_cmp_gt_u64_e32 vcc_lo, s[10:11], v[16:17]
	v_cmp_gt_u64_e64 s2, s[10:11], v[18:19]
	v_cmp_gt_u64_e64 s5, s[10:11], v[3:4]
	;; [unrolled: 1-line block ×3, first 2 shown]
	v_and_b32_e32 v12, 1, v4
	v_or3_b32 v4, v23, v21, v19
	s_delay_alu instid0(VALU_DEP_1) | instskip(NEXT) | instid1(VALU_DEP_1)
	v_dual_cndmask_b32 v9, 0, v14 :: v_dual_and_b32 v4, 1, v4
	v_add_nc_u32_e32 v11, v9, v16
	v_mov_b32_e32 v9, 0
	v_and_b32_e32 v25, 1, v8
	v_and_b32_e32 v27, 1, v6
	;; [unrolled: 1-line block ×3, first 2 shown]
	v_cndmask_b32_e64 v13, 0, v11, s2
	v_mov_b32_e32 v26, v9
	v_cmp_ne_u64_e64 s3, 0, v[9:10]
	v_mov_b32_e32 v11, v9
	v_mov_b32_e32 v24, v9
	v_add_nc_u32_e32 v13, v13, v18
	v_cmp_eq_u32_e64 s7, 1, v4
	v_cmp_eq_u32_e64 s9, 1, v6
	v_cndmask_b32_e64 v9, 0, 1, s3
	v_cmp_gt_u64_e64 s3, s[10:11], v[20:21]
	s_delay_alu instid0(VALU_DEP_1) | instskip(NEXT) | instid1(VALU_DEP_1)
	v_cndmask_b32_e64 v10, 0, v13, s3
	v_add_nc_u32_e32 v10, v10, v20
	v_cmp_ne_u64_e64 s4, 0, v[11:12]
	s_delay_alu instid0(VALU_DEP_1) | instskip(SKIP_1) | instid1(VALU_DEP_2)
	v_cndmask_b32_e64 v11, 0, 1, s4
	v_cmp_ne_u64_e64 s4, 0, v[26:27]
	v_lshlrev_b16 v11, 1, v11
	s_delay_alu instid0(VALU_DEP_2) | instskip(SKIP_1) | instid1(VALU_DEP_3)
	v_cndmask_b32_e64 v12, 0, 1, s4
	v_cmp_ne_u64_e64 s4, 0, v[24:25]
	v_or_b32_e32 v9, v9, v11
	s_delay_alu instid0(VALU_DEP_2) | instskip(SKIP_1) | instid1(VALU_DEP_3)
	v_cndmask_b32_e64 v13, 0, 1, s4
	v_cmp_gt_u64_e64 s4, s[10:11], v[1:2]
	v_and_b32_e32 v9, 3, v9
	s_delay_alu instid0(VALU_DEP_2) | instskip(SKIP_2) | instid1(VALU_DEP_3)
	v_cndmask_b32_e64 v2, 0, v10, s4
	v_lshlrev_b16 v10, 2, v12
	v_lshlrev_b16 v12, 3, v13
	v_add_nc_u32_e32 v2, v2, v1
	s_delay_alu instid0(VALU_DEP_2) | instskip(NEXT) | instid1(VALU_DEP_2)
	v_or_b32_e32 v10, v12, v10
	v_cndmask_b32_e64 v2, 0, v2, s5
	s_delay_alu instid0(VALU_DEP_2) | instskip(NEXT) | instid1(VALU_DEP_2)
	v_or_b32_e32 v9, v9, v10
	v_add_nc_u32_e32 v2, v2, v3
	s_delay_alu instid0(VALU_DEP_2) | instskip(NEXT) | instid1(VALU_DEP_2)
	v_and_b32_e32 v9, 15, v9
	v_cndmask_b32_e64 v2, 0, v2, s6
	s_delay_alu instid0(VALU_DEP_2) | instskip(NEXT) | instid1(VALU_DEP_2)
	v_cmp_ne_u16_e64 s8, 0, v9
	v_add_nc_u32_e32 v2, v2, v5
	s_delay_alu instid0(VALU_DEP_2) | instskip(SKIP_2) | instid1(SALU_CYCLE_1)
	s_or_b32 s8, s7, s8
	v_cmp_gt_u64_e64 s7, s[10:11], v[7:8]
	s_or_b32 s8, s8, s9
	v_cndmask_b32_e64 v4, v15, 1, s8
	v_cmp_gt_u64_e64 s8, s[10:11], v[22:23]
	s_mov_b32 s10, exec_lo
	s_delay_alu instid0(VALU_DEP_3) | instskip(NEXT) | instid1(VALU_DEP_3)
	v_cndmask_b32_e64 v2, 0, v2, s7
	v_and_b32_e32 v6, 0xff, v4
	v_and_b32_e32 v9, 1, v4
	s_delay_alu instid0(VALU_DEP_3) | instskip(NEXT) | instid1(VALU_DEP_3)
	v_add_nc_u32_e32 v2, v2, v7
	v_mov_b32_dpp v8, v6 row_shr:1 row_mask:0xf bank_mask:0xf
	s_delay_alu instid0(VALU_DEP_2) | instskip(NEXT) | instid1(VALU_DEP_4)
	v_cndmask_b32_e64 v2, 0, v2, s8
	v_cmp_eq_u32_e64 s8, 1, v9
	s_delay_alu instid0(VALU_DEP_3) | instskip(SKIP_1) | instid1(VALU_DEP_4)
	v_and_b32_e32 v10, 1, v8
	v_and_b32_e32 v8, 15, v28
	v_add_nc_u32_e32 v2, v2, v22
	s_delay_alu instid0(VALU_DEP_3) | instskip(SKIP_1) | instid1(VALU_DEP_3)
	v_cndmask_b32_e64 v10, v10, 1, s8
	v_cmp_eq_u16_e64 s8, 0, v6
	v_mov_b32_dpp v11, v2 row_shr:1 row_mask:0xf bank_mask:0xf
	s_delay_alu instid0(VALU_DEP_1) | instskip(SKIP_2) | instid1(VALU_DEP_2)
	v_cndmask_b32_e64 v9, 0, v11, s8
	v_cmp_eq_u32_e64 s8, 0, v8
	v_and_b32_e32 v11, 0xffff, v10
	v_cndmask_b32_e64 v9, v9, 0, s8
	s_delay_alu instid0(VALU_DEP_2) | instskip(SKIP_1) | instid1(VALU_DEP_3)
	v_cndmask_b32_e64 v6, v11, v6, s8
	v_cndmask_b32_e64 v4, v10, v4, s8
	v_add_nc_u32_e32 v2, v9, v2
	s_delay_alu instid0(VALU_DEP_3) | instskip(SKIP_1) | instid1(VALU_DEP_3)
	v_mov_b32_dpp v12, v6 row_shr:2 row_mask:0xf bank_mask:0xf
	v_mov_b32_e32 v9, v6
	v_mov_b32_dpp v11, v2 row_shr:2 row_mask:0xf bank_mask:0xf
	v_cmpx_lt_u32_e32 1, v8
; %bb.106:
	v_and_b32_e32 v4, 1, v10
	v_cmp_eq_u16_e64 s8, 0, v10
	v_and_b32_e32 v6, 1, v12
	s_delay_alu instid0(VALU_DEP_2) | instskip(NEXT) | instid1(VALU_DEP_4)
	v_cndmask_b32_e64 v9, 0, v11, s8
	v_cmp_eq_u32_e64 s8, 1, v4
	s_delay_alu instid0(VALU_DEP_2) | instskip(NEXT) | instid1(VALU_DEP_2)
	v_add_nc_u32_e32 v2, v9, v2
	v_cndmask_b32_e64 v4, v6, 1, s8
	s_delay_alu instid0(VALU_DEP_1)
	v_dual_mov_b32 v6, v4 :: v_dual_and_b32 v9, 0xffff, v4
; %bb.107:
	s_or_b32 exec_lo, exec_lo, s10
	s_delay_alu instid0(VALU_DEP_3) | instskip(NEXT) | instid1(VALU_DEP_2)
	v_mov_b32_dpp v10, v2 row_shr:4 row_mask:0xf bank_mask:0xf
	v_mov_b32_dpp v11, v9 row_shr:4 row_mask:0xf bank_mask:0xf
	s_mov_b32 s9, exec_lo
	v_cmpx_lt_u32_e32 3, v8
; %bb.108:
	v_and_b32_e32 v4, 1, v6
	v_cmp_eq_u16_e64 s8, 0, v6
	v_and_b32_e32 v9, 1, v11
	s_delay_alu instid0(VALU_DEP_2) | instskip(NEXT) | instid1(VALU_DEP_4)
	v_cndmask_b32_e64 v6, 0, v10, s8
	v_cmp_eq_u32_e64 s8, 1, v4
	s_delay_alu instid0(VALU_DEP_2) | instskip(NEXT) | instid1(VALU_DEP_2)
	v_add_nc_u32_e32 v2, v6, v2
	v_cndmask_b32_e64 v4, v9, 1, s8
	s_delay_alu instid0(VALU_DEP_1)
	v_dual_mov_b32 v6, v4 :: v_dual_and_b32 v9, 0xffff, v4
; %bb.109:
	s_or_b32 exec_lo, exec_lo, s9
	s_delay_alu instid0(VALU_DEP_3) | instskip(NEXT) | instid1(VALU_DEP_2)
	v_mov_b32_dpp v10, v2 row_shr:8 row_mask:0xf bank_mask:0xf
	v_mov_b32_dpp v11, v9 row_shr:8 row_mask:0xf bank_mask:0xf
	s_mov_b32 s9, exec_lo
	v_cmpx_lt_u32_e32 7, v8
; %bb.110:
	v_and_b32_e32 v4, 1, v6
	v_cmp_eq_u16_e64 s8, 0, v6
	v_and_b32_e32 v8, 1, v11
	s_delay_alu instid0(VALU_DEP_2) | instskip(NEXT) | instid1(VALU_DEP_4)
	v_cndmask_b32_e64 v6, 0, v10, s8
	v_cmp_eq_u32_e64 s8, 1, v4
	s_delay_alu instid0(VALU_DEP_2) | instskip(NEXT) | instid1(VALU_DEP_2)
	v_add_nc_u32_e32 v2, v6, v2
	v_cndmask_b32_e64 v4, v8, 1, s8
	s_delay_alu instid0(VALU_DEP_1)
	v_dual_mov_b32 v6, v4 :: v_dual_and_b32 v9, 0xffff, v4
; %bb.111:
	s_or_b32 exec_lo, exec_lo, s9
	ds_swizzle_b32 v8, v2 offset:swizzle(BROADCAST,32,15)
	ds_swizzle_b32 v9, v9 offset:swizzle(BROADCAST,32,15)
	v_cmp_eq_u16_e64 s8, 0, v6
	v_and_b32_e32 v6, 1, v6
	v_bfe_i32 v10, v28, 4, 1
	v_and_b32_e32 v11, 16, v28
	s_mov_b32 s9, exec_lo
	s_waitcnt lgkmcnt(0)
	v_cndmask_b32_e64 v8, 0, v8, s8
	v_and_b32_e32 v9, 1, v9
	v_cmp_eq_u32_e64 s8, 1, v6
	v_lshrrev_b32_e32 v6, 5, v0
	s_delay_alu instid0(VALU_DEP_4) | instskip(SKIP_1) | instid1(VALU_DEP_4)
	v_and_b32_e32 v8, v10, v8
	v_or_b32_e32 v10, 31, v0
	v_cndmask_b32_e64 v9, v9, 1, s8
	v_cmp_eq_u32_e64 s8, 0, v11
	s_delay_alu instid0(VALU_DEP_4) | instskip(NEXT) | instid1(VALU_DEP_2)
	v_add_nc_u32_e32 v2, v8, v2
	v_cndmask_b32_e64 v4, v9, v4, s8
	v_cmpx_eq_u32_e64 v10, v0
	s_cbranch_execz .LBB95_113
; %bb.112:
	v_lshlrev_b32_e32 v8, 3, v6
	ds_store_b32 v8, v2
	ds_store_b8 v8, v4 offset:4
.LBB95_113:
	s_or_b32 exec_lo, exec_lo, s9
	s_delay_alu instid0(SALU_CYCLE_1)
	s_mov_b32 s10, exec_lo
	s_waitcnt lgkmcnt(0)
	s_barrier
	buffer_gl0_inv
	v_cmpx_gt_u32_e32 8, v0
	s_cbranch_execz .LBB95_119
; %bb.114:
	v_lshlrev_b32_e32 v10, 3, v0
	v_and_b32_e32 v11, 7, v28
	s_mov_b32 s9, exec_lo
	ds_load_b64 v[8:9], v10
	s_waitcnt lgkmcnt(0)
	v_dual_mov_b32 v13, v9 :: v_dual_and_b32 v12, 0xffffff00, v9
	v_mov_b32_dpp v17, v8 row_shr:1 row_mask:0xf bank_mask:0xf
	v_mov_b32_dpp v19, v9 row_shr:1 row_mask:0xf bank_mask:0xf
	v_cmpx_ne_u32_e32 0, v11
; %bb.115:
	v_and_b32_e32 v13, 1, v9
	s_delay_alu instid0(VALU_DEP_3) | instskip(SKIP_1) | instid1(VALU_DEP_3)
	v_and_b32_e32 v19, 1, v19
	v_and_b32_e32 v21, 0xff, v9
	v_cmp_eq_u32_e64 s8, 1, v13
	s_delay_alu instid0(VALU_DEP_1) | instskip(NEXT) | instid1(VALU_DEP_3)
	v_cndmask_b32_e64 v9, v19, 1, s8
	v_cmp_eq_u16_e64 s8, 0, v21
	s_delay_alu instid0(VALU_DEP_1) | instskip(NEXT) | instid1(VALU_DEP_3)
	v_cndmask_b32_e64 v13, 0, v17, s8
	v_and_b32_e32 v17, 0xffff, v9
	s_delay_alu instid0(VALU_DEP_2) | instskip(NEXT) | instid1(VALU_DEP_2)
	v_add_nc_u32_e32 v8, v13, v8
	v_or_b32_e32 v13, v12, v17
; %bb.116:
	s_or_b32 exec_lo, exec_lo, s9
	s_delay_alu instid0(VALU_DEP_2) | instskip(NEXT) | instid1(VALU_DEP_2)
	v_mov_b32_dpp v17, v8 row_shr:2 row_mask:0xf bank_mask:0xf
	v_mov_b32_dpp v21, v13 row_shr:2 row_mask:0xf bank_mask:0xf
	v_mov_b32_e32 v19, v13
	s_mov_b32 s9, exec_lo
	v_cmpx_lt_u32_e32 1, v11
; %bb.117:
	v_and_b32_e32 v9, 1, v13
	v_and_b32_e32 v19, 1, v21
	;; [unrolled: 1-line block ×3, first 2 shown]
	s_delay_alu instid0(VALU_DEP_3) | instskip(NEXT) | instid1(VALU_DEP_1)
	v_cmp_eq_u32_e64 s8, 1, v9
	v_cndmask_b32_e64 v9, v19, 1, s8
	s_delay_alu instid0(VALU_DEP_3) | instskip(NEXT) | instid1(VALU_DEP_2)
	v_cmp_eq_u16_e64 s8, 0, v13
	v_mov_b32_e32 v19, v9
	s_delay_alu instid0(VALU_DEP_2) | instskip(SKIP_1) | instid1(VALU_DEP_2)
	v_cndmask_b32_e64 v13, 0, v17, s8
	v_and_b32_e32 v17, 0xffff, v9
	v_add_nc_u32_e32 v8, v13, v8
	s_delay_alu instid0(VALU_DEP_2)
	v_or_b32_e32 v13, v12, v17
; %bb.118:
	s_or_b32 exec_lo, exec_lo, s9
	s_delay_alu instid0(VALU_DEP_1) | instskip(SKIP_2) | instid1(VALU_DEP_3)
	v_mov_b32_dpp v12, v13 row_shr:4 row_mask:0xf bank_mask:0xf
	v_and_b32_e32 v17, 1, v19
	v_and_b32_e32 v13, 0xff, v19
	;; [unrolled: 1-line block ×3, first 2 shown]
	s_delay_alu instid0(VALU_DEP_3) | instskip(NEXT) | instid1(VALU_DEP_3)
	v_cmp_eq_u32_e64 s9, 1, v17
	v_cmp_eq_u16_e64 s8, 0, v13
	s_delay_alu instid0(VALU_DEP_2) | instskip(SKIP_2) | instid1(VALU_DEP_2)
	v_cndmask_b32_e64 v12, v12, 1, s9
	v_cmp_lt_u32_e64 s9, 3, v11
	v_mov_b32_dpp v11, v8 row_shr:4 row_mask:0xf bank_mask:0xf
	s_and_b32 s8, s9, s8
	s_delay_alu instid0(VALU_DEP_3) | instskip(NEXT) | instid1(VALU_DEP_2)
	v_cndmask_b32_e64 v9, v9, v12, s9
	v_cndmask_b32_e64 v11, 0, v11, s8
	s_delay_alu instid0(VALU_DEP_1)
	v_add_nc_u32_e32 v8, v11, v8
	ds_store_b32 v10, v8
	ds_store_b8 v10, v9 offset:4
.LBB95_119:
	s_or_b32 exec_lo, exec_lo, s10
	v_mov_b32_e32 v8, s33
	s_mov_b32 s9, exec_lo
	s_waitcnt lgkmcnt(0)
	s_barrier
	buffer_gl0_inv
	v_cmpx_lt_u32_e32 31, v0
	s_cbranch_execz .LBB95_121
; %bb.120:
	v_lshl_add_u32 v6, v6, 3, -8
	ds_load_u8 v8, v6 offset:4
	ds_load_b32 v6, v6
	s_waitcnt lgkmcnt(1)
	v_cmp_eq_u16_e64 s8, 0, v8
	s_delay_alu instid0(VALU_DEP_1) | instskip(SKIP_1) | instid1(VALU_DEP_1)
	v_cndmask_b32_e64 v8, 0, s33, s8
	s_waitcnt lgkmcnt(0)
	v_add_nc_u32_e32 v8, v8, v6
.LBB95_121:
	s_or_b32 exec_lo, exec_lo, s9
	v_and_b32_e32 v4, 0xff, v4
	v_add_nc_u32_e32 v6, -1, v28
	v_and_b32_e32 v9, 0xff, v15
	s_delay_alu instid0(VALU_DEP_3) | instskip(NEXT) | instid1(VALU_DEP_1)
	v_cmp_eq_u16_e64 s8, 0, v4
	v_cndmask_b32_e64 v4, 0, v8, s8
	s_delay_alu instid0(VALU_DEP_4) | instskip(NEXT) | instid1(VALU_DEP_2)
	v_cmp_gt_i32_e64 s8, 0, v6
	v_add_nc_u32_e32 v2, v4, v2
	s_delay_alu instid0(VALU_DEP_2) | instskip(SKIP_1) | instid1(VALU_DEP_2)
	v_cndmask_b32_e64 v6, v6, v28, s8
	v_cmp_eq_u32_e64 s8, 0, v28
	v_lshlrev_b32_e32 v4, 2, v6
	ds_bpermute_b32 v2, v4, v2
	s_waitcnt lgkmcnt(0)
	v_cndmask_b32_e64 v25, v2, v8, s8
	v_mov_b32_e32 v8, 0
	v_cmp_eq_u32_e64 s8, 0, v0
	s_delay_alu instid0(VALU_DEP_2) | instskip(NEXT) | instid1(VALU_DEP_2)
	v_cmp_eq_u64_e64 s9, 0, v[8:9]
	v_cndmask_b32_e64 v2, v25, s33, s8
	s_delay_alu instid0(VALU_DEP_1) | instskip(NEXT) | instid1(VALU_DEP_1)
	v_cndmask_b32_e64 v2, 0, v2, s9
	v_add_nc_u32_e32 v12, v2, v14
	s_delay_alu instid0(VALU_DEP_1) | instskip(NEXT) | instid1(VALU_DEP_1)
	v_cndmask_b32_e32 v2, 0, v12, vcc_lo
	v_add_nc_u32_e32 v13, v2, v16
	s_delay_alu instid0(VALU_DEP_1) | instskip(NEXT) | instid1(VALU_DEP_1)
	v_cndmask_b32_e64 v2, 0, v13, s2
	v_add_nc_u32_e32 v24, v2, v18
	s_delay_alu instid0(VALU_DEP_1) | instskip(NEXT) | instid1(VALU_DEP_1)
	v_cndmask_b32_e64 v2, 0, v24, s3
	;; [unrolled: 3-line block ×5, first 2 shown]
	v_add_nc_u32_e32 v30, v1, v5
	s_delay_alu instid0(VALU_DEP_1)
	v_cndmask_b32_e64 v1, 0, v30, s7
	s_and_saveexec_b32 s2, s8
	s_cbranch_execz .LBB95_123
; %bb.122:
	ds_load_u8 v2, v8 offset:60
	ds_load_b32 v5, v8 offset:56
	v_dual_mov_b32 v25, s33 :: v_dual_mov_b32 v4, 2
	s_waitcnt lgkmcnt(1)
	v_and_b32_e32 v3, 0xffff, v2
	v_cmp_eq_u16_e32 vcc_lo, 0, v2
	s_and_b32 s3, vcc_lo, exec_lo
	s_cselect_b32 s3, s33, 0
	s_add_u32 s4, s16, 0x200
	s_addc_u32 s5, s17, 0
	s_waitcnt lgkmcnt(0)
	v_dual_mov_b32 v5, v8 :: v_dual_add_nc_u32 v2, s3, v5
	v_dual_mov_b32 v9, s5 :: v_dual_mov_b32 v8, s4
	;;#ASMSTART
	global_store_dwordx4 v[8:9], v[2:5] off	
s_waitcnt vmcnt(0)
	;;#ASMEND
.LBB95_123:
	s_or_b32 exec_lo, exec_lo, s2
	s_delay_alu instid0(VALU_DEP_1)
	v_add_nc_u32_e32 v31, v1, v7
.LBB95_124:
	s_load_b64 s[0:1], s[0:1], 0x18
	s_lshl_b64 s[2:3], s[12:13], 3
	v_mul_u32_u24_e32 v15, 36, v0
	v_lshlrev_b32_e32 v16, 5, v0
	v_lshlrev_b32_e32 v14, 3, v0
	s_waitcnt lgkmcnt(0)
	s_add_u32 s0, s0, s2
	s_addc_u32 s1, s1, s3
	s_and_b32 vcc_lo, exec_lo, s19
	s_cbranch_vccz .LBB95_142
; %bb.125:
	v_sub_nc_u32_e32 v1, v15, v16
	s_barrier
	buffer_gl0_inv
	ds_store_2addr_b32 v15, v25, v12 offset1:1
	ds_store_2addr_b32 v15, v13, v24 offset0:2 offset1:3
	ds_store_2addr_b32 v15, v26, v27 offset0:4 offset1:5
	ds_store_2addr_b32 v15, v29, v30 offset0:6 offset1:7
	ds_store_b32 v15, v31 offset:32
	s_waitcnt lgkmcnt(0)
	s_barrier
	buffer_gl0_inv
	ds_load_2addr_stride64_b32 v[10:11], v1 offset0:4 offset1:8
	ds_load_2addr_stride64_b32 v[8:9], v1 offset0:12 offset1:16
	;; [unrolled: 1-line block ×4, first 2 shown]
	v_add_co_u32 v4, s2, s0, v14
	v_mov_b32_e32 v1, 0
	v_add_co_ci_u32_e64 v5, null, s1, 0, s2
	s_add_i32 s14, s14, s18
	s_mov_b32 s2, exec_lo
	v_cmpx_gt_u32_e64 s14, v0
	s_cbranch_execz .LBB95_127
; %bb.126:
	v_sub_nc_u32_e32 v17, 0, v16
	s_delay_alu instid0(VALU_DEP_1)
	v_add_nc_u32_e32 v17, v15, v17
	ds_load_b32 v17, v17
	s_waitcnt lgkmcnt(0)
	v_ashrrev_i32_e32 v18, 31, v17
	global_store_b64 v[4:5], v[17:18], off
.LBB95_127:
	s_or_b32 exec_lo, exec_lo, s2
	v_or_b32_e32 v17, 0x100, v0
	s_mov_b32 s2, exec_lo
	s_delay_alu instid0(VALU_DEP_1)
	v_cmpx_gt_u32_e64 s14, v17
	s_cbranch_execz .LBB95_129
; %bb.128:
	s_waitcnt lgkmcnt(3)
	v_ashrrev_i32_e32 v18, 31, v10
	v_mov_b32_e32 v17, v10
	global_store_b64 v[4:5], v[17:18], off offset:2048
.LBB95_129:
	s_or_b32 exec_lo, exec_lo, s2
	s_waitcnt lgkmcnt(3)
	v_or_b32_e32 v10, 0x200, v0
	s_mov_b32 s2, exec_lo
	s_delay_alu instid0(VALU_DEP_1)
	v_cmpx_gt_u32_e64 s14, v10
	s_cbranch_execz .LBB95_131
; %bb.130:
	v_add_co_u32 v10, vcc_lo, 0x1000, v4
	v_ashrrev_i32_e32 v18, 31, v11
	v_mov_b32_e32 v17, v11
	v_add_co_ci_u32_e32 v11, vcc_lo, 0, v5, vcc_lo
	global_store_b64 v[10:11], v[17:18], off
.LBB95_131:
	s_or_b32 exec_lo, exec_lo, s2
	v_or_b32_e32 v10, 0x300, v0
	s_mov_b32 s2, exec_lo
	s_delay_alu instid0(VALU_DEP_1)
	v_cmpx_gt_u32_e64 s14, v10
	s_cbranch_execz .LBB95_133
; %bb.132:
	v_add_co_u32 v17, vcc_lo, 0x1000, v4
	s_waitcnt lgkmcnt(2)
	v_ashrrev_i32_e32 v11, 31, v8
	v_mov_b32_e32 v10, v8
	v_add_co_ci_u32_e32 v18, vcc_lo, 0, v5, vcc_lo
	global_store_b64 v[17:18], v[10:11], off offset:2048
.LBB95_133:
	s_or_b32 exec_lo, exec_lo, s2
	s_waitcnt lgkmcnt(2)
	v_or_b32_e32 v8, 0x400, v0
	s_mov_b32 s2, exec_lo
	s_delay_alu instid0(VALU_DEP_1)
	v_cmpx_gt_u32_e64 s14, v8
	s_cbranch_execz .LBB95_135
; %bb.134:
	v_add_co_u32 v17, vcc_lo, 0x2000, v4
	v_ashrrev_i32_e32 v10, 31, v9
	v_add_co_ci_u32_e32 v18, vcc_lo, 0, v5, vcc_lo
	global_store_b64 v[17:18], v[9:10], off
.LBB95_135:
	s_or_b32 exec_lo, exec_lo, s2
	v_or_b32_e32 v8, 0x500, v0
	s_mov_b32 s2, exec_lo
	s_delay_alu instid0(VALU_DEP_1)
	v_cmpx_gt_u32_e64 s14, v8
	s_cbranch_execz .LBB95_137
; %bb.136:
	v_add_co_u32 v10, vcc_lo, 0x2000, v4
	s_waitcnt lgkmcnt(1)
	v_ashrrev_i32_e32 v9, 31, v6
	v_mov_b32_e32 v8, v6
	v_add_co_ci_u32_e32 v11, vcc_lo, 0, v5, vcc_lo
	global_store_b64 v[10:11], v[8:9], off offset:2048
.LBB95_137:
	s_or_b32 exec_lo, exec_lo, s2
	s_waitcnt lgkmcnt(1)
	v_or_b32_e32 v6, 0x600, v0
	s_mov_b32 s2, exec_lo
	s_delay_alu instid0(VALU_DEP_1)
	v_cmpx_gt_u32_e64 s14, v6
	s_cbranch_execz .LBB95_139
; %bb.138:
	v_add_co_u32 v9, vcc_lo, 0x3000, v4
	v_ashrrev_i32_e32 v8, 31, v7
	v_add_co_ci_u32_e32 v10, vcc_lo, 0, v5, vcc_lo
	global_store_b64 v[9:10], v[7:8], off
.LBB95_139:
	s_or_b32 exec_lo, exec_lo, s2
	v_or_b32_e32 v6, 0x700, v0
	s_mov_b32 s2, exec_lo
	s_delay_alu instid0(VALU_DEP_1)
	v_cmpx_gt_u32_e64 s14, v6
	s_cbranch_execz .LBB95_141
; %bb.140:
	v_add_co_u32 v4, vcc_lo, 0x3000, v4
	s_waitcnt lgkmcnt(0)
	v_ashrrev_i32_e32 v7, 31, v2
	v_mov_b32_e32 v6, v2
	v_add_co_ci_u32_e32 v5, vcc_lo, 0, v5, vcc_lo
	global_store_b64 v[4:5], v[6:7], off offset:2048
.LBB95_141:
	s_or_b32 exec_lo, exec_lo, s2
	s_waitcnt lgkmcnt(0)
	v_or_b32_e32 v2, 0x800, v0
	s_delay_alu instid0(VALU_DEP_1)
	v_cmp_gt_u32_e64 s2, s14, v2
	s_branch .LBB95_144
.LBB95_142:
	s_mov_b32 s2, 0
                                        ; implicit-def: $vgpr3
	s_cbranch_execz .LBB95_144
; %bb.143:
	v_sub_nc_u32_e32 v23, v15, v16
	s_waitcnt_vscnt null, 0x0
	s_barrier
	buffer_gl0_inv
	ds_store_2addr_b32 v15, v25, v12 offset1:1
	ds_store_2addr_b32 v15, v13, v24 offset0:2 offset1:3
	ds_store_2addr_b32 v15, v26, v27 offset0:4 offset1:5
	;; [unrolled: 1-line block ×3, first 2 shown]
	ds_store_b32 v15, v31 offset:32
	s_waitcnt lgkmcnt(0)
	s_barrier
	buffer_gl0_inv
	ds_load_2addr_stride64_b32 v[2:3], v23 offset1:4
	ds_load_2addr_stride64_b32 v[4:5], v23 offset0:8 offset1:12
	ds_load_2addr_stride64_b32 v[6:7], v23 offset0:16 offset1:20
	;; [unrolled: 1-line block ×3, first 2 shown]
	v_mov_b32_e32 v1, 0
	s_or_b32 s2, s2, exec_lo
	s_waitcnt lgkmcnt(3)
	v_mov_b32_e32 v10, v2
	v_ashrrev_i32_e32 v11, 31, v2
	v_ashrrev_i32_e32 v13, 31, v3
	s_waitcnt lgkmcnt(2)
	v_dual_mov_b32 v12, v3 :: v_dual_mov_b32 v15, v4
	ds_load_b32 v3, v23 offset:8192
	v_add_co_u32 v2, s3, s0, v14
	s_delay_alu instid0(VALU_DEP_1)
	v_add_co_ci_u32_e64 v24, null, s1, 0, s3
	v_ashrrev_i32_e32 v16, 31, v4
	v_ashrrev_i32_e32 v18, 31, v5
	s_waitcnt lgkmcnt(2)
	v_dual_mov_b32 v17, v5 :: v_dual_mov_b32 v4, v6
	v_ashrrev_i32_e32 v5, 31, v6
	v_ashrrev_i32_e32 v20, 31, v7
	s_waitcnt lgkmcnt(1)
	v_dual_mov_b32 v19, v7 :: v_dual_mov_b32 v6, v8
	v_ashrrev_i32_e32 v7, 31, v8
	v_add_co_u32 v8, vcc_lo, v2, 0x2000
	v_ashrrev_i32_e32 v22, 31, v9
	v_mov_b32_e32 v21, v9
	v_add_co_ci_u32_e32 v9, vcc_lo, 0, v24, vcc_lo
	global_store_b64 v14, v[12:13], s[0:1] offset:2048
	v_add_co_u32 v12, vcc_lo, 0x1000, v2
	global_store_b64 v[8:9], v[15:16], off offset:-4096
	v_add_co_ci_u32_e32 v13, vcc_lo, 0, v24, vcc_lo
	v_add_co_u32 v15, vcc_lo, 0x2000, v2
	v_add_co_ci_u32_e32 v16, vcc_lo, 0, v24, vcc_lo
	v_add_co_u32 v23, vcc_lo, 0x3000, v2
	v_add_co_ci_u32_e32 v24, vcc_lo, 0, v24, vcc_lo
	s_clause 0x5
	global_store_b64 v14, v[10:11], s[0:1]
	global_store_b64 v[8:9], v[4:5], off
	global_store_b64 v[12:13], v[17:18], off offset:2048
	global_store_b64 v[15:16], v[19:20], off offset:2048
	global_store_b64 v[23:24], v[6:7], off
	global_store_b64 v[23:24], v[21:22], off offset:2048
.LBB95_144:
	s_delay_alu instid0(VALU_DEP_1)
	s_and_saveexec_b32 s3, s2
	s_cbranch_execz .LBB95_146
; %bb.145:
	v_lshlrev_b64 v[0:1], 3, v[0:1]
	s_waitcnt lgkmcnt(0)
	v_ashrrev_i32_e32 v2, 31, v3
	s_delay_alu instid0(VALU_DEP_2) | instskip(NEXT) | instid1(VALU_DEP_3)
	v_add_co_u32 v0, vcc_lo, s0, v0
	v_add_co_ci_u32_e32 v4, vcc_lo, s1, v1, vcc_lo
	v_mov_b32_e32 v1, v3
	s_delay_alu instid0(VALU_DEP_3) | instskip(NEXT) | instid1(VALU_DEP_3)
	v_add_co_u32 v3, vcc_lo, 0x4000, v0
	v_add_co_ci_u32_e32 v4, vcc_lo, 0, v4, vcc_lo
	global_store_b64 v[3:4], v[1:2], off
	s_nop 0
	s_sendmsg sendmsg(MSG_DEALLOC_VGPRS)
	s_endpgm
.LBB95_146:
	s_nop 0
	s_sendmsg sendmsg(MSG_DEALLOC_VGPRS)
	s_endpgm
	.section	.rodata,"a",@progbits
	.p2align	6, 0x0
	.amdhsa_kernel _ZN7rocprim6detail25device_scan_by_key_kernelILNS0_25lookback_scan_determinismE0ELb1ENS0_26wrapped_scan_by_key_configINS_14default_configEiiEEPiN6hipcub22TransformInputIteratorIiNS7_6CastOpIiEES6_lEEPliNS7_8EqualityENS7_3SumENS0_19lookback_scan_stateINS_5tupleIJibEEELb0ELb1EEEiEEvT2_T3_T4_T5_T6_T7_T8_mmmPKNSG_IJT9_bEEE
		.amdhsa_group_segment_fixed_size 11264
		.amdhsa_private_segment_fixed_size 0
		.amdhsa_kernarg_size 80
		.amdhsa_user_sgpr_count 15
		.amdhsa_user_sgpr_dispatch_ptr 0
		.amdhsa_user_sgpr_queue_ptr 0
		.amdhsa_user_sgpr_kernarg_segment_ptr 1
		.amdhsa_user_sgpr_dispatch_id 0
		.amdhsa_user_sgpr_private_segment_size 0
		.amdhsa_wavefront_size32 1
		.amdhsa_uses_dynamic_stack 0
		.amdhsa_enable_private_segment 0
		.amdhsa_system_sgpr_workgroup_id_x 1
		.amdhsa_system_sgpr_workgroup_id_y 0
		.amdhsa_system_sgpr_workgroup_id_z 0
		.amdhsa_system_sgpr_workgroup_info 0
		.amdhsa_system_vgpr_workitem_id 0
		.amdhsa_next_free_vgpr 48
		.amdhsa_next_free_sgpr 37
		.amdhsa_reserve_vcc 1
		.amdhsa_float_round_mode_32 0
		.amdhsa_float_round_mode_16_64 0
		.amdhsa_float_denorm_mode_32 3
		.amdhsa_float_denorm_mode_16_64 3
		.amdhsa_dx10_clamp 1
		.amdhsa_ieee_mode 1
		.amdhsa_fp16_overflow 0
		.amdhsa_workgroup_processor_mode 1
		.amdhsa_memory_ordered 1
		.amdhsa_forward_progress 0
		.amdhsa_shared_vgpr_count 0
		.amdhsa_exception_fp_ieee_invalid_op 0
		.amdhsa_exception_fp_denorm_src 0
		.amdhsa_exception_fp_ieee_div_zero 0
		.amdhsa_exception_fp_ieee_overflow 0
		.amdhsa_exception_fp_ieee_underflow 0
		.amdhsa_exception_fp_ieee_inexact 0
		.amdhsa_exception_int_div_zero 0
	.end_amdhsa_kernel
	.section	.text._ZN7rocprim6detail25device_scan_by_key_kernelILNS0_25lookback_scan_determinismE0ELb1ENS0_26wrapped_scan_by_key_configINS_14default_configEiiEEPiN6hipcub22TransformInputIteratorIiNS7_6CastOpIiEES6_lEEPliNS7_8EqualityENS7_3SumENS0_19lookback_scan_stateINS_5tupleIJibEEELb0ELb1EEEiEEvT2_T3_T4_T5_T6_T7_T8_mmmPKNSG_IJT9_bEEE,"axG",@progbits,_ZN7rocprim6detail25device_scan_by_key_kernelILNS0_25lookback_scan_determinismE0ELb1ENS0_26wrapped_scan_by_key_configINS_14default_configEiiEEPiN6hipcub22TransformInputIteratorIiNS7_6CastOpIiEES6_lEEPliNS7_8EqualityENS7_3SumENS0_19lookback_scan_stateINS_5tupleIJibEEELb0ELb1EEEiEEvT2_T3_T4_T5_T6_T7_T8_mmmPKNSG_IJT9_bEEE,comdat
.Lfunc_end95:
	.size	_ZN7rocprim6detail25device_scan_by_key_kernelILNS0_25lookback_scan_determinismE0ELb1ENS0_26wrapped_scan_by_key_configINS_14default_configEiiEEPiN6hipcub22TransformInputIteratorIiNS7_6CastOpIiEES6_lEEPliNS7_8EqualityENS7_3SumENS0_19lookback_scan_stateINS_5tupleIJibEEELb0ELb1EEEiEEvT2_T3_T4_T5_T6_T7_T8_mmmPKNSG_IJT9_bEEE, .Lfunc_end95-_ZN7rocprim6detail25device_scan_by_key_kernelILNS0_25lookback_scan_determinismE0ELb1ENS0_26wrapped_scan_by_key_configINS_14default_configEiiEEPiN6hipcub22TransformInputIteratorIiNS7_6CastOpIiEES6_lEEPliNS7_8EqualityENS7_3SumENS0_19lookback_scan_stateINS_5tupleIJibEEELb0ELb1EEEiEEvT2_T3_T4_T5_T6_T7_T8_mmmPKNSG_IJT9_bEEE
                                        ; -- End function
	.section	.AMDGPU.csdata,"",@progbits
; Kernel info:
; codeLenInByte = 9844
; NumSgprs: 39
; NumVgprs: 48
; ScratchSize: 0
; MemoryBound: 0
; FloatMode: 240
; IeeeMode: 1
; LDSByteSize: 11264 bytes/workgroup (compile time only)
; SGPRBlocks: 4
; VGPRBlocks: 5
; NumSGPRsForWavesPerEU: 39
; NumVGPRsForWavesPerEU: 48
; Occupancy: 16
; WaveLimiterHint : 1
; COMPUTE_PGM_RSRC2:SCRATCH_EN: 0
; COMPUTE_PGM_RSRC2:USER_SGPR: 15
; COMPUTE_PGM_RSRC2:TRAP_HANDLER: 0
; COMPUTE_PGM_RSRC2:TGID_X_EN: 1
; COMPUTE_PGM_RSRC2:TGID_Y_EN: 0
; COMPUTE_PGM_RSRC2:TGID_Z_EN: 0
; COMPUTE_PGM_RSRC2:TIDIG_COMP_CNT: 0
	.section	.text._ZN7rocprim6detail25device_scan_by_key_kernelILNS0_25lookback_scan_determinismE0ELb1ENS0_26wrapped_scan_by_key_configINS_14default_configEi6__halfEEPiN6hipcub22TransformInputIteratorIS5_NS8_6CastOpIS5_EEPS5_lEESC_S5_NS8_8EqualityENS8_3SumENS0_19lookback_scan_stateINS_5tupleIJS5_bEEELb1ELb1EEES5_EEvT2_T3_T4_T5_T6_T7_T8_mmmPKNSH_IJT9_bEEE,"axG",@progbits,_ZN7rocprim6detail25device_scan_by_key_kernelILNS0_25lookback_scan_determinismE0ELb1ENS0_26wrapped_scan_by_key_configINS_14default_configEi6__halfEEPiN6hipcub22TransformInputIteratorIS5_NS8_6CastOpIS5_EEPS5_lEESC_S5_NS8_8EqualityENS8_3SumENS0_19lookback_scan_stateINS_5tupleIJS5_bEEELb1ELb1EEES5_EEvT2_T3_T4_T5_T6_T7_T8_mmmPKNSH_IJT9_bEEE,comdat
	.protected	_ZN7rocprim6detail25device_scan_by_key_kernelILNS0_25lookback_scan_determinismE0ELb1ENS0_26wrapped_scan_by_key_configINS_14default_configEi6__halfEEPiN6hipcub22TransformInputIteratorIS5_NS8_6CastOpIS5_EEPS5_lEESC_S5_NS8_8EqualityENS8_3SumENS0_19lookback_scan_stateINS_5tupleIJS5_bEEELb1ELb1EEES5_EEvT2_T3_T4_T5_T6_T7_T8_mmmPKNSH_IJT9_bEEE ; -- Begin function _ZN7rocprim6detail25device_scan_by_key_kernelILNS0_25lookback_scan_determinismE0ELb1ENS0_26wrapped_scan_by_key_configINS_14default_configEi6__halfEEPiN6hipcub22TransformInputIteratorIS5_NS8_6CastOpIS5_EEPS5_lEESC_S5_NS8_8EqualityENS8_3SumENS0_19lookback_scan_stateINS_5tupleIJS5_bEEELb1ELb1EEES5_EEvT2_T3_T4_T5_T6_T7_T8_mmmPKNSH_IJT9_bEEE
	.globl	_ZN7rocprim6detail25device_scan_by_key_kernelILNS0_25lookback_scan_determinismE0ELb1ENS0_26wrapped_scan_by_key_configINS_14default_configEi6__halfEEPiN6hipcub22TransformInputIteratorIS5_NS8_6CastOpIS5_EEPS5_lEESC_S5_NS8_8EqualityENS8_3SumENS0_19lookback_scan_stateINS_5tupleIJS5_bEEELb1ELb1EEES5_EEvT2_T3_T4_T5_T6_T7_T8_mmmPKNSH_IJT9_bEEE
	.p2align	8
	.type	_ZN7rocprim6detail25device_scan_by_key_kernelILNS0_25lookback_scan_determinismE0ELb1ENS0_26wrapped_scan_by_key_configINS_14default_configEi6__halfEEPiN6hipcub22TransformInputIteratorIS5_NS8_6CastOpIS5_EEPS5_lEESC_S5_NS8_8EqualityENS8_3SumENS0_19lookback_scan_stateINS_5tupleIJS5_bEEELb1ELb1EEES5_EEvT2_T3_T4_T5_T6_T7_T8_mmmPKNSH_IJT9_bEEE,@function
_ZN7rocprim6detail25device_scan_by_key_kernelILNS0_25lookback_scan_determinismE0ELb1ENS0_26wrapped_scan_by_key_configINS_14default_configEi6__halfEEPiN6hipcub22TransformInputIteratorIS5_NS8_6CastOpIS5_EEPS5_lEESC_S5_NS8_8EqualityENS8_3SumENS0_19lookback_scan_stateINS_5tupleIJS5_bEEELb1ELb1EEES5_EEvT2_T3_T4_T5_T6_T7_T8_mmmPKNSH_IJT9_bEEE: ; @_ZN7rocprim6detail25device_scan_by_key_kernelILNS0_25lookback_scan_determinismE0ELb1ENS0_26wrapped_scan_by_key_configINS_14default_configEi6__halfEEPiN6hipcub22TransformInputIteratorIS5_NS8_6CastOpIS5_EEPS5_lEESC_S5_NS8_8EqualityENS8_3SumENS0_19lookback_scan_stateINS_5tupleIJS5_bEEELb1ELb1EEES5_EEvT2_T3_T4_T5_T6_T7_T8_mmmPKNSH_IJT9_bEEE
; %bb.0:
	s_endpgm
	.section	.rodata,"a",@progbits
	.p2align	6, 0x0
	.amdhsa_kernel _ZN7rocprim6detail25device_scan_by_key_kernelILNS0_25lookback_scan_determinismE0ELb1ENS0_26wrapped_scan_by_key_configINS_14default_configEi6__halfEEPiN6hipcub22TransformInputIteratorIS5_NS8_6CastOpIS5_EEPS5_lEESC_S5_NS8_8EqualityENS8_3SumENS0_19lookback_scan_stateINS_5tupleIJS5_bEEELb1ELb1EEES5_EEvT2_T3_T4_T5_T6_T7_T8_mmmPKNSH_IJT9_bEEE
		.amdhsa_group_segment_fixed_size 0
		.amdhsa_private_segment_fixed_size 0
		.amdhsa_kernarg_size 80
		.amdhsa_user_sgpr_count 15
		.amdhsa_user_sgpr_dispatch_ptr 0
		.amdhsa_user_sgpr_queue_ptr 0
		.amdhsa_user_sgpr_kernarg_segment_ptr 1
		.amdhsa_user_sgpr_dispatch_id 0
		.amdhsa_user_sgpr_private_segment_size 0
		.amdhsa_wavefront_size32 1
		.amdhsa_uses_dynamic_stack 0
		.amdhsa_enable_private_segment 0
		.amdhsa_system_sgpr_workgroup_id_x 1
		.amdhsa_system_sgpr_workgroup_id_y 0
		.amdhsa_system_sgpr_workgroup_id_z 0
		.amdhsa_system_sgpr_workgroup_info 0
		.amdhsa_system_vgpr_workitem_id 0
		.amdhsa_next_free_vgpr 1
		.amdhsa_next_free_sgpr 1
		.amdhsa_reserve_vcc 0
		.amdhsa_float_round_mode_32 0
		.amdhsa_float_round_mode_16_64 0
		.amdhsa_float_denorm_mode_32 3
		.amdhsa_float_denorm_mode_16_64 3
		.amdhsa_dx10_clamp 1
		.amdhsa_ieee_mode 1
		.amdhsa_fp16_overflow 0
		.amdhsa_workgroup_processor_mode 1
		.amdhsa_memory_ordered 1
		.amdhsa_forward_progress 0
		.amdhsa_shared_vgpr_count 0
		.amdhsa_exception_fp_ieee_invalid_op 0
		.amdhsa_exception_fp_denorm_src 0
		.amdhsa_exception_fp_ieee_div_zero 0
		.amdhsa_exception_fp_ieee_overflow 0
		.amdhsa_exception_fp_ieee_underflow 0
		.amdhsa_exception_fp_ieee_inexact 0
		.amdhsa_exception_int_div_zero 0
	.end_amdhsa_kernel
	.section	.text._ZN7rocprim6detail25device_scan_by_key_kernelILNS0_25lookback_scan_determinismE0ELb1ENS0_26wrapped_scan_by_key_configINS_14default_configEi6__halfEEPiN6hipcub22TransformInputIteratorIS5_NS8_6CastOpIS5_EEPS5_lEESC_S5_NS8_8EqualityENS8_3SumENS0_19lookback_scan_stateINS_5tupleIJS5_bEEELb1ELb1EEES5_EEvT2_T3_T4_T5_T6_T7_T8_mmmPKNSH_IJT9_bEEE,"axG",@progbits,_ZN7rocprim6detail25device_scan_by_key_kernelILNS0_25lookback_scan_determinismE0ELb1ENS0_26wrapped_scan_by_key_configINS_14default_configEi6__halfEEPiN6hipcub22TransformInputIteratorIS5_NS8_6CastOpIS5_EEPS5_lEESC_S5_NS8_8EqualityENS8_3SumENS0_19lookback_scan_stateINS_5tupleIJS5_bEEELb1ELb1EEES5_EEvT2_T3_T4_T5_T6_T7_T8_mmmPKNSH_IJT9_bEEE,comdat
.Lfunc_end96:
	.size	_ZN7rocprim6detail25device_scan_by_key_kernelILNS0_25lookback_scan_determinismE0ELb1ENS0_26wrapped_scan_by_key_configINS_14default_configEi6__halfEEPiN6hipcub22TransformInputIteratorIS5_NS8_6CastOpIS5_EEPS5_lEESC_S5_NS8_8EqualityENS8_3SumENS0_19lookback_scan_stateINS_5tupleIJS5_bEEELb1ELb1EEES5_EEvT2_T3_T4_T5_T6_T7_T8_mmmPKNSH_IJT9_bEEE, .Lfunc_end96-_ZN7rocprim6detail25device_scan_by_key_kernelILNS0_25lookback_scan_determinismE0ELb1ENS0_26wrapped_scan_by_key_configINS_14default_configEi6__halfEEPiN6hipcub22TransformInputIteratorIS5_NS8_6CastOpIS5_EEPS5_lEESC_S5_NS8_8EqualityENS8_3SumENS0_19lookback_scan_stateINS_5tupleIJS5_bEEELb1ELb1EEES5_EEvT2_T3_T4_T5_T6_T7_T8_mmmPKNSH_IJT9_bEEE
                                        ; -- End function
	.section	.AMDGPU.csdata,"",@progbits
; Kernel info:
; codeLenInByte = 4
; NumSgprs: 0
; NumVgprs: 0
; ScratchSize: 0
; MemoryBound: 0
; FloatMode: 240
; IeeeMode: 1
; LDSByteSize: 0 bytes/workgroup (compile time only)
; SGPRBlocks: 0
; VGPRBlocks: 0
; NumSGPRsForWavesPerEU: 1
; NumVGPRsForWavesPerEU: 1
; Occupancy: 16
; WaveLimiterHint : 0
; COMPUTE_PGM_RSRC2:SCRATCH_EN: 0
; COMPUTE_PGM_RSRC2:USER_SGPR: 15
; COMPUTE_PGM_RSRC2:TRAP_HANDLER: 0
; COMPUTE_PGM_RSRC2:TGID_X_EN: 1
; COMPUTE_PGM_RSRC2:TGID_Y_EN: 0
; COMPUTE_PGM_RSRC2:TGID_Z_EN: 0
; COMPUTE_PGM_RSRC2:TIDIG_COMP_CNT: 0
	.section	.text._ZN7rocprim6detail25device_scan_by_key_kernelILNS0_25lookback_scan_determinismE0ELb1ENS0_26wrapped_scan_by_key_configINS_14default_configEi6__halfEEPiN6hipcub22TransformInputIteratorIS5_NS8_6CastOpIS5_EEPS5_lEESC_S5_NS8_8EqualityENS8_3SumENS0_19lookback_scan_stateINS_5tupleIJS5_bEEELb0ELb1EEES5_EEvT2_T3_T4_T5_T6_T7_T8_mmmPKNSH_IJT9_bEEE,"axG",@progbits,_ZN7rocprim6detail25device_scan_by_key_kernelILNS0_25lookback_scan_determinismE0ELb1ENS0_26wrapped_scan_by_key_configINS_14default_configEi6__halfEEPiN6hipcub22TransformInputIteratorIS5_NS8_6CastOpIS5_EEPS5_lEESC_S5_NS8_8EqualityENS8_3SumENS0_19lookback_scan_stateINS_5tupleIJS5_bEEELb0ELb1EEES5_EEvT2_T3_T4_T5_T6_T7_T8_mmmPKNSH_IJT9_bEEE,comdat
	.protected	_ZN7rocprim6detail25device_scan_by_key_kernelILNS0_25lookback_scan_determinismE0ELb1ENS0_26wrapped_scan_by_key_configINS_14default_configEi6__halfEEPiN6hipcub22TransformInputIteratorIS5_NS8_6CastOpIS5_EEPS5_lEESC_S5_NS8_8EqualityENS8_3SumENS0_19lookback_scan_stateINS_5tupleIJS5_bEEELb0ELb1EEES5_EEvT2_T3_T4_T5_T6_T7_T8_mmmPKNSH_IJT9_bEEE ; -- Begin function _ZN7rocprim6detail25device_scan_by_key_kernelILNS0_25lookback_scan_determinismE0ELb1ENS0_26wrapped_scan_by_key_configINS_14default_configEi6__halfEEPiN6hipcub22TransformInputIteratorIS5_NS8_6CastOpIS5_EEPS5_lEESC_S5_NS8_8EqualityENS8_3SumENS0_19lookback_scan_stateINS_5tupleIJS5_bEEELb0ELb1EEES5_EEvT2_T3_T4_T5_T6_T7_T8_mmmPKNSH_IJT9_bEEE
	.globl	_ZN7rocprim6detail25device_scan_by_key_kernelILNS0_25lookback_scan_determinismE0ELb1ENS0_26wrapped_scan_by_key_configINS_14default_configEi6__halfEEPiN6hipcub22TransformInputIteratorIS5_NS8_6CastOpIS5_EEPS5_lEESC_S5_NS8_8EqualityENS8_3SumENS0_19lookback_scan_stateINS_5tupleIJS5_bEEELb0ELb1EEES5_EEvT2_T3_T4_T5_T6_T7_T8_mmmPKNSH_IJT9_bEEE
	.p2align	8
	.type	_ZN7rocprim6detail25device_scan_by_key_kernelILNS0_25lookback_scan_determinismE0ELb1ENS0_26wrapped_scan_by_key_configINS_14default_configEi6__halfEEPiN6hipcub22TransformInputIteratorIS5_NS8_6CastOpIS5_EEPS5_lEESC_S5_NS8_8EqualityENS8_3SumENS0_19lookback_scan_stateINS_5tupleIJS5_bEEELb0ELb1EEES5_EEvT2_T3_T4_T5_T6_T7_T8_mmmPKNSH_IJT9_bEEE,@function
_ZN7rocprim6detail25device_scan_by_key_kernelILNS0_25lookback_scan_determinismE0ELb1ENS0_26wrapped_scan_by_key_configINS_14default_configEi6__halfEEPiN6hipcub22TransformInputIteratorIS5_NS8_6CastOpIS5_EEPS5_lEESC_S5_NS8_8EqualityENS8_3SumENS0_19lookback_scan_stateINS_5tupleIJS5_bEEELb0ELb1EEES5_EEvT2_T3_T4_T5_T6_T7_T8_mmmPKNSH_IJT9_bEEE: ; @_ZN7rocprim6detail25device_scan_by_key_kernelILNS0_25lookback_scan_determinismE0ELb1ENS0_26wrapped_scan_by_key_configINS_14default_configEi6__halfEEPiN6hipcub22TransformInputIteratorIS5_NS8_6CastOpIS5_EEPS5_lEESC_S5_NS8_8EqualityENS8_3SumENS0_19lookback_scan_stateINS_5tupleIJS5_bEEELb0ELb1EEES5_EEvT2_T3_T4_T5_T6_T7_T8_mmmPKNSH_IJT9_bEEE
; %bb.0:
	s_clause 0x1
	s_load_b128 s[4:7], s[0:1], 0x0
	s_load_b256 s[36:43], s[0:1], 0x28
	s_mov_b32 s3, 0
	s_mul_i32 s2, s15, 0x580
	s_clause 0x1
	s_load_b32 s44, s[0:1], 0x20
	s_load_b64 s[30:31], s[0:1], 0x48
	s_lshl_b64 s[8:9], s[2:3], 2
	v_lshlrev_b32_e32 v68, 2, v0
	s_waitcnt lgkmcnt(0)
	s_add_u32 s34, s4, s8
	s_addc_u32 s35, s5, s9
	s_lshl_b64 s[28:29], s[2:3], 1
	s_delay_alu instid0(SALU_CYCLE_1)
	s_add_u32 s26, s6, s28
	s_addc_u32 s27, s7, s29
	s_add_u32 s4, s15, s40
	s_addc_u32 s5, 0, s41
	s_add_u32 s6, s42, -1
	s_addc_u32 s7, s43, -1
	s_mul_i32 s33, s6, 0xfffffa80
	v_cmp_ge_u64_e64 s39, s[4:5], s[6:7]
	s_delay_alu instid0(VALU_DEP_1)
	s_and_b32 vcc_lo, exec_lo, s39
	s_cbranch_vccz .LBB97_116
; %bb.1:
	s_load_b32 s24, s[34:35], 0x0
	s_add_i32 s25, s33, s38
	v_add_co_u32 v1, s2, s34, v68
	s_delay_alu instid0(VALU_DEP_1)
	v_add_co_ci_u32_e64 v2, null, s35, 0, s2
	v_cmp_gt_u32_e32 vcc_lo, s25, v0
	s_waitcnt lgkmcnt(0)
	v_mov_b32_e32 v3, s24
	s_and_saveexec_b32 s2, vcc_lo
	s_cbranch_execz .LBB97_3
; %bb.2:
	global_load_b32 v3, v[1:2], off
.LBB97_3:
	s_or_b32 exec_lo, exec_lo, s2
	v_or_b32_e32 v4, 64, v0
	s_delay_alu instid0(VALU_DEP_1) | instskip(SKIP_1) | instid1(VALU_DEP_2)
	v_cmp_gt_u32_e64 s2, s25, v4
	v_mov_b32_e32 v4, s24
	s_and_saveexec_b32 s3, s2
	s_cbranch_execz .LBB97_5
; %bb.4:
	global_load_b32 v4, v[1:2], off offset:256
.LBB97_5:
	s_or_b32 exec_lo, exec_lo, s3
	v_or_b32_e32 v5, 0x80, v0
	s_delay_alu instid0(VALU_DEP_1) | instskip(SKIP_1) | instid1(VALU_DEP_2)
	v_cmp_gt_u32_e64 s3, s25, v5
	v_mov_b32_e32 v5, s24
	s_and_saveexec_b32 s4, s3
	s_cbranch_execz .LBB97_7
; %bb.6:
	global_load_b32 v5, v[1:2], off offset:512
.LBB97_7:
	;; [unrolled: 10-line block ×15, first 2 shown]
	s_or_b32 exec_lo, exec_lo, s18
	v_or_b32_e32 v19, 0x400, v0
	s_delay_alu instid0(VALU_DEP_1) | instskip(SKIP_1) | instid1(VALU_DEP_2)
	v_cmp_gt_u32_e64 s18, s25, v19
	v_mov_b32_e32 v19, s24
	s_and_saveexec_b32 s20, s18
	s_cbranch_execz .LBB97_35
; %bb.34:
	v_add_co_u32 v19, s19, 0x1000, v1
	s_delay_alu instid0(VALU_DEP_1)
	v_add_co_ci_u32_e64 v20, s19, 0, v2, s19
	global_load_b32 v19, v[19:20], off
.LBB97_35:
	s_or_b32 exec_lo, exec_lo, s20
	v_or_b32_e32 v20, 0x440, v0
	s_delay_alu instid0(VALU_DEP_1) | instskip(SKIP_1) | instid1(VALU_DEP_2)
	v_cmp_gt_u32_e64 s19, s25, v20
	v_mov_b32_e32 v20, s24
	s_and_saveexec_b32 s21, s19
	s_cbranch_execz .LBB97_37
; %bb.36:
	v_add_co_u32 v20, s20, 0x1000, v1
	s_delay_alu instid0(VALU_DEP_1)
	v_add_co_ci_u32_e64 v21, s20, 0, v2, s20
	global_load_b32 v20, v[20:21], off offset:256
.LBB97_37:
	s_or_b32 exec_lo, exec_lo, s21
	v_or_b32_e32 v21, 0x480, v0
	s_delay_alu instid0(VALU_DEP_1) | instskip(SKIP_1) | instid1(VALU_DEP_2)
	v_cmp_gt_u32_e64 s20, s25, v21
	v_mov_b32_e32 v21, s24
	s_and_saveexec_b32 s22, s20
	s_cbranch_execz .LBB97_39
; %bb.38:
	v_add_co_u32 v21, s21, 0x1000, v1
	s_delay_alu instid0(VALU_DEP_1)
	v_add_co_ci_u32_e64 v22, s21, 0, v2, s21
	global_load_b32 v21, v[21:22], off offset:512
.LBB97_39:
	;; [unrolled: 13-line block ×5, first 2 shown]
	s_or_b32 exec_lo, exec_lo, s40
	s_waitcnt vmcnt(0)
	ds_store_2addr_stride64_b32 v68, v3, v4 offset1:1
	ds_store_2addr_stride64_b32 v68, v5, v6 offset0:2 offset1:3
	ds_store_2addr_stride64_b32 v68, v7, v8 offset0:4 offset1:5
	;; [unrolled: 1-line block ×10, first 2 shown]
	s_waitcnt lgkmcnt(0)
	s_barrier
	buffer_gl0_inv
	s_load_b32 s40, s[34:35], 0x0
	v_mad_u32_u24 v21, 0x54, v0, v68
	ds_load_2addr_b64 v[17:20], v21 offset1:1
	ds_load_2addr_b64 v[13:16], v21 offset0:2 offset1:3
	ds_load_2addr_b64 v[9:12], v21 offset0:4 offset1:5
	;; [unrolled: 1-line block ×4, first 2 shown]
	ds_load_b64 v[25:26], v21 offset:80
	v_mad_i32_i24 v23, 0xffffffac, v0, v21
	s_waitcnt lgkmcnt(0)
	v_mov_b32_e32 v71, s40
	s_mov_b32 s40, exec_lo
	ds_store_b32 v23, v17 offset:5888
	s_waitcnt lgkmcnt(0)
	s_barrier
	buffer_gl0_inv
	v_cmpx_ne_u32_e32 63, v0
	s_cbranch_execz .LBB97_47
; %bb.46:
	ds_load_b32 v71, v68 offset:5892
.LBB97_47:
	s_or_b32 exec_lo, exec_lo, s40
	v_lshlrev_b32_e32 v24, 1, v0
	s_waitcnt lgkmcnt(0)
	s_barrier
	buffer_gl0_inv
                                        ; implicit-def: $vgpr27
	v_add_co_u32 v21, s24, s26, v24
	s_delay_alu instid0(VALU_DEP_1)
	v_add_co_ci_u32_e64 v22, null, s27, 0, s24
	s_and_saveexec_b32 s24, vcc_lo
	s_cbranch_execz .LBB97_183
; %bb.48:
	global_load_u16 v27, v[21:22], off
	s_or_b32 exec_lo, exec_lo, s24
                                        ; implicit-def: $vgpr28
	s_and_saveexec_b32 s24, s2
	s_cbranch_execnz .LBB97_184
.LBB97_49:
	s_or_b32 exec_lo, exec_lo, s24
                                        ; implicit-def: $vgpr29
	s_and_saveexec_b32 s2, s3
	s_cbranch_execz .LBB97_185
.LBB97_50:
	global_load_u16 v29, v[21:22], off offset:256
	s_or_b32 exec_lo, exec_lo, s2
                                        ; implicit-def: $vgpr30
	s_and_saveexec_b32 s2, s4
	s_cbranch_execnz .LBB97_186
.LBB97_51:
	s_or_b32 exec_lo, exec_lo, s2
                                        ; implicit-def: $vgpr31
	s_and_saveexec_b32 s2, s5
	s_cbranch_execz .LBB97_187
.LBB97_52:
	global_load_u16 v31, v[21:22], off offset:512
	s_or_b32 exec_lo, exec_lo, s2
                                        ; implicit-def: $vgpr32
	s_and_saveexec_b32 s2, s6
	s_cbranch_execnz .LBB97_188
.LBB97_53:
	s_or_b32 exec_lo, exec_lo, s2
                                        ; implicit-def: $vgpr33
	s_and_saveexec_b32 s2, s7
	s_cbranch_execz .LBB97_189
.LBB97_54:
	global_load_u16 v33, v[21:22], off offset:768
	s_or_b32 exec_lo, exec_lo, s2
                                        ; implicit-def: $vgpr34
	s_and_saveexec_b32 s2, s8
	s_cbranch_execnz .LBB97_190
.LBB97_55:
	s_or_b32 exec_lo, exec_lo, s2
                                        ; implicit-def: $vgpr35
	s_and_saveexec_b32 s2, s9
	s_cbranch_execz .LBB97_191
.LBB97_56:
	global_load_u16 v35, v[21:22], off offset:1024
	s_or_b32 exec_lo, exec_lo, s2
                                        ; implicit-def: $vgpr36
	s_and_saveexec_b32 s2, s10
	s_cbranch_execnz .LBB97_192
.LBB97_57:
	s_or_b32 exec_lo, exec_lo, s2
                                        ; implicit-def: $vgpr37
	s_and_saveexec_b32 s2, s11
	s_cbranch_execz .LBB97_193
.LBB97_58:
	global_load_u16 v37, v[21:22], off offset:1280
	s_or_b32 exec_lo, exec_lo, s2
                                        ; implicit-def: $vgpr38
	s_and_saveexec_b32 s2, s12
	s_cbranch_execnz .LBB97_194
.LBB97_59:
	s_or_b32 exec_lo, exec_lo, s2
                                        ; implicit-def: $vgpr39
	s_and_saveexec_b32 s2, s13
	s_cbranch_execz .LBB97_195
.LBB97_60:
	global_load_u16 v39, v[21:22], off offset:1536
	s_or_b32 exec_lo, exec_lo, s2
                                        ; implicit-def: $vgpr40
	s_and_saveexec_b32 s2, s14
	s_cbranch_execnz .LBB97_196
.LBB97_61:
	s_or_b32 exec_lo, exec_lo, s2
                                        ; implicit-def: $vgpr41
	s_and_saveexec_b32 s2, s16
	s_cbranch_execz .LBB97_197
.LBB97_62:
	global_load_u16 v41, v[21:22], off offset:1792
	s_or_b32 exec_lo, exec_lo, s2
                                        ; implicit-def: $vgpr42
	s_and_saveexec_b32 s2, s17
	s_cbranch_execnz .LBB97_198
.LBB97_63:
	s_or_b32 exec_lo, exec_lo, s2
                                        ; implicit-def: $vgpr43
	s_and_saveexec_b32 s2, s18
	s_cbranch_execz .LBB97_199
.LBB97_64:
	global_load_u16 v43, v[21:22], off offset:2048
	s_or_b32 exec_lo, exec_lo, s2
                                        ; implicit-def: $vgpr44
	s_and_saveexec_b32 s2, s19
	s_cbranch_execnz .LBB97_200
.LBB97_65:
	s_or_b32 exec_lo, exec_lo, s2
                                        ; implicit-def: $vgpr45
	s_and_saveexec_b32 s2, s20
	s_cbranch_execz .LBB97_201
.LBB97_66:
	global_load_u16 v45, v[21:22], off offset:2304
	s_or_b32 exec_lo, exec_lo, s2
                                        ; implicit-def: $vgpr46
	s_and_saveexec_b32 s2, s21
	s_cbranch_execnz .LBB97_202
.LBB97_67:
	s_or_b32 exec_lo, exec_lo, s2
                                        ; implicit-def: $vgpr47
	s_and_saveexec_b32 s2, s22
	s_cbranch_execz .LBB97_69
.LBB97_68:
	global_load_u16 v47, v[21:22], off offset:2560
.LBB97_69:
	s_or_b32 exec_lo, exec_lo, s2
	v_mul_u32_u24_e32 v72, 22, v0
                                        ; implicit-def: $vgpr48
	s_and_saveexec_b32 s2, s23
	s_cbranch_execz .LBB97_71
; %bb.70:
	global_load_u16 v48, v[21:22], off offset:2688
.LBB97_71:
	s_or_b32 exec_lo, exec_lo, s2
	v_sub_nc_u32_e32 v21, v23, v24
	v_cmp_gt_u32_e32 vcc_lo, s25, v72
	v_mov_b32_e32 v67, 0
	v_dual_mov_b32 v65, 0 :: v_dual_mov_b32 v60, 0
	s_waitcnt vmcnt(0)
	ds_store_b16 v21, v27
	ds_store_b16 v21, v28 offset:128
	ds_store_b16 v21, v29 offset:256
	;; [unrolled: 1-line block ×21, first 2 shown]
	v_dual_mov_b32 v33, 0 :: v_dual_mov_b32 v34, 0
	v_dual_mov_b32 v27, 0 :: v_dual_mov_b32 v32, 0
	;; [unrolled: 1-line block ×19, first 2 shown]
	v_mov_b32_e32 v47, 0
	s_mov_b32 s3, 0
	s_mov_b32 s4, 0
	s_waitcnt lgkmcnt(0)
	s_barrier
	buffer_gl0_inv
                                        ; implicit-def: $sgpr2
                                        ; implicit-def: $vgpr30
	s_and_saveexec_b32 s5, vcc_lo
	s_cbranch_execz .LBB97_115
; %bb.72:
	v_mad_u32_u24 v22, v0, 42, v21
	v_cmp_ne_u32_e32 vcc_lo, v17, v18
	v_or_b32_e32 v23, 1, v72
	v_dual_mov_b32 v27, 0 :: v_dual_mov_b32 v70, 0
	ds_load_u16 v17, v22
	v_cndmask_b32_e64 v33, 0, 1, vcc_lo
	v_dual_mov_b32 v69, 0 :: v_dual_mov_b32 v38, 0
	v_dual_mov_b32 v49, 0 :: v_dual_mov_b32 v50, 0
	;; [unrolled: 1-line block ×9, first 2 shown]
	v_cmp_gt_u32_e64 s2, s25, v23
	s_waitcnt lgkmcnt(0)
	v_cndmask_b32_e64 v34, v17, s44, vcc_lo
	v_dual_mov_b32 v46, 0 :: v_dual_mov_b32 v31, 0
	v_dual_mov_b32 v32, 0 :: v_dual_mov_b32 v29, 0
	;; [unrolled: 1-line block ×9, first 2 shown]
	v_mov_b32_e32 v41, 0
	v_mov_b32_e32 v45, 0
	s_mov_b32 s6, 0
	s_mov_b32 s7, 0
                                        ; implicit-def: $sgpr8
                                        ; implicit-def: $vgpr30
	s_and_saveexec_b32 s3, s2
	s_cbranch_execz .LBB97_114
; %bb.73:
	v_mul_u32_u24_e32 v17, 42, v0
	v_dual_mov_b32 v27, 0 :: v_dual_add_nc_u32 v28, 2, v72
	v_cmp_ne_u32_e32 vcc_lo, v18, v19
	v_dual_mov_b32 v69, 0 :: v_dual_mov_b32 v50, 0
	s_delay_alu instid0(VALU_DEP_4)
	v_dual_mov_b32 v70, 0 :: v_dual_add_nc_u32 v17, v21, v17
	v_cndmask_b32_e64 v38, 0, 1, vcc_lo
	v_dual_mov_b32 v49, 0 :: v_dual_mov_b32 v54, 0
	ds_load_b128 v[21:24], v17 offset:2
	v_dual_mov_b32 v39, 0 :: v_dual_mov_b32 v40, 0
	v_dual_mov_b32 v53, 0 :: v_dual_mov_b32 v42, 0
	;; [unrolled: 1-line block ×9, first 2 shown]
	v_cmp_gt_u32_e64 s2, s25, v28
	s_waitcnt lgkmcnt(0)
	v_cndmask_b32_e64 v29, v21, s44, vcc_lo
	v_dual_mov_b32 v35, 0 :: v_dual_mov_b32 v64, 0
	v_dual_mov_b32 v65, 0 :: v_dual_mov_b32 v36, 0
	;; [unrolled: 1-line block ×6, first 2 shown]
	v_mov_b32_e32 v41, 0
	v_mov_b32_e32 v45, 0
	s_mov_b32 s8, 0
                                        ; implicit-def: $sgpr9
                                        ; implicit-def: $vgpr30
	s_and_saveexec_b32 s6, s2
	s_cbranch_execz .LBB97_113
; %bb.74:
	v_lshrrev_b32_e32 v18, 16, v21
	v_cmp_ne_u32_e32 vcc_lo, v19, v20
	v_dual_mov_b32 v70, 0 :: v_dual_add_nc_u32 v19, 3, v72
	v_dual_mov_b32 v27, 0 :: v_dual_mov_b32 v50, 0
	v_cndmask_b32_e64 v39, 0, 1, vcc_lo
	v_cndmask_b32_e64 v35, v18, s44, vcc_lo
	s_delay_alu instid0(VALU_DEP_4)
	v_cmp_gt_u32_e32 vcc_lo, s25, v19
	v_dual_mov_b32 v69, 0 :: v_dual_mov_b32 v54, 0
	v_dual_mov_b32 v49, 0 :: v_dual_mov_b32 v40, 0
	;; [unrolled: 1-line block ×16, first 2 shown]
	v_mov_b32_e32 v45, 0
	s_mov_b32 s2, 0
                                        ; implicit-def: $sgpr9
                                        ; implicit-def: $vgpr30
	s_and_saveexec_b32 s7, vcc_lo
	s_cbranch_execz .LBB97_112
; %bb.75:
	v_cmp_ne_u32_e32 vcc_lo, v20, v13
	v_dual_mov_b32 v27, 0 :: v_dual_add_nc_u32 v18, 4, v72
	v_dual_mov_b32 v69, 0 :: v_dual_mov_b32 v70, 0
	v_cndmask_b32_e64 v40, 0, 1, vcc_lo
	v_cndmask_b32_e64 v36, v22, s44, vcc_lo
	s_delay_alu instid0(VALU_DEP_4)
	v_cmp_gt_u32_e32 vcc_lo, s25, v18
	v_dual_mov_b32 v49, 0 :: v_dual_mov_b32 v50, 0
	v_dual_mov_b32 v54, 0 :: v_dual_mov_b32 v53, 0
	;; [unrolled: 1-line block ×15, first 2 shown]
	v_mov_b32_e32 v45, 0
	s_mov_b32 s10, 0
                                        ; implicit-def: $sgpr9
                                        ; implicit-def: $vgpr30
	s_and_saveexec_b32 s8, vcc_lo
	s_cbranch_execz .LBB97_111
; %bb.76:
	v_lshrrev_b32_e32 v18, 16, v22
	v_cmp_ne_u32_e32 vcc_lo, v13, v14
	v_dual_mov_b32 v70, 0 :: v_dual_add_nc_u32 v13, 5, v72
	v_dual_mov_b32 v27, 0 :: v_dual_mov_b32 v50, 0
	v_cndmask_b32_e64 v42, 0, 1, vcc_lo
	v_cndmask_b32_e64 v37, v18, s44, vcc_lo
	s_delay_alu instid0(VALU_DEP_4)
	v_cmp_gt_u32_e32 vcc_lo, s25, v13
	v_dual_mov_b32 v69, 0 :: v_dual_mov_b32 v54, 0
	v_dual_mov_b32 v49, 0 :: v_dual_mov_b32 v56, 0
	;; [unrolled: 1-line block ×13, first 2 shown]
	v_mov_b32_e32 v59, 0
	v_mov_b32_e32 v41, 0
	;; [unrolled: 1-line block ×3, first 2 shown]
                                        ; implicit-def: $sgpr11
                                        ; implicit-def: $vgpr30
	s_and_saveexec_b32 s9, vcc_lo
	s_cbranch_execz .LBB97_110
; %bb.77:
	v_cmp_ne_u32_e32 vcc_lo, v14, v15
	v_dual_mov_b32 v70, 0 :: v_dual_add_nc_u32 v13, 6, v72
	v_dual_mov_b32 v27, 0 :: v_dual_mov_b32 v50, 0
	v_cndmask_b32_e64 v43, 0, 1, vcc_lo
	v_cndmask_b32_e64 v41, v23, s44, vcc_lo
	s_delay_alu instid0(VALU_DEP_4)
	v_cmp_gt_u32_e32 vcc_lo, s25, v13
	v_dual_mov_b32 v69, 0 :: v_dual_mov_b32 v54, 0
	v_dual_mov_b32 v49, 0 :: v_dual_mov_b32 v56, 0
	;; [unrolled: 1-line block ×13, first 2 shown]
	v_mov_b32_e32 v45, 0
	s_mov_b32 s12, 0
                                        ; implicit-def: $sgpr11
                                        ; implicit-def: $vgpr30
	s_and_saveexec_b32 s10, vcc_lo
	s_cbranch_execz .LBB97_109
; %bb.78:
	v_lshrrev_b32_e32 v13, 16, v23
	v_cmp_ne_u32_e32 vcc_lo, v15, v16
	v_dual_mov_b32 v27, 0 :: v_dual_add_nc_u32 v14, 7, v72
	v_dual_mov_b32 v69, 0 :: v_dual_mov_b32 v70, 0
	v_cndmask_b32_e64 v44, 0, 1, vcc_lo
	v_cndmask_b32_e64 v45, v13, s44, vcc_lo
	s_delay_alu instid0(VALU_DEP_4)
	v_cmp_gt_u32_e32 vcc_lo, s25, v14
	v_dual_mov_b32 v49, 0 :: v_dual_mov_b32 v50, 0
	v_dual_mov_b32 v54, 0 :: v_dual_mov_b32 v53, 0
	v_dual_mov_b32 v57, 0 :: v_dual_mov_b32 v56, 0
	v_dual_mov_b32 v55, 0 :: v_dual_mov_b32 v52, 0
	v_dual_mov_b32 v51, 0 :: v_dual_mov_b32 v48, 0
	v_dual_mov_b32 v47, 0 :: v_dual_mov_b32 v46, 0
	v_dual_mov_b32 v32, 0 :: v_dual_mov_b32 v31, 0
	v_dual_mov_b32 v67, 0 :: v_dual_mov_b32 v66, 0
	v_dual_mov_b32 v65, 0 :: v_dual_mov_b32 v64, 0
	v_dual_mov_b32 v63, 0 :: v_dual_mov_b32 v62, 0
	v_dual_mov_b32 v61, 0 :: v_dual_mov_b32 v60, 0
	v_dual_mov_b32 v59, 0 :: v_dual_mov_b32 v58, 0
	v_mov_b32_e32 v28, 0
                                        ; implicit-def: $sgpr13
                                        ; implicit-def: $vgpr30
	s_and_saveexec_b32 s11, vcc_lo
	s_cbranch_execz .LBB97_108
; %bb.79:
	v_cmp_ne_u32_e32 vcc_lo, v16, v9
	v_dual_mov_b32 v70, 0 :: v_dual_add_nc_u32 v13, 8, v72
	v_dual_mov_b32 v27, 0 :: v_dual_mov_b32 v50, 0
	v_cndmask_b32_e64 v46, 0, 1, vcc_lo
	v_cndmask_b32_e64 v28, v24, s44, vcc_lo
	s_delay_alu instid0(VALU_DEP_4)
	v_cmp_gt_u32_e32 vcc_lo, s25, v13
	v_dual_mov_b32 v69, 0 :: v_dual_mov_b32 v54, 0
	v_dual_mov_b32 v49, 0 :: v_dual_mov_b32 v56, 0
	;; [unrolled: 1-line block ×10, first 2 shown]
	v_mov_b32_e32 v63, 0
	v_mov_b32_e32 v61, 0
	;; [unrolled: 1-line block ×3, first 2 shown]
	s_mov_b32 s14, 0
                                        ; implicit-def: $sgpr13
                                        ; implicit-def: $vgpr30
	s_and_saveexec_b32 s12, vcc_lo
	s_cbranch_execz .LBB97_107
; %bb.80:
	v_lshrrev_b32_e32 v13, 16, v24
	v_cmp_ne_u32_e32 vcc_lo, v9, v10
	v_dual_mov_b32 v70, 0 :: v_dual_add_nc_u32 v9, 9, v72
	v_dual_mov_b32 v27, 0 :: v_dual_mov_b32 v50, 0
	v_cndmask_b32_e64 v47, 0, 1, vcc_lo
	v_cndmask_b32_e64 v58, v13, s44, vcc_lo
	s_delay_alu instid0(VALU_DEP_4)
	v_cmp_gt_u32_e32 vcc_lo, s25, v9
	v_dual_mov_b32 v69, 0 :: v_dual_mov_b32 v54, 0
	v_dual_mov_b32 v49, 0 :: v_dual_mov_b32 v56, 0
	;; [unrolled: 1-line block ×9, first 2 shown]
	v_mov_b32_e32 v63, 0
	v_mov_b32_e32 v61, 0
	;; [unrolled: 1-line block ×3, first 2 shown]
	s_mov_b32 s16, 0
                                        ; implicit-def: $sgpr2
                                        ; implicit-def: $vgpr30
	s_and_saveexec_b32 s13, vcc_lo
	s_cbranch_execz .LBB97_106
; %bb.81:
	ds_load_b128 v[13:16], v17 offset:18
	v_cmp_ne_u32_e32 vcc_lo, v10, v11
	v_dual_mov_b32 v70, 0 :: v_dual_add_nc_u32 v9, 10, v72
	v_dual_mov_b32 v27, 0 :: v_dual_mov_b32 v50, 0
	v_cndmask_b32_e64 v48, 0, 1, vcc_lo
	v_dual_mov_b32 v69, 0 :: v_dual_mov_b32 v54, 0
	v_dual_mov_b32 v49, 0 :: v_dual_mov_b32 v56, 0
	;; [unrolled: 1-line block ×7, first 2 shown]
	v_mov_b32_e32 v67, 0
	s_waitcnt lgkmcnt(0)
	v_cndmask_b32_e64 v60, v13, s44, vcc_lo
	v_mov_b32_e32 v65, 0
	v_mov_b32_e32 v63, 0
	;; [unrolled: 1-line block ×4, first 2 shown]
	s_mov_b32 s17, 0
	s_mov_b32 s14, exec_lo
                                        ; implicit-def: $sgpr18
                                        ; implicit-def: $vgpr30
	v_cmpx_gt_u32_e64 s25, v9
	s_cbranch_execz .LBB97_105
; %bb.82:
	v_lshrrev_b32_e32 v9, 16, v13
	v_cmp_ne_u32_e32 vcc_lo, v11, v12
	v_dual_mov_b32 v27, 0 :: v_dual_add_nc_u32 v10, 11, v72
	v_dual_mov_b32 v69, 0 :: v_dual_mov_b32 v70, 0
	v_cndmask_b32_e64 v51, 0, 1, vcc_lo
	v_cndmask_b32_e64 v59, v9, s44, vcc_lo
	s_delay_alu instid0(VALU_DEP_4)
	v_cmp_gt_u32_e32 vcc_lo, s25, v10
	v_dual_mov_b32 v49, 0 :: v_dual_mov_b32 v50, 0
	v_dual_mov_b32 v54, 0 :: v_dual_mov_b32 v53, 0
	;; [unrolled: 1-line block ×8, first 2 shown]
	v_mov_b32_e32 v61, 0
	s_mov_b32 s2, 0
                                        ; implicit-def: $sgpr18
                                        ; implicit-def: $vgpr30
	s_and_saveexec_b32 s16, vcc_lo
	s_cbranch_execz .LBB97_104
; %bb.83:
	v_cmp_ne_u32_e32 vcc_lo, v12, v5
	v_dual_mov_b32 v70, 0 :: v_dual_add_nc_u32 v9, 12, v72
	v_dual_mov_b32 v27, 0 :: v_dual_mov_b32 v50, 0
	v_cndmask_b32_e64 v52, 0, 1, vcc_lo
	v_cndmask_b32_e64 v61, v14, s44, vcc_lo
	s_delay_alu instid0(VALU_DEP_4)
	v_cmp_gt_u32_e32 vcc_lo, s25, v9
	v_dual_mov_b32 v69, 0 :: v_dual_mov_b32 v54, 0
	v_dual_mov_b32 v49, 0 :: v_dual_mov_b32 v56, 0
	;; [unrolled: 1-line block ×6, first 2 shown]
	v_mov_b32_e32 v67, 0
	v_mov_b32_e32 v65, 0
	;; [unrolled: 1-line block ×3, first 2 shown]
	s_mov_b32 s19, 0
                                        ; implicit-def: $sgpr18
                                        ; implicit-def: $vgpr30
	s_and_saveexec_b32 s17, vcc_lo
	s_cbranch_execz .LBB97_103
; %bb.84:
	v_lshrrev_b32_e32 v9, 16, v14
	v_cmp_ne_u32_e32 vcc_lo, v5, v6
	v_dual_mov_b32 v70, 0 :: v_dual_add_nc_u32 v5, 13, v72
	v_dual_mov_b32 v27, 0 :: v_dual_mov_b32 v50, 0
	v_cndmask_b32_e64 v56, 0, 1, vcc_lo
	v_cndmask_b32_e64 v62, v9, s44, vcc_lo
	v_dual_mov_b32 v69, 0 :: v_dual_mov_b32 v54, 0
	v_dual_mov_b32 v49, 0 :: v_dual_mov_b32 v32, 0
	;; [unrolled: 1-line block ×4, first 2 shown]
	v_mov_b32_e32 v55, 0
	v_mov_b32_e32 v31, 0
	;; [unrolled: 1-line block ×5, first 2 shown]
	s_mov_b32 s18, exec_lo
                                        ; implicit-def: $sgpr20
                                        ; implicit-def: $vgpr30
	v_cmpx_gt_u32_e64 s25, v5
	s_cbranch_execz .LBB97_102
; %bb.85:
	v_cmp_ne_u32_e32 vcc_lo, v6, v7
	v_dual_mov_b32 v70, 0 :: v_dual_add_nc_u32 v5, 14, v72
	v_dual_mov_b32 v27, 0 :: v_dual_mov_b32 v50, 0
	v_cndmask_b32_e64 v55, 0, 1, vcc_lo
	v_cndmask_b32_e64 v63, v15, s44, vcc_lo
	v_dual_mov_b32 v69, 0 :: v_dual_mov_b32 v54, 0
	v_dual_mov_b32 v49, 0 :: v_dual_mov_b32 v32, 0
	;; [unrolled: 1-line block ×4, first 2 shown]
	v_mov_b32_e32 v31, 0
	v_mov_b32_e32 v67, 0
	v_mov_b32_e32 v65, 0
	s_mov_b32 s21, 0
	s_mov_b32 s19, exec_lo
                                        ; implicit-def: $sgpr20
                                        ; implicit-def: $vgpr30
	v_cmpx_gt_u32_e64 s25, v5
	s_cbranch_execz .LBB97_101
; %bb.86:
	v_lshrrev_b32_e32 v5, 16, v15
	v_cmp_ne_u32_e32 vcc_lo, v7, v8
	v_dual_mov_b32 v27, 0 :: v_dual_add_nc_u32 v6, 15, v72
	v_dual_mov_b32 v69, 0 :: v_dual_mov_b32 v70, 0
	v_cndmask_b32_e64 v57, 0, 1, vcc_lo
	v_cndmask_b32_e64 v64, v5, s44, vcc_lo
	v_dual_mov_b32 v49, 0 :: v_dual_mov_b32 v50, 0
	v_dual_mov_b32 v54, 0 :: v_dual_mov_b32 v53, 0
	;; [unrolled: 1-line block ×4, first 2 shown]
	v_mov_b32_e32 v65, 0
	s_mov_b32 s20, exec_lo
                                        ; implicit-def: $sgpr22
                                        ; implicit-def: $vgpr30
	v_cmpx_gt_u32_e64 s25, v6
	s_cbranch_execz .LBB97_100
; %bb.87:
	v_cmp_ne_u32_e32 vcc_lo, v8, v1
	v_dual_mov_b32 v70, 0 :: v_dual_add_nc_u32 v5, 16, v72
	v_dual_mov_b32 v27, 0 :: v_dual_mov_b32 v50, 0
	v_cndmask_b32_e64 v53, 0, 1, vcc_lo
	v_cndmask_b32_e64 v65, v16, s44, vcc_lo
	v_dual_mov_b32 v69, 0 :: v_dual_mov_b32 v54, 0
	v_dual_mov_b32 v49, 0 :: v_dual_mov_b32 v32, 0
	;; [unrolled: 1-line block ×3, first 2 shown]
	v_mov_b32_e32 v67, 0
	s_mov_b32 s23, 0
	s_mov_b32 s21, exec_lo
                                        ; implicit-def: $sgpr22
                                        ; implicit-def: $vgpr30
	v_cmpx_gt_u32_e64 s25, v5
	s_cbranch_execz .LBB97_99
; %bb.88:
	v_lshrrev_b32_e32 v5, 16, v16
	v_cmp_ne_u32_e32 vcc_lo, v1, v2
	v_dual_mov_b32 v70, 0 :: v_dual_add_nc_u32 v1, 17, v72
	v_dual_mov_b32 v27, 0 :: v_dual_mov_b32 v50, 0
	v_cndmask_b32_e64 v54, 0, 1, vcc_lo
	v_cndmask_b32_e64 v66, v5, s44, vcc_lo
	v_dual_mov_b32 v69, 0 :: v_dual_mov_b32 v32, 0
	v_mov_b32_e32 v49, 0
	v_mov_b32_e32 v31, 0
	;; [unrolled: 1-line block ×3, first 2 shown]
	s_mov_b32 s24, 0
	s_mov_b32 s22, exec_lo
                                        ; implicit-def: $sgpr2
                                        ; implicit-def: $vgpr30
	v_cmpx_gt_u32_e64 s25, v1
	s_cbranch_execz .LBB97_98
; %bb.89:
	ds_load_b64 v[5:6], v17 offset:34
	v_cmp_ne_u32_e32 vcc_lo, v2, v3
	v_dual_mov_b32 v70, 0 :: v_dual_add_nc_u32 v1, 18, v72
	v_dual_mov_b32 v27, 0 :: v_dual_mov_b32 v32, 0
	v_cndmask_b32_e64 v50, 0, 1, vcc_lo
	v_mov_b32_e32 v69, 0
	v_mov_b32_e32 v49, 0
	;; [unrolled: 1-line block ×3, first 2 shown]
	s_mov_b32 s40, 0
	s_mov_b32 s23, exec_lo
                                        ; implicit-def: $sgpr41
                                        ; implicit-def: $vgpr30
	s_waitcnt lgkmcnt(0)
	v_cndmask_b32_e64 v67, v5, s44, vcc_lo
	v_cmpx_gt_u32_e64 s25, v1
	s_cbranch_execz .LBB97_97
; %bb.90:
	v_lshrrev_b32_e32 v1, 16, v5
	v_cmp_ne_u32_e32 vcc_lo, v3, v4
	v_dual_mov_b32 v27, 0 :: v_dual_add_nc_u32 v2, 19, v72
	v_dual_mov_b32 v69, 0 :: v_dual_mov_b32 v70, 0
	v_cndmask_b32_e64 v49, 0, 1, vcc_lo
	v_cndmask_b32_e64 v31, v1, s44, vcc_lo
	v_mov_b32_e32 v32, 0
	s_mov_b32 s41, 0
	s_mov_b32 s2, exec_lo
                                        ; implicit-def: $sgpr24
                                        ; implicit-def: $vgpr30
	v_cmpx_gt_u32_e64 s25, v2
	s_cbranch_execz .LBB97_96
; %bb.91:
	v_cmp_ne_u32_e32 vcc_lo, v4, v25
	v_add_nc_u32_e32 v1, 20, v72
	v_mov_b32_e32 v27, 0
	v_mov_b32_e32 v69, 0
	s_mov_b32 s24, exec_lo
	v_cndmask_b32_e64 v70, 0, 1, vcc_lo
	v_cndmask_b32_e64 v32, v6, s44, vcc_lo
                                        ; implicit-def: $sgpr42
                                        ; implicit-def: $vgpr30
	v_cmpx_gt_u32_e64 s25, v1
	s_cbranch_execz .LBB97_95
; %bb.92:
	v_lshrrev_b32_e32 v1, 16, v6
	v_cmp_ne_u32_e32 vcc_lo, v25, v26
	v_add_nc_u32_e32 v2, 21, v72
                                        ; implicit-def: $vgpr30
	v_cndmask_b32_e64 v69, 0, 1, vcc_lo
	s_delay_alu instid0(VALU_DEP_4) | instskip(NEXT) | instid1(VALU_DEP_3)
	v_cndmask_b32_e64 v27, v1, s44, vcc_lo
	v_cmp_gt_u32_e32 vcc_lo, s25, v2
                                        ; implicit-def: $sgpr25
	s_and_saveexec_b32 s41, vcc_lo
	s_delay_alu instid0(SALU_CYCLE_1)
	s_xor_b32 s41, exec_lo, s41
	s_cbranch_execz .LBB97_94
; %bb.93:
	ds_load_u16 v1, v17 offset:42
	v_cmp_ne_u32_e32 vcc_lo, v26, v71
	s_mov_b32 s40, exec_lo
	s_and_b32 s25, vcc_lo, exec_lo
	s_waitcnt lgkmcnt(0)
	v_cndmask_b32_e64 v30, v1, s44, vcc_lo
.LBB97_94:
	s_or_b32 exec_lo, exec_lo, s41
	s_delay_alu instid0(SALU_CYCLE_1)
	s_and_b32 s42, s25, exec_lo
	s_and_b32 s41, s40, exec_lo
.LBB97_95:
	s_or_b32 exec_lo, exec_lo, s24
	s_delay_alu instid0(SALU_CYCLE_1)
	s_and_b32 s24, s42, exec_lo
	s_and_b32 s40, s41, exec_lo
.LBB97_96:
	s_or_b32 exec_lo, exec_lo, s2
	s_delay_alu instid0(SALU_CYCLE_1)
	s_and_b32 s41, s24, exec_lo
	s_and_b32 s24, s40, exec_lo
.LBB97_97:
	s_or_b32 exec_lo, exec_lo, s23
	s_delay_alu instid0(SALU_CYCLE_1)
	s_and_b32 s2, s41, exec_lo
	s_and_b32 s23, s24, exec_lo
.LBB97_98:
	s_or_b32 exec_lo, exec_lo, s22
	s_delay_alu instid0(SALU_CYCLE_1)
	s_and_b32 s22, s2, exec_lo
	s_and_b32 s2, s23, exec_lo
.LBB97_99:
	s_or_b32 exec_lo, exec_lo, s21
	s_delay_alu instid0(SALU_CYCLE_1)
	s_and_b32 s22, s22, exec_lo
	s_and_b32 s21, s2, exec_lo
.LBB97_100:
	s_or_b32 exec_lo, exec_lo, s20
	s_delay_alu instid0(SALU_CYCLE_1)
	s_and_b32 s20, s22, exec_lo
	s_and_b32 s2, s21, exec_lo
.LBB97_101:
	s_or_b32 exec_lo, exec_lo, s19
	s_delay_alu instid0(SALU_CYCLE_1)
	s_and_b32 s20, s20, exec_lo
	s_and_b32 s19, s2, exec_lo
.LBB97_102:
	s_or_b32 exec_lo, exec_lo, s18
	s_delay_alu instid0(SALU_CYCLE_1)
	s_and_b32 s18, s20, exec_lo
	s_and_b32 s2, s19, exec_lo
.LBB97_103:
	s_or_b32 exec_lo, exec_lo, s17
	s_delay_alu instid0(SALU_CYCLE_1)
	s_and_b32 s18, s18, exec_lo
	s_and_b32 s17, s2, exec_lo
.LBB97_104:
	s_or_b32 exec_lo, exec_lo, s16
	s_delay_alu instid0(SALU_CYCLE_1)
	s_and_b32 s18, s18, exec_lo
	s_and_b32 s16, s17, exec_lo
.LBB97_105:
	s_or_b32 exec_lo, exec_lo, s14
	s_delay_alu instid0(SALU_CYCLE_1)
	s_and_b32 s2, s18, exec_lo
	s_and_b32 s14, s16, exec_lo
.LBB97_106:
	s_or_b32 exec_lo, exec_lo, s13
	s_delay_alu instid0(SALU_CYCLE_1)
	s_and_b32 s13, s2, exec_lo
	s_and_b32 s2, s14, exec_lo
.LBB97_107:
	s_or_b32 exec_lo, exec_lo, s12
	s_delay_alu instid0(SALU_CYCLE_1)
	s_and_b32 s13, s13, exec_lo
	s_and_b32 s12, s2, exec_lo
.LBB97_108:
	s_or_b32 exec_lo, exec_lo, s11
	s_delay_alu instid0(SALU_CYCLE_1)
	s_and_b32 s11, s13, exec_lo
	s_and_b32 s2, s12, exec_lo
.LBB97_109:
	s_or_b32 exec_lo, exec_lo, s10
	s_delay_alu instid0(SALU_CYCLE_1)
	s_and_b32 s11, s11, exec_lo
	s_and_b32 s10, s2, exec_lo
.LBB97_110:
	s_or_b32 exec_lo, exec_lo, s9
	s_delay_alu instid0(SALU_CYCLE_1)
	s_and_b32 s9, s11, exec_lo
	s_and_b32 s2, s10, exec_lo
.LBB97_111:
	s_or_b32 exec_lo, exec_lo, s8
	s_delay_alu instid0(SALU_CYCLE_1)
	s_and_b32 s9, s9, exec_lo
	s_and_b32 s8, s2, exec_lo
.LBB97_112:
	s_or_b32 exec_lo, exec_lo, s7
	s_delay_alu instid0(SALU_CYCLE_1)
	s_and_b32 s9, s9, exec_lo
	s_and_b32 s7, s8, exec_lo
.LBB97_113:
	s_or_b32 exec_lo, exec_lo, s6
	s_delay_alu instid0(SALU_CYCLE_1)
	s_and_b32 s8, s9, exec_lo
	s_and_b32 s6, s7, exec_lo
.LBB97_114:
	s_or_b32 exec_lo, exec_lo, s3
	s_delay_alu instid0(SALU_CYCLE_1)
	s_and_b32 s2, s8, exec_lo
	s_and_b32 s3, s6, exec_lo
.LBB97_115:
	s_or_b32 exec_lo, exec_lo, s5
	s_mov_b32 s6, 0
	s_mov_b32 s5, 0
	s_and_b32 vcc_lo, exec_lo, s4
	s_cbranch_vccnz .LBB97_117
	s_branch .LBB97_122
.LBB97_116:
                                        ; implicit-def: $sgpr2
                                        ; implicit-def: $vgpr30
                                        ; implicit-def: $vgpr33
                                        ; implicit-def: $vgpr27
                                        ; implicit-def: $vgpr69
                                        ; implicit-def: $vgpr34
                                        ; implicit-def: $vgpr32
                                        ; implicit-def: $vgpr70
                                        ; implicit-def: $vgpr38
                                        ; implicit-def: $vgpr31
                                        ; implicit-def: $vgpr49
                                        ; implicit-def: $vgpr29
                                        ; implicit-def: $vgpr67
                                        ; implicit-def: $vgpr50
                                        ; implicit-def: $vgpr39
                                        ; implicit-def: $vgpr66
                                        ; implicit-def: $vgpr54
                                        ; implicit-def: $vgpr35
                                        ; implicit-def: $vgpr65
                                        ; implicit-def: $vgpr53
                                        ; implicit-def: $vgpr40
                                        ; implicit-def: $vgpr64
                                        ; implicit-def: $vgpr57
                                        ; implicit-def: $vgpr36
                                        ; implicit-def: $vgpr63
                                        ; implicit-def: $vgpr55
                                        ; implicit-def: $vgpr42
                                        ; implicit-def: $vgpr62
                                        ; implicit-def: $vgpr56
                                        ; implicit-def: $vgpr37
                                        ; implicit-def: $vgpr61
                                        ; implicit-def: $vgpr52
                                        ; implicit-def: $vgpr43
                                        ; implicit-def: $vgpr59
                                        ; implicit-def: $vgpr51
                                        ; implicit-def: $vgpr41
                                        ; implicit-def: $vgpr60
                                        ; implicit-def: $vgpr48
                                        ; implicit-def: $vgpr44
                                        ; implicit-def: $vgpr58
                                        ; implicit-def: $vgpr47
                                        ; implicit-def: $vgpr45
                                        ; implicit-def: $vgpr28
                                        ; implicit-def: $vgpr46
                                        ; implicit-def: $sgpr5
                                        ; implicit-def: $sgpr6
	s_cbranch_execz .LBB97_122
.LBB97_117:
	v_add_co_u32 v1, s2, s34, v68
	s_delay_alu instid0(VALU_DEP_1)
	v_add_co_ci_u32_e64 v2, null, s35, 0, s2
	s_clause 0x9
	global_load_b32 v3, v68, s[34:35]
	global_load_b32 v4, v68, s[34:35] offset:256
	global_load_b32 v5, v68, s[34:35] offset:512
	;; [unrolled: 1-line block ×9, first 2 shown]
	v_add_co_u32 v1, vcc_lo, 0x1000, v1
	v_add_co_ci_u32_e32 v2, vcc_lo, 0, v2, vcc_lo
	s_clause 0xb
	global_load_b32 v13, v68, s[34:35] offset:2560
	global_load_b32 v14, v68, s[34:35] offset:2816
	;; [unrolled: 1-line block ×6, first 2 shown]
	global_load_b32 v19, v[1:2], off
	global_load_b32 v20, v[1:2], off offset:256
	global_load_b32 v21, v[1:2], off offset:512
	;; [unrolled: 1-line block ×5, first 2 shown]
	v_mad_u32_u24 v24, 0x54, v0, v68
	s_waitcnt vmcnt(20)
	ds_store_2addr_stride64_b32 v68, v3, v4 offset1:1
	s_waitcnt vmcnt(18)
	ds_store_2addr_stride64_b32 v68, v5, v6 offset0:2 offset1:3
	s_waitcnt vmcnt(16)
	ds_store_2addr_stride64_b32 v68, v7, v8 offset0:4 offset1:5
	;; [unrolled: 2-line block ×10, first 2 shown]
	s_waitcnt lgkmcnt(0)
	s_barrier
	buffer_gl0_inv
	s_load_b32 s2, s[34:35], 0x1600
	ds_load_2addr_b64 v[17:20], v24 offset1:1
	ds_load_2addr_b64 v[13:16], v24 offset0:2 offset1:3
	ds_load_2addr_b64 v[9:12], v24 offset0:4 offset1:5
	;; [unrolled: 1-line block ×4, first 2 shown]
	ds_load_b64 v[29:30], v24 offset:80
	v_mad_i32_i24 v21, 0xffffffac, v0, v24
	s_waitcnt lgkmcnt(0)
	ds_store_b32 v21, v17 offset:5888
	s_waitcnt lgkmcnt(0)
	s_barrier
	buffer_gl0_inv
	v_mov_b32_e32 v71, s2
	s_mov_b32 s2, exec_lo
	v_cmpx_ne_u32_e32 63, v0
	s_cbranch_execz .LBB97_119
; %bb.118:
	ds_load_b32 v71, v68 offset:5892
.LBB97_119:
	s_or_b32 exec_lo, exec_lo, s2
	v_lshlrev_b32_e32 v22, 1, v0
	s_waitcnt lgkmcnt(0)
	s_barrier
	buffer_gl0_inv
	v_cmp_ne_u32_e32 vcc_lo, v17, v18
	s_clause 0x15
	global_load_u16 v23, v22, s[26:27]
	global_load_u16 v24, v22, s[26:27] offset:128
	global_load_u16 v25, v22, s[26:27] offset:256
	;; [unrolled: 1-line block ×21, first 2 shown]
	v_sub_nc_u32_e32 v33, v21, v22
	s_mov_b32 s3, exec_lo
	s_waitcnt vmcnt(21)
	ds_store_b16 v33, v23
	s_waitcnt vmcnt(20)
	ds_store_b16 v33, v24 offset:128
	s_waitcnt vmcnt(19)
	ds_store_b16 v33, v25 offset:256
	;; [unrolled: 2-line block ×21, first 2 shown]
	v_mad_u32_u24 v48, v0, 42, v33
	s_waitcnt lgkmcnt(0)
	s_barrier
	buffer_gl0_inv
	ds_load_b128 v[25:28], v48 offset:2
	ds_load_b128 v[21:24], v48 offset:18
	ds_load_b64 v[31:32], v48 offset:34
	ds_load_u16 v68, v48 offset:42
	v_mov_b32_e32 v34, s44
	v_cmpx_eq_u32_e64 v17, v18
	s_cbranch_execz .LBB97_121
; %bb.120:
	v_mul_u32_u24_e32 v17, 42, v0
	s_delay_alu instid0(VALU_DEP_1)
	v_add_nc_u32_e32 v17, v33, v17
	ds_load_u16 v34, v17
.LBB97_121:
	s_or_b32 exec_lo, exec_lo, s3
	s_waitcnt lgkmcnt(3)
	v_lshrrev_b32_e32 v17, 16, v25
	v_cmp_ne_u32_e64 s2, v19, v20
	v_lshrrev_b32_e32 v37, 16, v26
	v_lshrrev_b32_e32 v45, 16, v27
	v_lshrrev_b32_e32 v58, 16, v28
	s_waitcnt lgkmcnt(2)
	v_lshrrev_b32_e32 v59, 16, v21
	v_lshrrev_b32_e32 v62, 16, v22
	v_lshrrev_b32_e32 v64, 16, v23
	v_lshrrev_b32_e32 v66, 16, v24
	s_waitcnt lgkmcnt(1)
	v_lshrrev_b32_e32 v72, 16, v31
	v_lshrrev_b32_e32 v73, 16, v32
	v_cndmask_b32_e64 v33, 0, 1, vcc_lo
	v_cmp_ne_u32_e32 vcc_lo, v18, v19
	v_cndmask_b32_e64 v39, 0, 1, s2
	v_cmp_ne_u32_e64 s3, v20, v13
	v_cmp_ne_u32_e64 s4, v13, v14
	;; [unrolled: 1-line block ×18, first 2 shown]
	v_cndmask_b32_e64 v35, v17, s44, s2
	v_cmp_ne_u32_e64 s2, v30, v71
	v_cndmask_b32_e64 v38, 0, 1, vcc_lo
	v_cndmask_b32_e64 v40, 0, 1, s3
	v_cndmask_b32_e64 v42, 0, 1, s4
	;; [unrolled: 1-line block ×18, first 2 shown]
	v_cndmask_b32_e64 v29, v25, s44, vcc_lo
	v_cndmask_b32_e64 v36, v26, s44, s3
	v_cndmask_b32_e64 v37, v37, s44, s4
	;; [unrolled: 1-line block ×18, first 2 shown]
	s_waitcnt lgkmcnt(0)
	v_cndmask_b32_e64 v30, v68, s44, s2
	s_mov_b32 s3, -1
                                        ; implicit-def: $sgpr5
                                        ; implicit-def: $sgpr6
.LBB97_122:
	v_dual_mov_b32 v1, s6 :: v_dual_mov_b32 v8, s5
	s_and_saveexec_b32 s4, s3
; %bb.123:
	v_cndmask_b32_e64 v1, 0, 1, s2
	v_mov_b32_e32 v8, v30
; %bb.124:
	s_or_b32 exec_lo, exec_lo, s4
	s_delay_alu instid0(VALU_DEP_2)
	v_or_b32_e32 v2, v1, v69
	v_add_f16_e32 v72, v29, v34
	v_and_b32_e32 v74, 0xff, v38
	v_and_b32_e32 v73, 0xff, v39
	;; [unrolled: 1-line block ×21, first 2 shown]
	v_or_b32_e32 v20, v2, v70
	v_lshrrev_b32_e32 v10, 5, v0
	v_cmp_gt_u32_e32 vcc_lo, 32, v0
	s_cmp_lg_u32 s15, 0
	s_barrier
	buffer_gl0_inv
	s_cbranch_scc0 .LBB97_203
; %bb.125:
	v_cmp_eq_u16_e64 s2, 0, v74
	v_cmp_eq_u16_e64 s3, 0, v73
	;; [unrolled: 1-line block ×5, first 2 shown]
	v_cndmask_b32_e64 v1, v29, v72, s2
	v_cmp_eq_u16_e64 s7, 0, v26
	v_cmp_eq_u16_e64 s8, 0, v25
	;; [unrolled: 1-line block ×4, first 2 shown]
	v_add_f16_e32 v1, v1, v35
	v_cmp_eq_u16_e64 s11, 0, v22
	v_cmp_eq_u16_e64 s12, 0, v21
	v_or_b32_e32 v2, v20, v49
	v_cmp_eq_u16_e64 s13, 0, v19
	v_cndmask_b32_e64 v1, v35, v1, s3
	v_cmp_eq_u16_e64 s14, 0, v18
	v_cmp_eq_u16_e64 s16, 0, v17
	v_or_b32_e32 v2, v2, v50
	v_cmp_eq_u16_e64 s17, 0, v16
	v_add_f16_e32 v1, v1, v36
	v_cmp_eq_u16_e64 s18, 0, v15
	v_cmp_eq_u16_e64 s19, 0, v14
	v_or_b32_e32 v2, v2, v54
	v_cmp_eq_u16_e64 s20, 0, v13
	v_cndmask_b32_e64 v1, v36, v1, s4
	v_cmp_eq_u16_e64 s21, 0, v12
	v_cmp_eq_u16_e64 s22, 0, v11
	v_or_b32_e32 v2, v2, v53
	v_cmp_eq_u16_e64 s23, 0, v9
	v_add_f16_e32 v1, v1, v37
	v_add_lshl_u32 v3, v10, v0, 2
	s_delay_alu instid0(VALU_DEP_4) | instskip(NEXT) | instid1(VALU_DEP_3)
	v_or_b32_e32 v2, v2, v57
	v_cndmask_b32_e64 v1, v37, v1, s5
	s_delay_alu instid0(VALU_DEP_2) | instskip(NEXT) | instid1(VALU_DEP_2)
	v_or_b32_e32 v2, v2, v55
	v_add_f16_e32 v1, v1, v41
	s_delay_alu instid0(VALU_DEP_2) | instskip(NEXT) | instid1(VALU_DEP_2)
	v_or_b32_e32 v2, v2, v56
	v_cndmask_b32_e64 v1, v41, v1, s6
	s_delay_alu instid0(VALU_DEP_2) | instskip(NEXT) | instid1(VALU_DEP_2)
	v_or_b32_e32 v2, v2, v52
	v_add_f16_e32 v1, v1, v45
	s_delay_alu instid0(VALU_DEP_2) | instskip(NEXT) | instid1(VALU_DEP_2)
	;; [unrolled: 6-line block ×7, first 2 shown]
	v_and_b32_e32 v2, 1, v2
	v_cndmask_b32_e64 v1, v61, v1, s12
	s_delay_alu instid0(VALU_DEP_1) | instskip(NEXT) | instid1(VALU_DEP_1)
	v_add_f16_e32 v1, v1, v62
	v_cndmask_b32_e64 v1, v62, v1, s13
	s_delay_alu instid0(VALU_DEP_1) | instskip(NEXT) | instid1(VALU_DEP_1)
	v_add_f16_e32 v1, v1, v63
	;; [unrolled: 3-line block ×10, first 2 shown]
	v_cndmask_b32_e64 v69, v8, v1, s23
	v_cmp_eq_u32_e64 s23, 1, v2
	s_delay_alu instid0(VALU_DEP_1)
	v_cndmask_b32_e64 v70, v33, 1, s23
	ds_store_b16 v3, v69
	ds_store_b8 v3, v70 offset:2
	s_waitcnt lgkmcnt(0)
	s_barrier
	buffer_gl0_inv
	s_and_saveexec_b32 s27, vcc_lo
	s_cbranch_execz .LBB97_141
; %bb.126:
	v_lshrrev_b32_e32 v1, 2, v0
                                        ; implicit-def: $vgpr2
                                        ; implicit-def: $vgpr7
	s_delay_alu instid0(VALU_DEP_1) | instskip(NEXT) | instid1(VALU_DEP_1)
	v_and_b32_e32 v1, 12, v1
	v_lshl_or_b32 v1, v0, 3, v1
	ds_load_u8 v5, v1 offset:6
	ds_load_b32 v3, v1
	s_waitcnt lgkmcnt(1)
	v_cmp_eq_u16_e64 s23, 0, v5
	v_cmp_ne_u16_e64 s24, 0, v5
	s_delay_alu instid0(VALU_DEP_1) | instskip(NEXT) | instid1(SALU_CYCLE_1)
	s_and_saveexec_b32 s25, s24
	s_xor_b32 s24, exec_lo, s25
	s_cbranch_execz .LBB97_128
; %bb.127:
	ds_load_u16 v2, v1 offset:4
	s_waitcnt lgkmcnt(0)
	v_mov_b32_e32 v7, v2
.LBB97_128:
	s_or_saveexec_b32 s24, s24
	s_delay_alu instid0(VALU_DEP_1)
	v_mov_b32_e32 v4, v7
	v_mov_b32_e32 v76, v2
	s_xor_b32 exec_lo, exec_lo, s24
	s_cbranch_execz .LBB97_130
; %bb.129:
	ds_load_u16 v4, v1 offset:4
	s_waitcnt lgkmcnt(0)
	v_add_f16_e32 v7, v4, v3
	v_mov_b32_e32 v2, v4
	s_delay_alu instid0(VALU_DEP_2)
	v_mov_b32_e32 v76, v7
.LBB97_130:
	s_or_b32 exec_lo, exec_lo, s24
	v_and_b32_e32 v75, 1, v5
	s_waitcnt lgkmcnt(0)
	v_and_b32_e32 v5, 0x10000, v3
	v_and_b32_e32 v6, 0xff000000, v3
	;; [unrolled: 1-line block ×3, first 2 shown]
	s_mov_b32 s26, exec_lo
	v_cmp_eq_u32_e64 s24, 1, v75
	v_mbcnt_lo_u32_b32 v75, -1, 0
	s_delay_alu instid0(VALU_DEP_2) | instskip(NEXT) | instid1(VALU_DEP_1)
	v_cndmask_b32_e64 v77, v5, 0x10000, s24
	v_or_b32_e32 v79, v77, v6
	v_or3_b32 v80, v6, v78, v77
	s_delay_alu instid0(VALU_DEP_4) | instskip(NEXT) | instid1(VALU_DEP_3)
	v_and_b32_e32 v78, 15, v75
	v_lshrrev_b32_e32 v77, 16, v79
	s_delay_alu instid0(VALU_DEP_3) | instskip(NEXT) | instid1(VALU_DEP_3)
	v_mov_b32_dpp v81, v80 row_shr:1 row_mask:0xf bank_mask:0xf
	v_cmpx_ne_u32_e32 0, v78
	s_cbranch_execz .LBB97_132
; %bb.131:
	s_delay_alu instid0(VALU_DEP_3) | instskip(NEXT) | instid1(VALU_DEP_3)
	v_and_b32_e32 v77, 0xff, v77
	v_lshrrev_b32_e32 v80, 16, v81
	v_add_f16_e32 v7, v7, v81
	v_and_b32_e32 v79, 0x10000, v79
	s_delay_alu instid0(VALU_DEP_4) | instskip(NEXT) | instid1(VALU_DEP_1)
	v_cmp_eq_u16_e64 s25, 0, v77
	v_cndmask_b32_e64 v76, v76, v7, s25
	v_and_b32_e32 v80, 1, v80
	s_delay_alu instid0(VALU_DEP_4) | instskip(NEXT) | instid1(VALU_DEP_3)
	v_cmp_ne_u32_e64 s25, 0, v79
	v_and_b32_e32 v7, 0xffff, v76
	s_delay_alu instid0(VALU_DEP_2) | instskip(NEXT) | instid1(VALU_DEP_1)
	v_cndmask_b32_e64 v77, v80, 1, s25
	v_lshlrev_b32_e32 v79, 16, v77
	s_delay_alu instid0(VALU_DEP_1)
	v_or3_b32 v80, v79, v7, v6
	v_mov_b32_e32 v7, v76
.LBB97_132:
	s_or_b32 exec_lo, exec_lo, s26
	s_delay_alu instid0(VALU_DEP_2)
	v_lshrrev_b32_e32 v79, 16, v80
	v_mov_b32_dpp v81, v80 row_shr:2 row_mask:0xf bank_mask:0xf
	s_mov_b32 s26, exec_lo
	v_cmpx_lt_u32_e32 1, v78
	s_cbranch_execz .LBB97_134
; %bb.133:
	s_delay_alu instid0(VALU_DEP_2) | instskip(SKIP_3) | instid1(VALU_DEP_4)
	v_lshrrev_b32_e32 v77, 16, v81
	v_lshrrev_b32_e32 v79, 16, v80
	v_and_b32_e32 v80, 0x10000, v80
	v_add_f16_e32 v7, v7, v81
	v_and_b32_e32 v77, 1, v77
	s_delay_alu instid0(VALU_DEP_4) | instskip(NEXT) | instid1(VALU_DEP_4)
	v_and_b32_e32 v79, 0xff, v79
	v_cmp_ne_u32_e64 s25, 0, v80
	s_delay_alu instid0(VALU_DEP_1) | instskip(NEXT) | instid1(VALU_DEP_3)
	v_cndmask_b32_e64 v77, v77, 1, s25
	v_cmp_eq_u16_e64 s25, 0, v79
	s_delay_alu instid0(VALU_DEP_2) | instskip(NEXT) | instid1(VALU_DEP_2)
	v_lshlrev_b32_e32 v79, 16, v77
	v_cndmask_b32_e64 v7, v76, v7, s25
	s_delay_alu instid0(VALU_DEP_1) | instskip(SKIP_1) | instid1(VALU_DEP_1)
	v_mov_b32_e32 v76, v7
	v_and_b32_e32 v80, 0xffff, v7
	v_or3_b32 v80, v79, v80, v6
	v_mov_b32_e32 v79, v77
.LBB97_134:
	s_or_b32 exec_lo, exec_lo, s26
	s_delay_alu instid0(VALU_DEP_2)
	v_mov_b32_dpp v81, v80 row_shr:4 row_mask:0xf bank_mask:0xf
	s_mov_b32 s26, exec_lo
	v_cmpx_lt_u32_e32 3, v78
	s_cbranch_execz .LBB97_136
; %bb.135:
	v_and_b32_e32 v80, 0xff, v79
	v_add_f16_e32 v7, v7, v81
	v_lshrrev_b32_e32 v77, 16, v81
	s_delay_alu instid0(VALU_DEP_3) | instskip(NEXT) | instid1(VALU_DEP_2)
	v_cmp_eq_u16_e64 s25, 0, v80
	v_and_b32_e32 v77, 1, v77
	s_delay_alu instid0(VALU_DEP_2) | instskip(NEXT) | instid1(VALU_DEP_1)
	v_cndmask_b32_e64 v7, v76, v7, s25
	v_dual_mov_b32 v76, v7 :: v_dual_and_b32 v79, 1, v79
	s_delay_alu instid0(VALU_DEP_1) | instskip(SKIP_1) | instid1(VALU_DEP_2)
	v_cmp_eq_u32_e64 s25, 1, v79
	v_and_b32_e32 v79, 0xffff, v7
	v_cndmask_b32_e64 v77, v77, 1, s25
	s_delay_alu instid0(VALU_DEP_1) | instskip(NEXT) | instid1(VALU_DEP_1)
	v_lshlrev_b32_e32 v80, 16, v77
	v_or3_b32 v80, v80, v79, v6
	v_mov_b32_e32 v79, v77
.LBB97_136:
	s_or_b32 exec_lo, exec_lo, s26
	s_delay_alu instid0(VALU_DEP_2)
	v_mov_b32_dpp v81, v80 row_shr:8 row_mask:0xf bank_mask:0xf
	s_mov_b32 s26, exec_lo
	v_cmpx_lt_u32_e32 7, v78
	s_cbranch_execz .LBB97_138
; %bb.137:
	v_and_b32_e32 v78, 0xff, v79
	v_add_f16_e32 v7, v7, v81
	v_lshrrev_b32_e32 v77, 16, v81
	s_delay_alu instid0(VALU_DEP_3) | instskip(NEXT) | instid1(VALU_DEP_2)
	v_cmp_eq_u16_e64 s25, 0, v78
	v_and_b32_e32 v77, 1, v77
	s_delay_alu instid0(VALU_DEP_2) | instskip(NEXT) | instid1(VALU_DEP_1)
	v_cndmask_b32_e64 v7, v76, v7, s25
	v_dual_mov_b32 v76, v7 :: v_dual_and_b32 v79, 1, v79
	s_delay_alu instid0(VALU_DEP_1) | instskip(SKIP_1) | instid1(VALU_DEP_2)
	v_cmp_eq_u32_e64 s25, 1, v79
	v_and_b32_e32 v78, 0xffff, v7
	v_cndmask_b32_e64 v77, v77, 1, s25
	s_delay_alu instid0(VALU_DEP_1) | instskip(NEXT) | instid1(VALU_DEP_1)
	v_lshlrev_b32_e32 v79, 16, v77
	v_or3_b32 v80, v79, v78, v6
	v_mov_b32_e32 v79, v77
.LBB97_138:
	s_or_b32 exec_lo, exec_lo, s26
	ds_swizzle_b32 v78, v80 offset:swizzle(BROADCAST,32,15)
	v_and_b32_e32 v80, 16, v75
	s_mov_b32 s26, exec_lo
	s_delay_alu instid0(VALU_DEP_1)
	v_cmpx_ne_u32_e32 0, v80
	s_cbranch_execz .LBB97_140
; %bb.139:
	v_and_b32_e32 v80, 0xff, v79
	s_waitcnt lgkmcnt(0)
	v_lshrrev_b32_e32 v77, 16, v78
	v_add_f16_e32 v7, v7, v78
	v_and_b32_e32 v78, 1, v79
	v_cmp_eq_u16_e64 s25, 0, v80
	s_delay_alu instid0(VALU_DEP_4) | instskip(NEXT) | instid1(VALU_DEP_2)
	v_and_b32_e32 v77, 1, v77
	v_cndmask_b32_e64 v76, v76, v7, s25
	s_delay_alu instid0(VALU_DEP_4) | instskip(NEXT) | instid1(VALU_DEP_1)
	v_cmp_eq_u32_e64 s25, 1, v78
	v_cndmask_b32_e64 v77, v77, 1, s25
.LBB97_140:
	s_or_b32 exec_lo, exec_lo, s26
	s_delay_alu instid0(VALU_DEP_1) | instskip(SKIP_3) | instid1(VALU_DEP_4)
	v_and_b32_e32 v7, 0xff, v77
	v_add_nc_u32_e32 v77, -1, v75
	v_and_b32_e32 v76, 0xffff, v76
	v_cmp_eq_u32_e64 s26, 0, v5
	v_lshlrev_b32_e32 v7, 16, v7
	s_delay_alu instid0(VALU_DEP_4) | instskip(NEXT) | instid1(VALU_DEP_2)
	v_cmp_gt_i32_e64 s25, 0, v77
	v_or3_b32 v6, v7, v76, v6
	s_delay_alu instid0(VALU_DEP_2) | instskip(NEXT) | instid1(VALU_DEP_1)
	v_cndmask_b32_e64 v75, v77, v75, s25
	v_lshlrev_b32_e32 v7, 2, v75
	ds_bpermute_b32 v6, v7, v6
	v_and_b32_e32 v7, 0xff0000, v3
	s_delay_alu instid0(VALU_DEP_1) | instskip(SKIP_3) | instid1(VALU_DEP_2)
	v_cmp_eq_u32_e64 s25, 0, v7
	s_waitcnt lgkmcnt(0)
	v_add_f16_e32 v75, v3, v6
	v_lshrrev_b32_e32 v6, 16, v6
	v_cndmask_b32_e64 v3, v3, v75, s25
	v_cmp_eq_u32_e64 s25, 0, v0
	s_delay_alu instid0(VALU_DEP_3) | instskip(NEXT) | instid1(VALU_DEP_2)
	v_and_b32_e32 v6, 1, v6
	v_cndmask_b32_e64 v3, v3, v69, s25
	s_delay_alu instid0(VALU_DEP_2) | instskip(NEXT) | instid1(VALU_DEP_2)
	v_cndmask_b32_e64 v5, 1, v6, s26
	v_add_f16_e32 v4, v4, v3
	s_delay_alu instid0(VALU_DEP_2) | instskip(NEXT) | instid1(VALU_DEP_2)
	v_cndmask_b32_e64 v5, v5, v70, s25
	v_cndmask_b32_e64 v2, v2, v4, s23
	s_delay_alu instid0(VALU_DEP_2)
	v_cndmask_b32_e64 v4, v5, 1, s24
	ds_store_b16 v1, v3
	ds_store_b8 v1, v5 offset:2
	ds_store_b16 v1, v2 offset:4
	ds_store_b8 v1, v4 offset:6
.LBB97_141:
	s_or_b32 exec_lo, exec_lo, s27
	v_cmp_eq_u32_e64 s23, 0, v0
	s_mov_b32 s25, exec_lo
	s_waitcnt lgkmcnt(0)
	s_barrier
	buffer_gl0_inv
	v_cmpx_ne_u32_e32 0, v0
	s_cbranch_execz .LBB97_143
; %bb.142:
	v_add_nc_u32_e32 v1, -1, v0
	s_delay_alu instid0(VALU_DEP_1) | instskip(NEXT) | instid1(VALU_DEP_1)
	v_lshrrev_b32_e32 v2, 5, v1
	v_add_lshl_u32 v1, v2, v1, 2
	ds_load_u16 v69, v1
	ds_load_u8 v70, v1 offset:2
.LBB97_143:
	s_or_b32 exec_lo, exec_lo, s25
	s_and_saveexec_b32 s25, vcc_lo
	s_cbranch_execz .LBB97_182
; %bb.144:
	v_mov_b32_e32 v4, 0
	v_mbcnt_lo_u32_b32 v84, -1, 0
	s_mov_b32 s27, 0
	ds_load_b32 v1, v4 offset:256
	v_cmp_eq_u32_e64 s24, 0, v84
	s_delay_alu instid0(VALU_DEP_1)
	s_and_saveexec_b32 s34, s24
	s_cbranch_execz .LBB97_146
; %bb.145:
	s_add_i32 s26, s15, 32
	v_mov_b32_e32 v2, 1
	s_lshl_b64 s[26:27], s[26:27], 3
	s_delay_alu instid0(SALU_CYCLE_1)
	s_add_u32 s26, s36, s26
	s_addc_u32 s27, s37, s27
	s_waitcnt lgkmcnt(0)
	global_store_b64 v4, v[1:2], s[26:27]
.LBB97_146:
	s_or_b32 exec_lo, exec_lo, s34
	v_xad_u32 v2, v84, -1, s15
	s_mov_b32 s26, exec_lo
	s_delay_alu instid0(VALU_DEP_1) | instskip(NEXT) | instid1(VALU_DEP_1)
	v_add_nc_u32_e32 v3, 32, v2
	v_lshlrev_b64 v[3:4], 3, v[3:4]
	s_delay_alu instid0(VALU_DEP_1) | instskip(NEXT) | instid1(VALU_DEP_2)
	v_add_co_u32 v6, vcc_lo, s36, v3
	v_add_co_ci_u32_e32 v7, vcc_lo, s37, v4, vcc_lo
	global_load_b64 v[4:5], v[6:7], off glc
	s_waitcnt vmcnt(0)
	v_and_b32_e32 v3, 0xff, v5
	s_delay_alu instid0(VALU_DEP_1)
	v_cmpx_eq_u16_e32 0, v3
	s_cbranch_execz .LBB97_150
; %bb.147:
	s_mov_b32 s27, 0
.LBB97_148:                             ; =>This Inner Loop Header: Depth=1
	global_load_b64 v[4:5], v[6:7], off glc
	s_waitcnt vmcnt(0)
	v_and_b32_e32 v3, 0xff, v5
	s_delay_alu instid0(VALU_DEP_1) | instskip(SKIP_1) | instid1(SALU_CYCLE_1)
	v_cmp_ne_u16_e32 vcc_lo, 0, v3
	s_or_b32 s27, vcc_lo, s27
	s_and_not1_b32 exec_lo, exec_lo, s27
	s_cbranch_execnz .LBB97_148
; %bb.149:
	s_or_b32 exec_lo, exec_lo, s27
.LBB97_150:
	s_delay_alu instid0(SALU_CYCLE_1)
	s_or_b32 exec_lo, exec_lo, s26
	v_cmp_ne_u32_e32 vcc_lo, 31, v84
	v_and_b32_e32 v85, 0xffffff, v4
	v_and_b32_e32 v6, 0xff, v5
	v_lshlrev_b32_e64 v76, v84, -1
	v_add_nc_u32_e32 v77, 1, v84
	v_add_co_ci_u32_e32 v3, vcc_lo, 0, v84, vcc_lo
	s_delay_alu instid0(VALU_DEP_4) | instskip(SKIP_2) | instid1(VALU_DEP_4)
	v_cmp_eq_u16_e32 vcc_lo, 2, v6
	v_lshrrev_b32_e32 v6, 16, v4
	v_bfe_u32 v7, v4, 16, 8
	v_lshlrev_b32_e32 v75, 2, v3
	s_mov_b32 s26, exec_lo
	v_and_or_b32 v3, vcc_lo, v76, 0x80000000
	ds_bpermute_b32 v78, v75, v85
	v_ctz_i32_b32_e32 v3, v3
	s_delay_alu instid0(VALU_DEP_1)
	v_cmpx_le_u32_e64 v77, v3
	s_cbranch_execz .LBB97_152
; %bb.151:
	v_and_b32_e32 v6, 0xff0000, v4
	s_waitcnt lgkmcnt(0)
	v_lshrrev_b32_e32 v7, 16, v78
	v_add_f16_e32 v78, v4, v78
	s_delay_alu instid0(VALU_DEP_3) | instskip(SKIP_1) | instid1(VALU_DEP_3)
	v_and_b32_e32 v79, 0x10000, v6
	v_cmp_eq_u32_e32 vcc_lo, 0, v6
	v_dual_cndmask_b32 v4, v4, v78 :: v_dual_and_b32 v7, 1, v7
	s_delay_alu instid0(VALU_DEP_3) | instskip(NEXT) | instid1(VALU_DEP_2)
	v_cmp_ne_u32_e32 vcc_lo, 0, v79
	v_cndmask_b32_e64 v6, v7, 1, vcc_lo
	s_delay_alu instid0(VALU_DEP_3) | instskip(NEXT) | instid1(VALU_DEP_2)
	v_and_b32_e32 v7, 0xffff, v4
	v_lshlrev_b32_e32 v78, 16, v6
	s_delay_alu instid0(VALU_DEP_1)
	v_or_b32_e32 v85, v78, v7
	v_mov_b32_e32 v7, v6
.LBB97_152:
	s_or_b32 exec_lo, exec_lo, s26
	v_cmp_gt_u32_e32 vcc_lo, 30, v84
	v_add_nc_u32_e32 v79, 2, v84
	s_mov_b32 s26, exec_lo
	s_waitcnt lgkmcnt(0)
	v_cndmask_b32_e64 v78, 0, 1, vcc_lo
	s_delay_alu instid0(VALU_DEP_1) | instskip(NEXT) | instid1(VALU_DEP_1)
	v_lshlrev_b32_e32 v78, 1, v78
	v_add_lshl_u32 v78, v78, v84, 2
	ds_bpermute_b32 v80, v78, v85
	v_cmpx_le_u32_e64 v79, v3
	s_cbranch_execz .LBB97_154
; %bb.153:
	s_waitcnt lgkmcnt(0)
	v_lshrrev_b32_e32 v6, 16, v80
	v_add_f16_e32 v80, v4, v80
	v_cmp_eq_u16_e32 vcc_lo, 0, v7
	v_and_b32_e32 v81, 1, v7
	s_delay_alu instid0(VALU_DEP_4) | instskip(NEXT) | instid1(VALU_DEP_4)
	v_and_b32_e32 v6, 1, v6
	v_cndmask_b32_e32 v4, v4, v80, vcc_lo
	s_delay_alu instid0(VALU_DEP_3) | instskip(NEXT) | instid1(VALU_DEP_2)
	v_cmp_eq_u32_e32 vcc_lo, 1, v81
	v_and_b32_e32 v7, 0xffff, v4
	s_delay_alu instid0(VALU_DEP_4) | instskip(NEXT) | instid1(VALU_DEP_1)
	v_cndmask_b32_e64 v6, v6, 1, vcc_lo
	v_lshlrev_b32_e32 v80, 16, v6
	s_delay_alu instid0(VALU_DEP_1)
	v_or_b32_e32 v85, v80, v7
	v_mov_b32_e32 v7, v6
.LBB97_154:
	s_or_b32 exec_lo, exec_lo, s26
	v_cmp_gt_u32_e32 vcc_lo, 28, v84
	v_add_nc_u32_e32 v81, 4, v84
	s_mov_b32 s26, exec_lo
	s_waitcnt lgkmcnt(0)
	v_cndmask_b32_e64 v80, 0, 1, vcc_lo
	s_delay_alu instid0(VALU_DEP_1) | instskip(NEXT) | instid1(VALU_DEP_1)
	v_lshlrev_b32_e32 v80, 2, v80
	v_add_lshl_u32 v80, v80, v84, 2
	ds_bpermute_b32 v82, v80, v85
	v_cmpx_le_u32_e64 v81, v3
	s_cbranch_execz .LBB97_156
; %bb.155:
	s_waitcnt lgkmcnt(0)
	v_lshrrev_b32_e32 v6, 16, v82
	v_add_f16_e32 v82, v4, v82
	v_cmp_eq_u16_e32 vcc_lo, 0, v7
	v_and_b32_e32 v83, 1, v7
	s_delay_alu instid0(VALU_DEP_4) | instskip(NEXT) | instid1(VALU_DEP_4)
	v_and_b32_e32 v6, 1, v6
	v_cndmask_b32_e32 v4, v4, v82, vcc_lo
	s_delay_alu instid0(VALU_DEP_3) | instskip(NEXT) | instid1(VALU_DEP_2)
	v_cmp_eq_u32_e32 vcc_lo, 1, v83
	v_and_b32_e32 v7, 0xffff, v4
	s_delay_alu instid0(VALU_DEP_4) | instskip(NEXT) | instid1(VALU_DEP_1)
	v_cndmask_b32_e64 v6, v6, 1, vcc_lo
	v_lshlrev_b32_e32 v82, 16, v6
	s_delay_alu instid0(VALU_DEP_1)
	v_or_b32_e32 v85, v82, v7
	v_mov_b32_e32 v7, v6
.LBB97_156:
	s_or_b32 exec_lo, exec_lo, s26
	v_cmp_gt_u32_e32 vcc_lo, 24, v84
	v_add_nc_u32_e32 v83, 8, v84
	s_mov_b32 s26, exec_lo
	s_waitcnt lgkmcnt(0)
	v_cndmask_b32_e64 v82, 0, 1, vcc_lo
	s_delay_alu instid0(VALU_DEP_1) | instskip(NEXT) | instid1(VALU_DEP_1)
	v_lshlrev_b32_e32 v82, 3, v82
	v_add_lshl_u32 v82, v82, v84, 2
	ds_bpermute_b32 v86, v82, v85
	v_cmpx_le_u32_e64 v83, v3
	s_cbranch_execz .LBB97_158
; %bb.157:
	s_waitcnt lgkmcnt(0)
	v_lshrrev_b32_e32 v6, 16, v86
	v_add_f16_e32 v85, v4, v86
	v_and_b32_e32 v86, 1, v7
	v_cmp_eq_u16_e32 vcc_lo, 0, v7
	s_delay_alu instid0(VALU_DEP_4) | instskip(NEXT) | instid1(VALU_DEP_4)
	v_and_b32_e32 v6, 1, v6
	v_cndmask_b32_e32 v4, v4, v85, vcc_lo
	s_delay_alu instid0(VALU_DEP_4) | instskip(NEXT) | instid1(VALU_DEP_3)
	v_cmp_eq_u32_e32 vcc_lo, 1, v86
	v_cndmask_b32_e64 v6, v6, 1, vcc_lo
	s_delay_alu instid0(VALU_DEP_1) | instskip(NEXT) | instid1(VALU_DEP_4)
	v_lshlrev_b32_e32 v85, 16, v6
	v_and_b32_e32 v7, 0xffff, v4
	s_delay_alu instid0(VALU_DEP_1)
	v_or_b32_e32 v85, v85, v7
	v_mov_b32_e32 v7, v6
.LBB97_158:
	s_or_b32 exec_lo, exec_lo, s26
	v_cmp_gt_u32_e32 vcc_lo, 16, v84
	v_add_nc_u32_e32 v87, 16, v84
	s_mov_b32 s26, exec_lo
	s_waitcnt lgkmcnt(0)
	v_cndmask_b32_e64 v86, 0, 1, vcc_lo
	s_delay_alu instid0(VALU_DEP_1) | instskip(NEXT) | instid1(VALU_DEP_1)
	v_lshlrev_b32_e32 v86, 4, v86
	v_add_lshl_u32 v86, v86, v84, 2
	ds_bpermute_b32 v85, v86, v85
	v_cmpx_le_u32_e64 v87, v3
	s_cbranch_execz .LBB97_160
; %bb.159:
	s_waitcnt lgkmcnt(0)
	v_lshrrev_b32_e32 v3, 16, v85
	v_add_f16_e32 v6, v4, v85
	v_and_b32_e32 v84, 1, v7
	v_cmp_eq_u16_e32 vcc_lo, 0, v7
	s_delay_alu instid0(VALU_DEP_3) | instskip(NEXT) | instid1(VALU_DEP_3)
	v_dual_cndmask_b32 v4, v4, v6 :: v_dual_and_b32 v3, 1, v3
	v_cmp_eq_u32_e32 vcc_lo, 1, v84
	s_delay_alu instid0(VALU_DEP_2)
	v_cndmask_b32_e64 v6, v3, 1, vcc_lo
.LBB97_160:
	s_or_b32 exec_lo, exec_lo, s26
	v_mov_b32_e32 v3, 0
	s_branch .LBB97_162
.LBB97_161:                             ;   in Loop: Header=BB97_162 Depth=1
                                        ; implicit-def: $vgpr6
                                        ; implicit-def: $vgpr4
	s_cbranch_execnz .LBB97_178
.LBB97_162:                             ; =>This Loop Header: Depth=1
                                        ;     Child Loop BB97_165 Depth 2
	s_delay_alu instid0(VALU_DEP_1) | instskip(SKIP_2) | instid1(VALU_DEP_2)
	v_dual_mov_b32 v84, v6 :: v_dual_and_b32 v5, 0xff, v5
	s_waitcnt lgkmcnt(0)
	v_mov_b32_e32 v85, v4
	v_cmp_ne_u16_e32 vcc_lo, 2, v5
	v_cndmask_b32_e64 v5, 0, 1, vcc_lo
	;;#ASMSTART
	;;#ASMEND
	s_delay_alu instid0(VALU_DEP_1)
	v_cmp_ne_u32_e32 vcc_lo, 0, v5
	s_cmp_lg_u32 vcc_lo, exec_lo
	s_cbranch_scc1 .LBB97_161
; %bb.163:                              ;   in Loop: Header=BB97_162 Depth=1
	v_lshlrev_b64 v[4:5], 3, v[2:3]
	s_mov_b32 s26, exec_lo
	s_delay_alu instid0(VALU_DEP_1) | instskip(NEXT) | instid1(VALU_DEP_2)
	v_add_co_u32 v6, vcc_lo, s36, v4
	v_add_co_ci_u32_e32 v7, vcc_lo, s37, v5, vcc_lo
	global_load_b64 v[4:5], v[6:7], off glc
	s_waitcnt vmcnt(0)
	v_and_b32_e32 v88, 0xff, v5
	s_delay_alu instid0(VALU_DEP_1)
	v_cmpx_eq_u16_e32 0, v88
	s_cbranch_execz .LBB97_167
; %bb.164:                              ;   in Loop: Header=BB97_162 Depth=1
	s_mov_b32 s27, 0
.LBB97_165:                             ;   Parent Loop BB97_162 Depth=1
                                        ; =>  This Inner Loop Header: Depth=2
	global_load_b64 v[4:5], v[6:7], off glc
	s_waitcnt vmcnt(0)
	v_and_b32_e32 v88, 0xff, v5
	s_delay_alu instid0(VALU_DEP_1) | instskip(SKIP_1) | instid1(SALU_CYCLE_1)
	v_cmp_ne_u16_e32 vcc_lo, 0, v88
	s_or_b32 s27, vcc_lo, s27
	s_and_not1_b32 exec_lo, exec_lo, s27
	s_cbranch_execnz .LBB97_165
; %bb.166:                              ;   in Loop: Header=BB97_162 Depth=1
	s_or_b32 exec_lo, exec_lo, s27
.LBB97_167:                             ;   in Loop: Header=BB97_162 Depth=1
	s_delay_alu instid0(SALU_CYCLE_1)
	s_or_b32 exec_lo, exec_lo, s26
	v_and_b32_e32 v89, 0xffffff, v4
	v_and_b32_e32 v6, 0xff, v5
	v_lshrrev_b32_e32 v7, 16, v4
	v_bfe_u32 v88, v4, 16, 8
	s_mov_b32 s26, exec_lo
	ds_bpermute_b32 v90, v75, v89
	v_cmp_eq_u16_e32 vcc_lo, 2, v6
	v_and_or_b32 v6, vcc_lo, v76, 0x80000000
	s_delay_alu instid0(VALU_DEP_1) | instskip(NEXT) | instid1(VALU_DEP_1)
	v_ctz_i32_b32_e32 v6, v6
	v_cmpx_le_u32_e64 v77, v6
	s_cbranch_execz .LBB97_169
; %bb.168:                              ;   in Loop: Header=BB97_162 Depth=1
	s_waitcnt lgkmcnt(0)
	v_add_f16_e32 v89, v4, v90
	v_and_b32_e32 v7, 0xff0000, v4
	v_lshrrev_b32_e32 v88, 16, v90
	s_delay_alu instid0(VALU_DEP_2) | instskip(NEXT) | instid1(VALU_DEP_2)
	v_cmp_eq_u32_e32 vcc_lo, 0, v7
	v_and_b32_e32 v88, 1, v88
	v_cndmask_b32_e32 v4, v4, v89, vcc_lo
	v_and_b32_e32 v90, 0x10000, v7
	s_delay_alu instid0(VALU_DEP_1) | instskip(NEXT) | instid1(VALU_DEP_4)
	v_cmp_ne_u32_e32 vcc_lo, 0, v90
	v_cndmask_b32_e64 v7, v88, 1, vcc_lo
	s_delay_alu instid0(VALU_DEP_4) | instskip(NEXT) | instid1(VALU_DEP_2)
	v_and_b32_e32 v88, 0xffff, v4
	v_lshlrev_b32_e32 v89, 16, v7
	s_delay_alu instid0(VALU_DEP_1)
	v_or_b32_e32 v89, v89, v88
	v_mov_b32_e32 v88, v7
.LBB97_169:                             ;   in Loop: Header=BB97_162 Depth=1
	s_or_b32 exec_lo, exec_lo, s26
	s_waitcnt lgkmcnt(0)
	ds_bpermute_b32 v90, v78, v89
	s_mov_b32 s26, exec_lo
	v_cmpx_le_u32_e64 v79, v6
	s_cbranch_execz .LBB97_171
; %bb.170:                              ;   in Loop: Header=BB97_162 Depth=1
	s_waitcnt lgkmcnt(0)
	v_lshrrev_b32_e32 v7, 16, v90
	v_add_f16_e32 v89, v4, v90
	v_and_b32_e32 v90, 1, v88
	v_cmp_eq_u16_e32 vcc_lo, 0, v88
	s_delay_alu instid0(VALU_DEP_3) | instskip(NEXT) | instid1(VALU_DEP_3)
	v_dual_cndmask_b32 v4, v4, v89 :: v_dual_and_b32 v7, 1, v7
	v_cmp_eq_u32_e32 vcc_lo, 1, v90
	s_delay_alu instid0(VALU_DEP_2) | instskip(NEXT) | instid1(VALU_DEP_3)
	v_and_b32_e32 v88, 0xffff, v4
	v_cndmask_b32_e64 v7, v7, 1, vcc_lo
	s_delay_alu instid0(VALU_DEP_1) | instskip(NEXT) | instid1(VALU_DEP_1)
	v_lshlrev_b32_e32 v89, 16, v7
	v_or_b32_e32 v89, v89, v88
	v_mov_b32_e32 v88, v7
.LBB97_171:                             ;   in Loop: Header=BB97_162 Depth=1
	s_or_b32 exec_lo, exec_lo, s26
	s_waitcnt lgkmcnt(0)
	ds_bpermute_b32 v90, v80, v89
	s_mov_b32 s26, exec_lo
	v_cmpx_le_u32_e64 v81, v6
	s_cbranch_execz .LBB97_173
; %bb.172:                              ;   in Loop: Header=BB97_162 Depth=1
	s_waitcnt lgkmcnt(0)
	v_lshrrev_b32_e32 v7, 16, v90
	v_add_f16_e32 v89, v4, v90
	v_and_b32_e32 v90, 1, v88
	v_cmp_eq_u16_e32 vcc_lo, 0, v88
	s_delay_alu instid0(VALU_DEP_3) | instskip(NEXT) | instid1(VALU_DEP_3)
	v_dual_cndmask_b32 v4, v4, v89 :: v_dual_and_b32 v7, 1, v7
	v_cmp_eq_u32_e32 vcc_lo, 1, v90
	s_delay_alu instid0(VALU_DEP_2) | instskip(NEXT) | instid1(VALU_DEP_3)
	v_and_b32_e32 v88, 0xffff, v4
	v_cndmask_b32_e64 v7, v7, 1, vcc_lo
	s_delay_alu instid0(VALU_DEP_1) | instskip(NEXT) | instid1(VALU_DEP_1)
	v_lshlrev_b32_e32 v89, 16, v7
	v_or_b32_e32 v89, v89, v88
	v_mov_b32_e32 v88, v7
.LBB97_173:                             ;   in Loop: Header=BB97_162 Depth=1
	;; [unrolled: 23-line block ×3, first 2 shown]
	s_or_b32 exec_lo, exec_lo, s26
	ds_bpermute_b32 v89, v86, v89
	s_mov_b32 s26, exec_lo
	v_cmpx_le_u32_e64 v87, v6
	s_cbranch_execz .LBB97_177
; %bb.176:                              ;   in Loop: Header=BB97_162 Depth=1
	s_waitcnt lgkmcnt(0)
	v_add_f16_e32 v6, v4, v89
	v_cmp_eq_u16_e32 vcc_lo, 0, v88
	v_and_b32_e32 v7, 1, v88
	v_lshrrev_b32_e32 v89, 16, v89
	s_delay_alu instid0(VALU_DEP_4) | instskip(NEXT) | instid1(VALU_DEP_3)
	v_cndmask_b32_e32 v4, v4, v6, vcc_lo
	v_cmp_eq_u32_e32 vcc_lo, 1, v7
	s_delay_alu instid0(VALU_DEP_3)
	v_cndmask_b32_e64 v7, v89, 1, vcc_lo
.LBB97_177:                             ;   in Loop: Header=BB97_162 Depth=1
	s_or_b32 exec_lo, exec_lo, s26
	v_and_b32_e32 v6, 0xff, v84
	v_add_f16_e32 v4, v85, v4
	v_and_b32_e32 v88, 1, v84
	v_subrev_nc_u32_e32 v2, 32, v2
	s_delay_alu instid0(VALU_DEP_4) | instskip(NEXT) | instid1(VALU_DEP_4)
	v_cmp_eq_u16_e32 vcc_lo, 0, v6
	v_dual_cndmask_b32 v4, v85, v4 :: v_dual_and_b32 v7, 1, v7
	s_delay_alu instid0(VALU_DEP_4) | instskip(NEXT) | instid1(VALU_DEP_2)
	v_cmp_eq_u32_e32 vcc_lo, 1, v88
	v_cndmask_b32_e64 v6, v7, 1, vcc_lo
	s_branch .LBB97_162
.LBB97_178:
	s_and_saveexec_b32 s26, s24
	s_cbranch_execz .LBB97_180
; %bb.179:
	v_and_b32_e32 v2, 1, v84
	v_and_b32_e32 v3, 0xff0000, v1
	v_add_f16_e32 v4, v1, v85
	s_mov_b32 s35, 0
	s_add_i32 s34, s15, 32
	s_delay_alu instid0(VALU_DEP_2)
	v_cmp_eq_u32_e32 vcc_lo, 0, v3
	v_dual_mov_b32 v3, 0 :: v_dual_lshlrev_b32 v2, 16, v2
	v_and_b32_e32 v5, 0x10000, v1
	s_lshl_b64 s[34:35], s[34:35], 3
	v_cndmask_b32_e32 v1, v1, v4, vcc_lo
	s_add_u32 s34, s36, s34
	s_addc_u32 s35, s37, s35
	v_cmp_eq_u32_e32 vcc_lo, 0, v5
	s_delay_alu instid0(VALU_DEP_2) | instskip(SKIP_1) | instid1(VALU_DEP_1)
	v_and_b32_e32 v1, 0xffff, v1
	v_cndmask_b32_e32 v2, 0x10000, v2, vcc_lo
	v_or_b32_e32 v1, v2, v1
	v_mov_b32_e32 v2, 2
	global_store_b64 v3, v[1:2], s[34:35]
.LBB97_180:
	s_or_b32 exec_lo, exec_lo, s26
	s_delay_alu instid0(SALU_CYCLE_1)
	s_and_b32 exec_lo, exec_lo, s23
	s_cbranch_execz .LBB97_182
; %bb.181:
	v_mov_b32_e32 v1, 0
	ds_store_b16 v1, v85
	ds_store_b8 v1, v84 offset:2
.LBB97_182:
	s_or_b32 exec_lo, exec_lo, s25
	s_waitcnt lgkmcnt(0)
	v_dual_mov_b32 v1, 0 :: v_dual_and_b32 v2, 0xff, v70
	s_waitcnt_vscnt null, 0x0
	s_barrier
	buffer_gl0_inv
	ds_load_b32 v1, v1
	v_cmp_eq_u16_e32 vcc_lo, 0, v2
	s_waitcnt lgkmcnt(0)
	v_add_f16_e32 v3, v69, v1
	s_delay_alu instid0(VALU_DEP_1) | instskip(NEXT) | instid1(VALU_DEP_1)
	v_cndmask_b32_e32 v2, v69, v3, vcc_lo
	v_cndmask_b32_e64 v2, v2, v1, s23
	v_and_b32_e32 v1, 0xff, v33
	s_delay_alu instid0(VALU_DEP_2) | instskip(NEXT) | instid1(VALU_DEP_2)
	v_add_f16_e32 v3, v34, v2
	v_cmp_eq_u16_e32 vcc_lo, 0, v1
	s_delay_alu instid0(VALU_DEP_2) | instskip(NEXT) | instid1(VALU_DEP_1)
	v_cndmask_b32_e32 v3, v34, v3, vcc_lo
	v_add_f16_e32 v1, v3, v29
	s_delay_alu instid0(VALU_DEP_1) | instskip(NEXT) | instid1(VALU_DEP_1)
	v_cndmask_b32_e64 v4, v29, v1, s2
	v_add_f16_e32 v1, v4, v35
	s_delay_alu instid0(VALU_DEP_1) | instskip(NEXT) | instid1(VALU_DEP_1)
	v_cndmask_b32_e64 v5, v35, v1, s3
	;; [unrolled: 3-line block ×19, first 2 shown]
	v_add_f16_e32 v1, v88, v27
	s_delay_alu instid0(VALU_DEP_1)
	v_cndmask_b32_e64 v1, v27, v1, s22
	s_branch .LBB97_231
.LBB97_183:
	s_or_b32 exec_lo, exec_lo, s24
                                        ; implicit-def: $vgpr28
	s_and_saveexec_b32 s24, s2
	s_cbranch_execz .LBB97_49
.LBB97_184:
	global_load_u16 v28, v[21:22], off offset:128
	s_or_b32 exec_lo, exec_lo, s24
                                        ; implicit-def: $vgpr29
	s_and_saveexec_b32 s2, s3
	s_cbranch_execnz .LBB97_50
.LBB97_185:
	s_or_b32 exec_lo, exec_lo, s2
                                        ; implicit-def: $vgpr30
	s_and_saveexec_b32 s2, s4
	s_cbranch_execz .LBB97_51
.LBB97_186:
	global_load_u16 v30, v[21:22], off offset:384
	s_or_b32 exec_lo, exec_lo, s2
                                        ; implicit-def: $vgpr31
	s_and_saveexec_b32 s2, s5
	s_cbranch_execnz .LBB97_52
.LBB97_187:
	s_or_b32 exec_lo, exec_lo, s2
                                        ; implicit-def: $vgpr32
	s_and_saveexec_b32 s2, s6
	s_cbranch_execz .LBB97_53
.LBB97_188:
	global_load_u16 v32, v[21:22], off offset:640
	s_or_b32 exec_lo, exec_lo, s2
                                        ; implicit-def: $vgpr33
	s_and_saveexec_b32 s2, s7
	s_cbranch_execnz .LBB97_54
.LBB97_189:
	s_or_b32 exec_lo, exec_lo, s2
                                        ; implicit-def: $vgpr34
	s_and_saveexec_b32 s2, s8
	s_cbranch_execz .LBB97_55
.LBB97_190:
	global_load_u16 v34, v[21:22], off offset:896
	s_or_b32 exec_lo, exec_lo, s2
                                        ; implicit-def: $vgpr35
	s_and_saveexec_b32 s2, s9
	s_cbranch_execnz .LBB97_56
.LBB97_191:
	s_or_b32 exec_lo, exec_lo, s2
                                        ; implicit-def: $vgpr36
	s_and_saveexec_b32 s2, s10
	s_cbranch_execz .LBB97_57
.LBB97_192:
	global_load_u16 v36, v[21:22], off offset:1152
	s_or_b32 exec_lo, exec_lo, s2
                                        ; implicit-def: $vgpr37
	s_and_saveexec_b32 s2, s11
	s_cbranch_execnz .LBB97_58
.LBB97_193:
	s_or_b32 exec_lo, exec_lo, s2
                                        ; implicit-def: $vgpr38
	s_and_saveexec_b32 s2, s12
	s_cbranch_execz .LBB97_59
.LBB97_194:
	global_load_u16 v38, v[21:22], off offset:1408
	s_or_b32 exec_lo, exec_lo, s2
                                        ; implicit-def: $vgpr39
	s_and_saveexec_b32 s2, s13
	s_cbranch_execnz .LBB97_60
.LBB97_195:
	s_or_b32 exec_lo, exec_lo, s2
                                        ; implicit-def: $vgpr40
	s_and_saveexec_b32 s2, s14
	s_cbranch_execz .LBB97_61
.LBB97_196:
	global_load_u16 v40, v[21:22], off offset:1664
	s_or_b32 exec_lo, exec_lo, s2
                                        ; implicit-def: $vgpr41
	s_and_saveexec_b32 s2, s16
	s_cbranch_execnz .LBB97_62
.LBB97_197:
	s_or_b32 exec_lo, exec_lo, s2
                                        ; implicit-def: $vgpr42
	s_and_saveexec_b32 s2, s17
	s_cbranch_execz .LBB97_63
.LBB97_198:
	global_load_u16 v42, v[21:22], off offset:1920
	s_or_b32 exec_lo, exec_lo, s2
                                        ; implicit-def: $vgpr43
	s_and_saveexec_b32 s2, s18
	s_cbranch_execnz .LBB97_64
.LBB97_199:
	s_or_b32 exec_lo, exec_lo, s2
                                        ; implicit-def: $vgpr44
	s_and_saveexec_b32 s2, s19
	s_cbranch_execz .LBB97_65
.LBB97_200:
	global_load_u16 v44, v[21:22], off offset:2176
	s_or_b32 exec_lo, exec_lo, s2
                                        ; implicit-def: $vgpr45
	s_and_saveexec_b32 s2, s20
	s_cbranch_execnz .LBB97_66
.LBB97_201:
	s_or_b32 exec_lo, exec_lo, s2
                                        ; implicit-def: $vgpr46
	s_and_saveexec_b32 s2, s21
	s_cbranch_execz .LBB97_67
.LBB97_202:
	global_load_u16 v46, v[21:22], off offset:2432
	s_or_b32 exec_lo, exec_lo, s2
                                        ; implicit-def: $vgpr47
	s_and_saveexec_b32 s2, s22
	s_cbranch_execz .LBB97_69
	s_branch .LBB97_68
.LBB97_203:
                                        ; implicit-def: $vgpr1
                                        ; implicit-def: $vgpr88
                                        ; implicit-def: $vgpr2
                                        ; implicit-def: $vgpr89
                                        ; implicit-def: $vgpr87
                                        ; implicit-def: $vgpr3
                                        ; implicit-def: $vgpr86
                                        ; implicit-def: $vgpr84
                                        ; implicit-def: $vgpr4
                                        ; implicit-def: $vgpr85
                                        ; implicit-def: $vgpr83
                                        ; implicit-def: $vgpr5
                                        ; implicit-def: $vgpr82
                                        ; implicit-def: $vgpr80
                                        ; implicit-def: $vgpr69
                                        ; implicit-def: $vgpr81
                                        ; implicit-def: $vgpr79
                                        ; implicit-def: $vgpr70
                                        ; implicit-def: $vgpr78
                                        ; implicit-def: $vgpr76
                                        ; implicit-def: $vgpr75
                                        ; implicit-def: $vgpr77
	s_cbranch_execz .LBB97_231
; %bb.204:
	v_mov_b32_e32 v1, s44
	s_cmp_eq_u64 s[30:31], 0
	s_cbranch_scc1 .LBB97_206
; %bb.205:
	v_mov_b32_e32 v1, 0
	global_load_u16 v1, v1, s[30:31]
.LBB97_206:
	v_cmp_eq_u16_e32 vcc_lo, 0, v74
	v_cmp_eq_u16_e64 s2, 0, v73
	v_cmp_eq_u16_e64 s3, 0, v71
	;; [unrolled: 1-line block ×4, first 2 shown]
	v_cndmask_b32_e32 v2, v29, v72, vcc_lo
	v_cmp_eq_u16_e64 s6, 0, v26
	v_cmp_eq_u16_e64 s7, 0, v25
	;; [unrolled: 1-line block ×4, first 2 shown]
	v_add_f16_e32 v2, v2, v35
	v_cmp_eq_u16_e64 s10, 0, v22
	v_cmp_eq_u16_e64 s11, 0, v21
	v_or_b32_e32 v3, v20, v49
	v_cmp_eq_u16_e64 s12, 0, v19
	v_cndmask_b32_e64 v2, v35, v2, s2
	v_cmp_eq_u16_e64 s14, 0, v18
	v_cmp_eq_u16_e64 s15, 0, v17
	v_or_b32_e32 v3, v3, v50
	v_cmp_eq_u16_e64 s16, 0, v16
	v_add_f16_e32 v2, v2, v36
	v_cmp_eq_u16_e64 s17, 0, v15
	v_cmp_eq_u16_e64 s18, 0, v14
	v_or_b32_e32 v3, v3, v54
	v_cmp_eq_u16_e64 s19, 0, v13
	v_cndmask_b32_e64 v2, v36, v2, s3
	v_cmp_eq_u16_e64 s20, 0, v12
	v_cmp_eq_u16_e64 s13, 0, v11
	v_or_b32_e32 v3, v3, v53
	v_cmp_eq_u16_e64 s21, 0, v9
	v_add_f16_e32 v2, v2, v37
	v_add_lshl_u32 v5, v10, v0, 2
	s_mov_b32 s25, exec_lo
	v_or_b32_e32 v3, v3, v57
	s_delay_alu instid0(VALU_DEP_3) | instskip(NEXT) | instid1(VALU_DEP_2)
	v_cndmask_b32_e64 v2, v37, v2, s4
	v_or_b32_e32 v3, v3, v55
	s_delay_alu instid0(VALU_DEP_2) | instskip(NEXT) | instid1(VALU_DEP_2)
	v_add_f16_e32 v2, v2, v41
	v_or_b32_e32 v3, v3, v56
	s_delay_alu instid0(VALU_DEP_2) | instskip(NEXT) | instid1(VALU_DEP_2)
	v_cndmask_b32_e64 v2, v41, v2, s5
	v_or_b32_e32 v3, v3, v52
	s_delay_alu instid0(VALU_DEP_2) | instskip(NEXT) | instid1(VALU_DEP_2)
	v_add_f16_e32 v2, v2, v45
	v_or_b32_e32 v3, v3, v51
	s_delay_alu instid0(VALU_DEP_2) | instskip(NEXT) | instid1(VALU_DEP_2)
	;; [unrolled: 6-line block ×6, first 2 shown]
	v_cndmask_b32_e64 v2, v59, v2, s10
	v_or_b32_e32 v3, v3, v38
	s_delay_alu instid0(VALU_DEP_2) | instskip(NEXT) | instid1(VALU_DEP_2)
	v_add_f16_e32 v2, v2, v61
	v_and_b32_e32 v4, 1, v3
	s_delay_alu instid0(VALU_DEP_2) | instskip(NEXT) | instid1(VALU_DEP_1)
	v_cndmask_b32_e64 v2, v61, v2, s11
	v_add_f16_e32 v2, v2, v62
	s_delay_alu instid0(VALU_DEP_1) | instskip(NEXT) | instid1(VALU_DEP_1)
	v_cndmask_b32_e64 v2, v62, v2, s12
	v_add_f16_e32 v2, v2, v63
	s_delay_alu instid0(VALU_DEP_1) | instskip(NEXT) | instid1(VALU_DEP_1)
	;; [unrolled: 3-line block ×9, first 2 shown]
	v_cndmask_b32_e64 v2, v27, v2, s13
	v_add_f16_e32 v2, v2, v8
	s_delay_alu instid0(VALU_DEP_1) | instskip(SKIP_1) | instid1(VALU_DEP_1)
	v_cndmask_b32_e64 v3, v8, v2, s21
	v_cmp_eq_u32_e64 s21, 1, v4
	v_cndmask_b32_e64 v2, v33, 1, s21
	ds_store_b16 v5, v3
	ds_store_b8 v5, v2 offset:2
	s_waitcnt vmcnt(0) lgkmcnt(0)
	s_barrier
	buffer_gl0_inv
	v_cmpx_gt_u32_e32 32, v0
	s_cbranch_execz .LBB97_222
; %bb.207:
	v_lshrrev_b32_e32 v4, 2, v0
                                        ; implicit-def: $vgpr5
                                        ; implicit-def: $vgpr10
	s_delay_alu instid0(VALU_DEP_1) | instskip(NEXT) | instid1(VALU_DEP_1)
	v_and_b32_e32 v4, 12, v4
	v_lshl_or_b32 v4, v0, 3, v4
	ds_load_u8 v8, v4 offset:6
	ds_load_b32 v6, v4
	s_waitcnt lgkmcnt(1)
	v_cmp_eq_u16_e64 s21, 0, v8
	v_cmp_ne_u16_e64 s22, 0, v8
	s_delay_alu instid0(VALU_DEP_1) | instskip(NEXT) | instid1(SALU_CYCLE_1)
	s_and_saveexec_b32 s23, s22
	s_xor_b32 s22, exec_lo, s23
	s_cbranch_execz .LBB97_209
; %bb.208:
	ds_load_u16 v5, v4 offset:4
	s_waitcnt lgkmcnt(0)
	v_mov_b32_e32 v10, v5
.LBB97_209:
	s_or_saveexec_b32 s22, s22
	s_delay_alu instid0(VALU_DEP_1)
	v_dual_mov_b32 v7, v10 :: v_dual_mov_b32 v12, v5
	s_xor_b32 exec_lo, exec_lo, s22
	s_cbranch_execz .LBB97_211
; %bb.210:
	ds_load_u16 v7, v4 offset:4
	s_waitcnt lgkmcnt(0)
	v_add_f16_e32 v10, v7, v6
	s_delay_alu instid0(VALU_DEP_1)
	v_dual_mov_b32 v5, v7 :: v_dual_mov_b32 v12, v10
.LBB97_211:
	s_or_b32 exec_lo, exec_lo, s22
	v_and_b32_e32 v11, 1, v8
	s_waitcnt lgkmcnt(0)
	v_and_b32_e32 v8, 0x10000, v6
	v_and_b32_e32 v9, 0xff000000, v6
	;; [unrolled: 1-line block ×3, first 2 shown]
	s_mov_b32 s24, exec_lo
	v_cmp_eq_u32_e64 s22, 1, v11
	v_mbcnt_lo_u32_b32 v11, -1, 0
	s_delay_alu instid0(VALU_DEP_2) | instskip(NEXT) | instid1(VALU_DEP_1)
	v_cndmask_b32_e64 v13, v8, 0x10000, s22
	v_or_b32_e32 v15, v13, v9
	v_or3_b32 v16, v9, v14, v13
	s_delay_alu instid0(VALU_DEP_4) | instskip(NEXT) | instid1(VALU_DEP_3)
	v_and_b32_e32 v14, 15, v11
	v_lshrrev_b32_e32 v13, 16, v15
	s_delay_alu instid0(VALU_DEP_3) | instskip(NEXT) | instid1(VALU_DEP_3)
	v_mov_b32_dpp v17, v16 row_shr:1 row_mask:0xf bank_mask:0xf
	v_cmpx_ne_u32_e32 0, v14
	s_cbranch_execz .LBB97_213
; %bb.212:
	s_delay_alu instid0(VALU_DEP_3) | instskip(NEXT) | instid1(VALU_DEP_3)
	v_and_b32_e32 v13, 0xff, v13
	v_lshrrev_b32_e32 v16, 16, v17
	v_add_f16_e32 v10, v10, v17
	v_and_b32_e32 v15, 0x10000, v15
	s_delay_alu instid0(VALU_DEP_4) | instskip(NEXT) | instid1(VALU_DEP_4)
	v_cmp_eq_u16_e64 s23, 0, v13
	v_and_b32_e32 v16, 1, v16
	s_delay_alu instid0(VALU_DEP_2) | instskip(NEXT) | instid1(VALU_DEP_4)
	v_cndmask_b32_e64 v12, v12, v10, s23
	v_cmp_ne_u32_e64 s23, 0, v15
	s_delay_alu instid0(VALU_DEP_2) | instskip(NEXT) | instid1(VALU_DEP_2)
	v_and_b32_e32 v10, 0xffff, v12
	v_cndmask_b32_e64 v13, v16, 1, s23
	s_delay_alu instid0(VALU_DEP_1) | instskip(NEXT) | instid1(VALU_DEP_1)
	v_lshlrev_b32_e32 v15, 16, v13
	v_or3_b32 v16, v15, v10, v9
	v_mov_b32_e32 v10, v12
.LBB97_213:
	s_or_b32 exec_lo, exec_lo, s24
	s_delay_alu instid0(VALU_DEP_2)
	v_lshrrev_b32_e32 v15, 16, v16
	v_mov_b32_dpp v17, v16 row_shr:2 row_mask:0xf bank_mask:0xf
	s_mov_b32 s24, exec_lo
	v_cmpx_lt_u32_e32 1, v14
	s_cbranch_execz .LBB97_215
; %bb.214:
	s_delay_alu instid0(VALU_DEP_2) | instskip(SKIP_3) | instid1(VALU_DEP_4)
	v_lshrrev_b32_e32 v13, 16, v17
	v_lshrrev_b32_e32 v15, 16, v16
	v_and_b32_e32 v16, 0x10000, v16
	v_add_f16_e32 v10, v10, v17
	v_and_b32_e32 v13, 1, v13
	s_delay_alu instid0(VALU_DEP_4) | instskip(NEXT) | instid1(VALU_DEP_4)
	v_and_b32_e32 v15, 0xff, v15
	v_cmp_ne_u32_e64 s23, 0, v16
	s_delay_alu instid0(VALU_DEP_1) | instskip(NEXT) | instid1(VALU_DEP_3)
	v_cndmask_b32_e64 v13, v13, 1, s23
	v_cmp_eq_u16_e64 s23, 0, v15
	s_delay_alu instid0(VALU_DEP_2) | instskip(NEXT) | instid1(VALU_DEP_2)
	v_lshlrev_b32_e32 v15, 16, v13
	v_cndmask_b32_e64 v10, v12, v10, s23
	s_delay_alu instid0(VALU_DEP_1) | instskip(SKIP_1) | instid1(VALU_DEP_1)
	v_mov_b32_e32 v12, v10
	v_and_b32_e32 v16, 0xffff, v10
	v_or3_b32 v16, v15, v16, v9
	v_mov_b32_e32 v15, v13
.LBB97_215:
	s_or_b32 exec_lo, exec_lo, s24
	s_delay_alu instid0(VALU_DEP_2)
	v_mov_b32_dpp v17, v16 row_shr:4 row_mask:0xf bank_mask:0xf
	s_mov_b32 s24, exec_lo
	v_cmpx_lt_u32_e32 3, v14
	s_cbranch_execz .LBB97_217
; %bb.216:
	v_and_b32_e32 v16, 0xff, v15
	v_add_f16_e32 v10, v10, v17
	v_lshrrev_b32_e32 v13, 16, v17
	s_delay_alu instid0(VALU_DEP_3) | instskip(NEXT) | instid1(VALU_DEP_2)
	v_cmp_eq_u16_e64 s23, 0, v16
	v_and_b32_e32 v13, 1, v13
	s_delay_alu instid0(VALU_DEP_2) | instskip(NEXT) | instid1(VALU_DEP_1)
	v_cndmask_b32_e64 v10, v12, v10, s23
	v_dual_mov_b32 v12, v10 :: v_dual_and_b32 v15, 1, v15
	s_delay_alu instid0(VALU_DEP_1) | instskip(SKIP_1) | instid1(VALU_DEP_2)
	v_cmp_eq_u32_e64 s23, 1, v15
	v_and_b32_e32 v15, 0xffff, v10
	v_cndmask_b32_e64 v13, v13, 1, s23
	s_delay_alu instid0(VALU_DEP_1) | instskip(NEXT) | instid1(VALU_DEP_1)
	v_lshlrev_b32_e32 v16, 16, v13
	v_or3_b32 v16, v16, v15, v9
	v_mov_b32_e32 v15, v13
.LBB97_217:
	s_or_b32 exec_lo, exec_lo, s24
	s_delay_alu instid0(VALU_DEP_2)
	v_mov_b32_dpp v17, v16 row_shr:8 row_mask:0xf bank_mask:0xf
	s_mov_b32 s24, exec_lo
	v_cmpx_lt_u32_e32 7, v14
	s_cbranch_execz .LBB97_219
; %bb.218:
	v_and_b32_e32 v14, 0xff, v15
	v_add_f16_e32 v10, v10, v17
	v_lshrrev_b32_e32 v13, 16, v17
	s_delay_alu instid0(VALU_DEP_3) | instskip(NEXT) | instid1(VALU_DEP_2)
	v_cmp_eq_u16_e64 s23, 0, v14
	v_and_b32_e32 v13, 1, v13
	s_delay_alu instid0(VALU_DEP_2) | instskip(NEXT) | instid1(VALU_DEP_1)
	v_cndmask_b32_e64 v10, v12, v10, s23
	v_dual_mov_b32 v12, v10 :: v_dual_and_b32 v15, 1, v15
	s_delay_alu instid0(VALU_DEP_1) | instskip(SKIP_1) | instid1(VALU_DEP_2)
	v_cmp_eq_u32_e64 s23, 1, v15
	v_and_b32_e32 v14, 0xffff, v10
	v_cndmask_b32_e64 v13, v13, 1, s23
	s_delay_alu instid0(VALU_DEP_1) | instskip(NEXT) | instid1(VALU_DEP_1)
	v_lshlrev_b32_e32 v15, 16, v13
	v_or3_b32 v16, v15, v14, v9
	v_mov_b32_e32 v15, v13
.LBB97_219:
	s_or_b32 exec_lo, exec_lo, s24
	ds_swizzle_b32 v14, v16 offset:swizzle(BROADCAST,32,15)
	v_and_b32_e32 v16, 16, v11
	s_mov_b32 s24, exec_lo
	s_delay_alu instid0(VALU_DEP_1)
	v_cmpx_ne_u32_e32 0, v16
	s_cbranch_execz .LBB97_221
; %bb.220:
	v_and_b32_e32 v16, 0xff, v15
	s_waitcnt lgkmcnt(0)
	v_lshrrev_b32_e32 v13, 16, v14
	v_add_f16_e32 v10, v10, v14
	v_and_b32_e32 v14, 1, v15
	v_cmp_eq_u16_e64 s23, 0, v16
	s_delay_alu instid0(VALU_DEP_4) | instskip(NEXT) | instid1(VALU_DEP_2)
	v_and_b32_e32 v13, 1, v13
	v_cndmask_b32_e64 v12, v12, v10, s23
	s_delay_alu instid0(VALU_DEP_4) | instskip(NEXT) | instid1(VALU_DEP_1)
	v_cmp_eq_u32_e64 s23, 1, v14
	v_cndmask_b32_e64 v13, v13, 1, s23
.LBB97_221:
	s_or_b32 exec_lo, exec_lo, s24
	s_delay_alu instid0(VALU_DEP_1) | instskip(SKIP_3) | instid1(VALU_DEP_4)
	v_and_b32_e32 v10, 0xff, v13
	v_add_nc_u32_e32 v13, -1, v11
	v_and_b32_e32 v12, 0xffff, v12
	v_cmp_eq_u32_e64 s24, 0, v8
	v_lshlrev_b32_e32 v10, 16, v10
	s_delay_alu instid0(VALU_DEP_4) | instskip(NEXT) | instid1(VALU_DEP_2)
	v_cmp_gt_i32_e64 s23, 0, v13
	v_or3_b32 v9, v10, v12, v9
	s_delay_alu instid0(VALU_DEP_2) | instskip(NEXT) | instid1(VALU_DEP_1)
	v_cndmask_b32_e64 v11, v13, v11, s23
	v_lshlrev_b32_e32 v10, 2, v11
	ds_bpermute_b32 v9, v10, v9
	v_and_b32_e32 v10, 0xff0000, v6
	s_delay_alu instid0(VALU_DEP_1) | instskip(SKIP_3) | instid1(VALU_DEP_2)
	v_cmp_eq_u32_e64 s23, 0, v10
	s_waitcnt lgkmcnt(0)
	v_add_f16_e32 v11, v6, v9
	v_lshrrev_b32_e32 v9, 16, v9
	v_cndmask_b32_e64 v6, v6, v11, s23
	v_cmp_eq_u32_e64 s23, 0, v0
	s_delay_alu instid0(VALU_DEP_3) | instskip(NEXT) | instid1(VALU_DEP_2)
	v_and_b32_e32 v9, 1, v9
	v_cndmask_b32_e64 v3, v6, v3, s23
	s_delay_alu instid0(VALU_DEP_2) | instskip(NEXT) | instid1(VALU_DEP_2)
	v_cndmask_b32_e64 v6, 1, v9, s24
	v_add_f16_e32 v7, v7, v3
	s_delay_alu instid0(VALU_DEP_2) | instskip(NEXT) | instid1(VALU_DEP_2)
	v_cndmask_b32_e64 v2, v6, v2, s23
	v_cndmask_b32_e64 v5, v5, v7, s21
	s_delay_alu instid0(VALU_DEP_2)
	v_cndmask_b32_e64 v6, v2, 1, s22
	ds_store_b16 v4, v3
	ds_store_b8 v4, v2 offset:2
	ds_store_b16 v4, v5 offset:4
	ds_store_b8 v4, v6 offset:6
.LBB97_222:
	s_or_b32 exec_lo, exec_lo, s25
	v_cmp_eq_u32_e64 s21, 0, v0
	v_mov_b32_e32 v2, v1
	s_mov_b32 s23, exec_lo
	s_waitcnt lgkmcnt(0)
	s_barrier
	buffer_gl0_inv
	v_cmpx_ne_u32_e32 0, v0
	s_cbranch_execz .LBB97_228
; %bb.223:
	v_add_nc_u32_e32 v2, -1, v0
	s_delay_alu instid0(VALU_DEP_1) | instskip(NEXT) | instid1(VALU_DEP_1)
	v_lshrrev_b32_e32 v3, 5, v2
	v_add_lshl_u32 v3, v3, v2, 2
	ds_load_u8 v2, v3 offset:2
	s_waitcnt lgkmcnt(0)
	v_cmp_ne_u16_e64 s22, 0, v2
                                        ; implicit-def: $vgpr2
	s_delay_alu instid0(VALU_DEP_1) | instskip(NEXT) | instid1(SALU_CYCLE_1)
	s_and_saveexec_b32 s24, s22
	s_xor_b32 s22, exec_lo, s24
	s_cbranch_execz .LBB97_225
; %bb.224:
	ds_load_u16 v2, v3
                                        ; implicit-def: $vgpr3
.LBB97_225:
	s_and_not1_saveexec_b32 s22, s22
	s_cbranch_execz .LBB97_227
; %bb.226:
	s_waitcnt lgkmcnt(0)
	ds_load_u16 v2, v3
	s_waitcnt lgkmcnt(0)
	v_add_f16_e32 v2, v2, v1
.LBB97_227:
	s_or_b32 exec_lo, exec_lo, s22
.LBB97_228:
	s_delay_alu instid0(SALU_CYCLE_1) | instskip(SKIP_3) | instid1(VALU_DEP_2)
	s_or_b32 exec_lo, exec_lo, s23
	v_and_b32_e32 v3, 0xff, v33
	s_waitcnt lgkmcnt(0)
	v_add_f16_e32 v4, v34, v2
	v_cmp_eq_u16_e64 s22, 0, v3
	s_delay_alu instid0(VALU_DEP_1) | instskip(NEXT) | instid1(VALU_DEP_1)
	v_cndmask_b32_e64 v3, v34, v4, s22
	v_add_f16_e32 v4, v3, v29
	s_delay_alu instid0(VALU_DEP_1) | instskip(NEXT) | instid1(VALU_DEP_1)
	v_cndmask_b32_e32 v4, v29, v4, vcc_lo
	v_add_f16_e32 v5, v4, v35
	s_delay_alu instid0(VALU_DEP_1) | instskip(NEXT) | instid1(VALU_DEP_1)
	v_cndmask_b32_e64 v5, v35, v5, s2
	v_add_f16_e32 v6, v5, v36
	s_delay_alu instid0(VALU_DEP_1) | instskip(NEXT) | instid1(VALU_DEP_1)
	v_cndmask_b32_e64 v69, v36, v6, s3
	v_add_f16_e32 v6, v69, v37
	s_delay_alu instid0(VALU_DEP_1) | instskip(NEXT) | instid1(VALU_DEP_1)
	v_cndmask_b32_e64 v70, v37, v6, s4
	v_add_f16_e32 v6, v70, v41
	s_delay_alu instid0(VALU_DEP_1) | instskip(NEXT) | instid1(VALU_DEP_1)
	v_cndmask_b32_e64 v75, v41, v6, s5
	v_add_f16_e32 v6, v75, v45
	s_delay_alu instid0(VALU_DEP_1) | instskip(NEXT) | instid1(VALU_DEP_1)
	v_cndmask_b32_e64 v77, v45, v6, s6
	v_add_f16_e32 v6, v77, v28
	s_delay_alu instid0(VALU_DEP_1) | instskip(NEXT) | instid1(VALU_DEP_1)
	v_cndmask_b32_e64 v76, v28, v6, s7
	v_add_f16_e32 v6, v76, v58
	s_delay_alu instid0(VALU_DEP_1) | instskip(NEXT) | instid1(VALU_DEP_1)
	v_cndmask_b32_e64 v78, v58, v6, s8
	v_add_f16_e32 v6, v78, v60
	s_delay_alu instid0(VALU_DEP_1) | instskip(NEXT) | instid1(VALU_DEP_1)
	v_cndmask_b32_e64 v79, v60, v6, s9
	v_add_f16_e32 v6, v79, v59
	s_delay_alu instid0(VALU_DEP_1) | instskip(NEXT) | instid1(VALU_DEP_1)
	v_cndmask_b32_e64 v81, v59, v6, s10
	v_add_f16_e32 v6, v81, v61
	s_delay_alu instid0(VALU_DEP_1) | instskip(NEXT) | instid1(VALU_DEP_1)
	v_cndmask_b32_e64 v80, v61, v6, s11
	v_add_f16_e32 v6, v80, v62
	s_delay_alu instid0(VALU_DEP_1) | instskip(NEXT) | instid1(VALU_DEP_1)
	v_cndmask_b32_e64 v82, v62, v6, s12
	v_add_f16_e32 v6, v82, v63
	s_delay_alu instid0(VALU_DEP_1) | instskip(NEXT) | instid1(VALU_DEP_1)
	v_cndmask_b32_e64 v83, v63, v6, s14
	v_add_f16_e32 v6, v83, v64
	s_delay_alu instid0(VALU_DEP_1) | instskip(NEXT) | instid1(VALU_DEP_1)
	v_cndmask_b32_e64 v85, v64, v6, s15
	v_add_f16_e32 v6, v85, v65
	s_delay_alu instid0(VALU_DEP_1) | instskip(NEXT) | instid1(VALU_DEP_1)
	v_cndmask_b32_e64 v84, v65, v6, s16
	v_add_f16_e32 v6, v84, v66
	s_delay_alu instid0(VALU_DEP_1) | instskip(NEXT) | instid1(VALU_DEP_1)
	v_cndmask_b32_e64 v86, v66, v6, s17
	v_add_f16_e32 v6, v86, v67
	s_delay_alu instid0(VALU_DEP_1) | instskip(NEXT) | instid1(VALU_DEP_1)
	v_cndmask_b32_e64 v87, v67, v6, s18
	v_add_f16_e32 v6, v87, v31
	s_delay_alu instid0(VALU_DEP_1) | instskip(NEXT) | instid1(VALU_DEP_1)
	v_cndmask_b32_e64 v89, v31, v6, s19
	v_add_f16_e32 v6, v89, v32
	s_delay_alu instid0(VALU_DEP_1) | instskip(NEXT) | instid1(VALU_DEP_1)
	v_cndmask_b32_e64 v88, v32, v6, s20
	v_add_f16_e32 v6, v88, v27
	s_and_saveexec_b32 s2, s21
	s_cbranch_execz .LBB97_230
; %bb.229:
	v_mov_b32_e32 v9, 0
	ds_load_u16 v7, v9 offset:256
	ds_load_u8 v8, v9 offset:258
	s_waitcnt lgkmcnt(1)
	v_add_f16_e32 v1, v1, v7
	s_waitcnt lgkmcnt(0)
	v_cmp_eq_u32_e32 vcc_lo, 0, v8
	s_delay_alu instid0(VALU_DEP_2) | instskip(SKIP_1) | instid1(VALU_DEP_2)
	v_cndmask_b32_e32 v1, v7, v1, vcc_lo
	v_dual_mov_b32 v8, 2 :: v_dual_lshlrev_b32 v7, 16, v8
	v_and_b32_e32 v1, 0xffff, v1
	s_delay_alu instid0(VALU_DEP_1)
	v_or_b32_e32 v7, v7, v1
	global_store_b64 v9, v[7:8], s[36:37] offset:256
.LBB97_230:
	s_or_b32 exec_lo, exec_lo, s2
	s_delay_alu instid0(VALU_DEP_1)
	v_cndmask_b32_e64 v1, v27, v6, s13
.LBB97_231:
	s_load_b64 s[0:1], s[0:1], 0x18
	v_mul_u32_u24_e32 v17, 22, v0
	v_perm_b32 v6, v5, v4, 0x5040100
	v_perm_b32 v7, v3, v2, 0x5040100
	;; [unrolled: 1-line block ×11, first 2 shown]
	v_lshlrev_b32_e32 v5, 1, v17
	v_lshlrev_b32_e32 v4, 1, v0
	s_waitcnt lgkmcnt(0)
	s_add_u32 s0, s0, s28
	s_addc_u32 s1, s1, s29
	s_and_b32 vcc_lo, exec_lo, s39
	s_cbranch_vccz .LBB97_275
; %bb.232:
	v_mad_i32_i24 v1, 0xffffffd6, v0, v5
	s_waitcnt_vscnt null, 0x0
	s_barrier
	buffer_gl0_inv
	ds_store_2addr_b32 v5, v7, v6 offset1:1
	ds_store_2addr_b32 v5, v9, v8 offset0:2 offset1:3
	ds_store_2addr_b32 v5, v11, v10 offset0:4 offset1:5
	ds_store_2addr_b32 v5, v13, v12 offset0:6 offset1:7
	ds_store_2addr_b32 v5, v15, v14 offset0:8 offset1:9
	ds_store_b32 v5, v16 offset:40
	s_waitcnt lgkmcnt(0)
	s_barrier
	buffer_gl0_inv
	ds_load_u16 v37, v1 offset:128
	ds_load_u16 v36, v1 offset:256
	;; [unrolled: 1-line block ×21, first 2 shown]
	v_add_co_u32 v2, s2, s0, v4
	v_mov_b32_e32 v1, 0
	v_add_co_ci_u32_e64 v3, null, s1, 0, s2
	s_add_i32 s33, s33, s38
	s_mov_b32 s2, exec_lo
	v_cmpx_gt_u32_e64 s33, v0
	s_cbranch_execz .LBB97_234
; %bb.233:
	v_mul_i32_i24_e32 v38, 0xffffffd6, v0
	s_delay_alu instid0(VALU_DEP_1)
	v_add_nc_u32_e32 v38, v5, v38
	ds_load_u16 v38, v38
	s_waitcnt lgkmcnt(0)
	global_store_b16 v[2:3], v38, off
.LBB97_234:
	s_or_b32 exec_lo, exec_lo, s2
	v_or_b32_e32 v38, 64, v0
	s_mov_b32 s2, exec_lo
	s_delay_alu instid0(VALU_DEP_1)
	v_cmpx_gt_u32_e64 s33, v38
	s_cbranch_execz .LBB97_236
; %bb.235:
	s_waitcnt lgkmcnt(20)
	global_store_b16 v[2:3], v37, off offset:128
.LBB97_236:
	s_or_b32 exec_lo, exec_lo, s2
	s_waitcnt lgkmcnt(20)
	v_or_b32_e32 v37, 0x80, v0
	s_mov_b32 s2, exec_lo
	s_delay_alu instid0(VALU_DEP_1)
	v_cmpx_gt_u32_e64 s33, v37
	s_cbranch_execz .LBB97_238
; %bb.237:
	s_waitcnt lgkmcnt(19)
	global_store_b16 v[2:3], v36, off offset:256
.LBB97_238:
	s_or_b32 exec_lo, exec_lo, s2
	s_waitcnt lgkmcnt(19)
	;; [unrolled: 11-line block ×19, first 2 shown]
	v_or_b32_e32 v19, 0x500, v0
	s_mov_b32 s2, exec_lo
	s_delay_alu instid0(VALU_DEP_1)
	v_cmpx_gt_u32_e64 s33, v19
	s_cbranch_execz .LBB97_274
; %bb.273:
	s_waitcnt lgkmcnt(1)
	global_store_b16 v[2:3], v18, off offset:2560
.LBB97_274:
	s_or_b32 exec_lo, exec_lo, s2
	v_or_b32_e32 v2, 0x540, v0
	s_delay_alu instid0(VALU_DEP_1)
	v_cmp_gt_u32_e64 s2, s33, v2
	s_branch .LBB97_277
.LBB97_275:
	s_mov_b32 s2, 0
                                        ; implicit-def: $vgpr17
	s_cbranch_execz .LBB97_277
; %bb.276:
	v_mad_i32_i24 v2, 0xffffffd6, v0, v5
	s_waitcnt lgkmcnt(0)
	s_waitcnt_vscnt null, 0x0
	s_barrier
	buffer_gl0_inv
	ds_store_2addr_b32 v5, v7, v6 offset1:1
	ds_store_2addr_b32 v5, v9, v8 offset0:2 offset1:3
	ds_store_2addr_b32 v5, v11, v10 offset0:4 offset1:5
	;; [unrolled: 1-line block ×4, first 2 shown]
	ds_store_b32 v5, v16 offset:40
	s_waitcnt lgkmcnt(0)
	s_barrier
	buffer_gl0_inv
	ds_load_u16 v3, v2
	ds_load_u16 v5, v2 offset:128
	ds_load_u16 v6, v2 offset:256
	;; [unrolled: 1-line block ×21, first 2 shown]
	v_mov_b32_e32 v1, 0
	s_or_b32 s2, s2, exec_lo
	s_waitcnt lgkmcnt(21)
	global_store_b16 v4, v3, s[0:1]
	s_waitcnt lgkmcnt(20)
	global_store_b16 v4, v5, s[0:1] offset:128
	s_waitcnt lgkmcnt(19)
	global_store_b16 v4, v6, s[0:1] offset:256
	;; [unrolled: 2-line block ×20, first 2 shown]
.LBB97_277:
	s_delay_alu instid0(VALU_DEP_1)
	s_and_saveexec_b32 s3, s2
	s_cbranch_execz .LBB97_279
; %bb.278:
	v_lshlrev_b64 v[0:1], 1, v[0:1]
	s_delay_alu instid0(VALU_DEP_1) | instskip(NEXT) | instid1(VALU_DEP_2)
	v_add_co_u32 v0, vcc_lo, s0, v0
	v_add_co_ci_u32_e32 v1, vcc_lo, s1, v1, vcc_lo
	s_waitcnt lgkmcnt(0)
	global_store_b16 v[0:1], v17, off offset:2688
	s_nop 0
	s_sendmsg sendmsg(MSG_DEALLOC_VGPRS)
	s_endpgm
.LBB97_279:
	s_nop 0
	s_sendmsg sendmsg(MSG_DEALLOC_VGPRS)
	s_endpgm
	.section	.rodata,"a",@progbits
	.p2align	6, 0x0
	.amdhsa_kernel _ZN7rocprim6detail25device_scan_by_key_kernelILNS0_25lookback_scan_determinismE0ELb1ENS0_26wrapped_scan_by_key_configINS_14default_configEi6__halfEEPiN6hipcub22TransformInputIteratorIS5_NS8_6CastOpIS5_EEPS5_lEESC_S5_NS8_8EqualityENS8_3SumENS0_19lookback_scan_stateINS_5tupleIJS5_bEEELb0ELb1EEES5_EEvT2_T3_T4_T5_T6_T7_T8_mmmPKNSH_IJT9_bEEE
		.amdhsa_group_segment_fixed_size 6144
		.amdhsa_private_segment_fixed_size 0
		.amdhsa_kernarg_size 80
		.amdhsa_user_sgpr_count 15
		.amdhsa_user_sgpr_dispatch_ptr 0
		.amdhsa_user_sgpr_queue_ptr 0
		.amdhsa_user_sgpr_kernarg_segment_ptr 1
		.amdhsa_user_sgpr_dispatch_id 0
		.amdhsa_user_sgpr_private_segment_size 0
		.amdhsa_wavefront_size32 1
		.amdhsa_uses_dynamic_stack 0
		.amdhsa_enable_private_segment 0
		.amdhsa_system_sgpr_workgroup_id_x 1
		.amdhsa_system_sgpr_workgroup_id_y 0
		.amdhsa_system_sgpr_workgroup_id_z 0
		.amdhsa_system_sgpr_workgroup_info 0
		.amdhsa_system_vgpr_workitem_id 0
		.amdhsa_next_free_vgpr 91
		.amdhsa_next_free_sgpr 45
		.amdhsa_reserve_vcc 1
		.amdhsa_float_round_mode_32 0
		.amdhsa_float_round_mode_16_64 0
		.amdhsa_float_denorm_mode_32 3
		.amdhsa_float_denorm_mode_16_64 3
		.amdhsa_dx10_clamp 1
		.amdhsa_ieee_mode 1
		.amdhsa_fp16_overflow 0
		.amdhsa_workgroup_processor_mode 1
		.amdhsa_memory_ordered 1
		.amdhsa_forward_progress 0
		.amdhsa_shared_vgpr_count 0
		.amdhsa_exception_fp_ieee_invalid_op 0
		.amdhsa_exception_fp_denorm_src 0
		.amdhsa_exception_fp_ieee_div_zero 0
		.amdhsa_exception_fp_ieee_overflow 0
		.amdhsa_exception_fp_ieee_underflow 0
		.amdhsa_exception_fp_ieee_inexact 0
		.amdhsa_exception_int_div_zero 0
	.end_amdhsa_kernel
	.section	.text._ZN7rocprim6detail25device_scan_by_key_kernelILNS0_25lookback_scan_determinismE0ELb1ENS0_26wrapped_scan_by_key_configINS_14default_configEi6__halfEEPiN6hipcub22TransformInputIteratorIS5_NS8_6CastOpIS5_EEPS5_lEESC_S5_NS8_8EqualityENS8_3SumENS0_19lookback_scan_stateINS_5tupleIJS5_bEEELb0ELb1EEES5_EEvT2_T3_T4_T5_T6_T7_T8_mmmPKNSH_IJT9_bEEE,"axG",@progbits,_ZN7rocprim6detail25device_scan_by_key_kernelILNS0_25lookback_scan_determinismE0ELb1ENS0_26wrapped_scan_by_key_configINS_14default_configEi6__halfEEPiN6hipcub22TransformInputIteratorIS5_NS8_6CastOpIS5_EEPS5_lEESC_S5_NS8_8EqualityENS8_3SumENS0_19lookback_scan_stateINS_5tupleIJS5_bEEELb0ELb1EEES5_EEvT2_T3_T4_T5_T6_T7_T8_mmmPKNSH_IJT9_bEEE,comdat
.Lfunc_end97:
	.size	_ZN7rocprim6detail25device_scan_by_key_kernelILNS0_25lookback_scan_determinismE0ELb1ENS0_26wrapped_scan_by_key_configINS_14default_configEi6__halfEEPiN6hipcub22TransformInputIteratorIS5_NS8_6CastOpIS5_EEPS5_lEESC_S5_NS8_8EqualityENS8_3SumENS0_19lookback_scan_stateINS_5tupleIJS5_bEEELb0ELb1EEES5_EEvT2_T3_T4_T5_T6_T7_T8_mmmPKNSH_IJT9_bEEE, .Lfunc_end97-_ZN7rocprim6detail25device_scan_by_key_kernelILNS0_25lookback_scan_determinismE0ELb1ENS0_26wrapped_scan_by_key_configINS_14default_configEi6__halfEEPiN6hipcub22TransformInputIteratorIS5_NS8_6CastOpIS5_EEPS5_lEESC_S5_NS8_8EqualityENS8_3SumENS0_19lookback_scan_stateINS_5tupleIJS5_bEEELb0ELb1EEES5_EEvT2_T3_T4_T5_T6_T7_T8_mmmPKNSH_IJT9_bEEE
                                        ; -- End function
	.section	.AMDGPU.csdata,"",@progbits
; Kernel info:
; codeLenInByte = 16188
; NumSgprs: 47
; NumVgprs: 91
; ScratchSize: 0
; MemoryBound: 0
; FloatMode: 240
; IeeeMode: 1
; LDSByteSize: 6144 bytes/workgroup (compile time only)
; SGPRBlocks: 5
; VGPRBlocks: 11
; NumSGPRsForWavesPerEU: 47
; NumVGPRsForWavesPerEU: 91
; Occupancy: 11
; WaveLimiterHint : 1
; COMPUTE_PGM_RSRC2:SCRATCH_EN: 0
; COMPUTE_PGM_RSRC2:USER_SGPR: 15
; COMPUTE_PGM_RSRC2:TRAP_HANDLER: 0
; COMPUTE_PGM_RSRC2:TGID_X_EN: 1
; COMPUTE_PGM_RSRC2:TGID_Y_EN: 0
; COMPUTE_PGM_RSRC2:TGID_Z_EN: 0
; COMPUTE_PGM_RSRC2:TIDIG_COMP_CNT: 0
	.section	.text._ZN7rocprim6detail25device_scan_by_key_kernelILNS0_25lookback_scan_determinismE0ELb1ENS0_26wrapped_scan_by_key_configINS_14default_configEi6__halfEEPiN6hipcub22TransformInputIteratorIS5_NS8_6CastOpIS5_EEPS5_lEESC_S5_NS8_8EqualityENS8_3MaxENS0_19lookback_scan_stateINS_5tupleIJS5_bEEELb1ELb1EEES5_EEvT2_T3_T4_T5_T6_T7_T8_mmmPKNSH_IJT9_bEEE,"axG",@progbits,_ZN7rocprim6detail25device_scan_by_key_kernelILNS0_25lookback_scan_determinismE0ELb1ENS0_26wrapped_scan_by_key_configINS_14default_configEi6__halfEEPiN6hipcub22TransformInputIteratorIS5_NS8_6CastOpIS5_EEPS5_lEESC_S5_NS8_8EqualityENS8_3MaxENS0_19lookback_scan_stateINS_5tupleIJS5_bEEELb1ELb1EEES5_EEvT2_T3_T4_T5_T6_T7_T8_mmmPKNSH_IJT9_bEEE,comdat
	.protected	_ZN7rocprim6detail25device_scan_by_key_kernelILNS0_25lookback_scan_determinismE0ELb1ENS0_26wrapped_scan_by_key_configINS_14default_configEi6__halfEEPiN6hipcub22TransformInputIteratorIS5_NS8_6CastOpIS5_EEPS5_lEESC_S5_NS8_8EqualityENS8_3MaxENS0_19lookback_scan_stateINS_5tupleIJS5_bEEELb1ELb1EEES5_EEvT2_T3_T4_T5_T6_T7_T8_mmmPKNSH_IJT9_bEEE ; -- Begin function _ZN7rocprim6detail25device_scan_by_key_kernelILNS0_25lookback_scan_determinismE0ELb1ENS0_26wrapped_scan_by_key_configINS_14default_configEi6__halfEEPiN6hipcub22TransformInputIteratorIS5_NS8_6CastOpIS5_EEPS5_lEESC_S5_NS8_8EqualityENS8_3MaxENS0_19lookback_scan_stateINS_5tupleIJS5_bEEELb1ELb1EEES5_EEvT2_T3_T4_T5_T6_T7_T8_mmmPKNSH_IJT9_bEEE
	.globl	_ZN7rocprim6detail25device_scan_by_key_kernelILNS0_25lookback_scan_determinismE0ELb1ENS0_26wrapped_scan_by_key_configINS_14default_configEi6__halfEEPiN6hipcub22TransformInputIteratorIS5_NS8_6CastOpIS5_EEPS5_lEESC_S5_NS8_8EqualityENS8_3MaxENS0_19lookback_scan_stateINS_5tupleIJS5_bEEELb1ELb1EEES5_EEvT2_T3_T4_T5_T6_T7_T8_mmmPKNSH_IJT9_bEEE
	.p2align	8
	.type	_ZN7rocprim6detail25device_scan_by_key_kernelILNS0_25lookback_scan_determinismE0ELb1ENS0_26wrapped_scan_by_key_configINS_14default_configEi6__halfEEPiN6hipcub22TransformInputIteratorIS5_NS8_6CastOpIS5_EEPS5_lEESC_S5_NS8_8EqualityENS8_3MaxENS0_19lookback_scan_stateINS_5tupleIJS5_bEEELb1ELb1EEES5_EEvT2_T3_T4_T5_T6_T7_T8_mmmPKNSH_IJT9_bEEE,@function
_ZN7rocprim6detail25device_scan_by_key_kernelILNS0_25lookback_scan_determinismE0ELb1ENS0_26wrapped_scan_by_key_configINS_14default_configEi6__halfEEPiN6hipcub22TransformInputIteratorIS5_NS8_6CastOpIS5_EEPS5_lEESC_S5_NS8_8EqualityENS8_3MaxENS0_19lookback_scan_stateINS_5tupleIJS5_bEEELb1ELb1EEES5_EEvT2_T3_T4_T5_T6_T7_T8_mmmPKNSH_IJT9_bEEE: ; @_ZN7rocprim6detail25device_scan_by_key_kernelILNS0_25lookback_scan_determinismE0ELb1ENS0_26wrapped_scan_by_key_configINS_14default_configEi6__halfEEPiN6hipcub22TransformInputIteratorIS5_NS8_6CastOpIS5_EEPS5_lEESC_S5_NS8_8EqualityENS8_3MaxENS0_19lookback_scan_stateINS_5tupleIJS5_bEEELb1ELb1EEES5_EEvT2_T3_T4_T5_T6_T7_T8_mmmPKNSH_IJT9_bEEE
; %bb.0:
	s_endpgm
	.section	.rodata,"a",@progbits
	.p2align	6, 0x0
	.amdhsa_kernel _ZN7rocprim6detail25device_scan_by_key_kernelILNS0_25lookback_scan_determinismE0ELb1ENS0_26wrapped_scan_by_key_configINS_14default_configEi6__halfEEPiN6hipcub22TransformInputIteratorIS5_NS8_6CastOpIS5_EEPS5_lEESC_S5_NS8_8EqualityENS8_3MaxENS0_19lookback_scan_stateINS_5tupleIJS5_bEEELb1ELb1EEES5_EEvT2_T3_T4_T5_T6_T7_T8_mmmPKNSH_IJT9_bEEE
		.amdhsa_group_segment_fixed_size 0
		.amdhsa_private_segment_fixed_size 0
		.amdhsa_kernarg_size 80
		.amdhsa_user_sgpr_count 15
		.amdhsa_user_sgpr_dispatch_ptr 0
		.amdhsa_user_sgpr_queue_ptr 0
		.amdhsa_user_sgpr_kernarg_segment_ptr 1
		.amdhsa_user_sgpr_dispatch_id 0
		.amdhsa_user_sgpr_private_segment_size 0
		.amdhsa_wavefront_size32 1
		.amdhsa_uses_dynamic_stack 0
		.amdhsa_enable_private_segment 0
		.amdhsa_system_sgpr_workgroup_id_x 1
		.amdhsa_system_sgpr_workgroup_id_y 0
		.amdhsa_system_sgpr_workgroup_id_z 0
		.amdhsa_system_sgpr_workgroup_info 0
		.amdhsa_system_vgpr_workitem_id 0
		.amdhsa_next_free_vgpr 1
		.amdhsa_next_free_sgpr 1
		.amdhsa_reserve_vcc 0
		.amdhsa_float_round_mode_32 0
		.amdhsa_float_round_mode_16_64 0
		.amdhsa_float_denorm_mode_32 3
		.amdhsa_float_denorm_mode_16_64 3
		.amdhsa_dx10_clamp 1
		.amdhsa_ieee_mode 1
		.amdhsa_fp16_overflow 0
		.amdhsa_workgroup_processor_mode 1
		.amdhsa_memory_ordered 1
		.amdhsa_forward_progress 0
		.amdhsa_shared_vgpr_count 0
		.amdhsa_exception_fp_ieee_invalid_op 0
		.amdhsa_exception_fp_denorm_src 0
		.amdhsa_exception_fp_ieee_div_zero 0
		.amdhsa_exception_fp_ieee_overflow 0
		.amdhsa_exception_fp_ieee_underflow 0
		.amdhsa_exception_fp_ieee_inexact 0
		.amdhsa_exception_int_div_zero 0
	.end_amdhsa_kernel
	.section	.text._ZN7rocprim6detail25device_scan_by_key_kernelILNS0_25lookback_scan_determinismE0ELb1ENS0_26wrapped_scan_by_key_configINS_14default_configEi6__halfEEPiN6hipcub22TransformInputIteratorIS5_NS8_6CastOpIS5_EEPS5_lEESC_S5_NS8_8EqualityENS8_3MaxENS0_19lookback_scan_stateINS_5tupleIJS5_bEEELb1ELb1EEES5_EEvT2_T3_T4_T5_T6_T7_T8_mmmPKNSH_IJT9_bEEE,"axG",@progbits,_ZN7rocprim6detail25device_scan_by_key_kernelILNS0_25lookback_scan_determinismE0ELb1ENS0_26wrapped_scan_by_key_configINS_14default_configEi6__halfEEPiN6hipcub22TransformInputIteratorIS5_NS8_6CastOpIS5_EEPS5_lEESC_S5_NS8_8EqualityENS8_3MaxENS0_19lookback_scan_stateINS_5tupleIJS5_bEEELb1ELb1EEES5_EEvT2_T3_T4_T5_T6_T7_T8_mmmPKNSH_IJT9_bEEE,comdat
.Lfunc_end98:
	.size	_ZN7rocprim6detail25device_scan_by_key_kernelILNS0_25lookback_scan_determinismE0ELb1ENS0_26wrapped_scan_by_key_configINS_14default_configEi6__halfEEPiN6hipcub22TransformInputIteratorIS5_NS8_6CastOpIS5_EEPS5_lEESC_S5_NS8_8EqualityENS8_3MaxENS0_19lookback_scan_stateINS_5tupleIJS5_bEEELb1ELb1EEES5_EEvT2_T3_T4_T5_T6_T7_T8_mmmPKNSH_IJT9_bEEE, .Lfunc_end98-_ZN7rocprim6detail25device_scan_by_key_kernelILNS0_25lookback_scan_determinismE0ELb1ENS0_26wrapped_scan_by_key_configINS_14default_configEi6__halfEEPiN6hipcub22TransformInputIteratorIS5_NS8_6CastOpIS5_EEPS5_lEESC_S5_NS8_8EqualityENS8_3MaxENS0_19lookback_scan_stateINS_5tupleIJS5_bEEELb1ELb1EEES5_EEvT2_T3_T4_T5_T6_T7_T8_mmmPKNSH_IJT9_bEEE
                                        ; -- End function
	.section	.AMDGPU.csdata,"",@progbits
; Kernel info:
; codeLenInByte = 4
; NumSgprs: 0
; NumVgprs: 0
; ScratchSize: 0
; MemoryBound: 0
; FloatMode: 240
; IeeeMode: 1
; LDSByteSize: 0 bytes/workgroup (compile time only)
; SGPRBlocks: 0
; VGPRBlocks: 0
; NumSGPRsForWavesPerEU: 1
; NumVGPRsForWavesPerEU: 1
; Occupancy: 16
; WaveLimiterHint : 0
; COMPUTE_PGM_RSRC2:SCRATCH_EN: 0
; COMPUTE_PGM_RSRC2:USER_SGPR: 15
; COMPUTE_PGM_RSRC2:TRAP_HANDLER: 0
; COMPUTE_PGM_RSRC2:TGID_X_EN: 1
; COMPUTE_PGM_RSRC2:TGID_Y_EN: 0
; COMPUTE_PGM_RSRC2:TGID_Z_EN: 0
; COMPUTE_PGM_RSRC2:TIDIG_COMP_CNT: 0
	.section	.text._ZN7rocprim6detail25device_scan_by_key_kernelILNS0_25lookback_scan_determinismE0ELb1ENS0_26wrapped_scan_by_key_configINS_14default_configEi6__halfEEPiN6hipcub22TransformInputIteratorIS5_NS8_6CastOpIS5_EEPS5_lEESC_S5_NS8_8EqualityENS8_3MaxENS0_19lookback_scan_stateINS_5tupleIJS5_bEEELb0ELb1EEES5_EEvT2_T3_T4_T5_T6_T7_T8_mmmPKNSH_IJT9_bEEE,"axG",@progbits,_ZN7rocprim6detail25device_scan_by_key_kernelILNS0_25lookback_scan_determinismE0ELb1ENS0_26wrapped_scan_by_key_configINS_14default_configEi6__halfEEPiN6hipcub22TransformInputIteratorIS5_NS8_6CastOpIS5_EEPS5_lEESC_S5_NS8_8EqualityENS8_3MaxENS0_19lookback_scan_stateINS_5tupleIJS5_bEEELb0ELb1EEES5_EEvT2_T3_T4_T5_T6_T7_T8_mmmPKNSH_IJT9_bEEE,comdat
	.protected	_ZN7rocprim6detail25device_scan_by_key_kernelILNS0_25lookback_scan_determinismE0ELb1ENS0_26wrapped_scan_by_key_configINS_14default_configEi6__halfEEPiN6hipcub22TransformInputIteratorIS5_NS8_6CastOpIS5_EEPS5_lEESC_S5_NS8_8EqualityENS8_3MaxENS0_19lookback_scan_stateINS_5tupleIJS5_bEEELb0ELb1EEES5_EEvT2_T3_T4_T5_T6_T7_T8_mmmPKNSH_IJT9_bEEE ; -- Begin function _ZN7rocprim6detail25device_scan_by_key_kernelILNS0_25lookback_scan_determinismE0ELb1ENS0_26wrapped_scan_by_key_configINS_14default_configEi6__halfEEPiN6hipcub22TransformInputIteratorIS5_NS8_6CastOpIS5_EEPS5_lEESC_S5_NS8_8EqualityENS8_3MaxENS0_19lookback_scan_stateINS_5tupleIJS5_bEEELb0ELb1EEES5_EEvT2_T3_T4_T5_T6_T7_T8_mmmPKNSH_IJT9_bEEE
	.globl	_ZN7rocprim6detail25device_scan_by_key_kernelILNS0_25lookback_scan_determinismE0ELb1ENS0_26wrapped_scan_by_key_configINS_14default_configEi6__halfEEPiN6hipcub22TransformInputIteratorIS5_NS8_6CastOpIS5_EEPS5_lEESC_S5_NS8_8EqualityENS8_3MaxENS0_19lookback_scan_stateINS_5tupleIJS5_bEEELb0ELb1EEES5_EEvT2_T3_T4_T5_T6_T7_T8_mmmPKNSH_IJT9_bEEE
	.p2align	8
	.type	_ZN7rocprim6detail25device_scan_by_key_kernelILNS0_25lookback_scan_determinismE0ELb1ENS0_26wrapped_scan_by_key_configINS_14default_configEi6__halfEEPiN6hipcub22TransformInputIteratorIS5_NS8_6CastOpIS5_EEPS5_lEESC_S5_NS8_8EqualityENS8_3MaxENS0_19lookback_scan_stateINS_5tupleIJS5_bEEELb0ELb1EEES5_EEvT2_T3_T4_T5_T6_T7_T8_mmmPKNSH_IJT9_bEEE,@function
_ZN7rocprim6detail25device_scan_by_key_kernelILNS0_25lookback_scan_determinismE0ELb1ENS0_26wrapped_scan_by_key_configINS_14default_configEi6__halfEEPiN6hipcub22TransformInputIteratorIS5_NS8_6CastOpIS5_EEPS5_lEESC_S5_NS8_8EqualityENS8_3MaxENS0_19lookback_scan_stateINS_5tupleIJS5_bEEELb0ELb1EEES5_EEvT2_T3_T4_T5_T6_T7_T8_mmmPKNSH_IJT9_bEEE: ; @_ZN7rocprim6detail25device_scan_by_key_kernelILNS0_25lookback_scan_determinismE0ELb1ENS0_26wrapped_scan_by_key_configINS_14default_configEi6__halfEEPiN6hipcub22TransformInputIteratorIS5_NS8_6CastOpIS5_EEPS5_lEESC_S5_NS8_8EqualityENS8_3MaxENS0_19lookback_scan_stateINS_5tupleIJS5_bEEELb0ELb1EEES5_EEvT2_T3_T4_T5_T6_T7_T8_mmmPKNSH_IJT9_bEEE
; %bb.0:
	s_clause 0x1
	s_load_b128 s[4:7], s[0:1], 0x0
	s_load_b256 s[36:43], s[0:1], 0x28
	s_mov_b32 s3, 0
	s_mul_i32 s2, s15, 0x580
	s_clause 0x1
	s_load_b32 s44, s[0:1], 0x20
	s_load_b64 s[30:31], s[0:1], 0x48
	s_lshl_b64 s[8:9], s[2:3], 2
	v_lshlrev_b32_e32 v70, 2, v0
	s_waitcnt lgkmcnt(0)
	s_add_u32 s34, s4, s8
	s_addc_u32 s35, s5, s9
	s_lshl_b64 s[28:29], s[2:3], 1
	s_delay_alu instid0(SALU_CYCLE_1)
	s_add_u32 s26, s6, s28
	s_addc_u32 s27, s7, s29
	s_add_u32 s4, s15, s40
	s_addc_u32 s5, 0, s41
	s_add_u32 s6, s42, -1
	s_addc_u32 s7, s43, -1
	s_mul_i32 s33, s6, 0xfffffa80
	v_cmp_ge_u64_e64 s39, s[4:5], s[6:7]
	s_delay_alu instid0(VALU_DEP_1)
	s_and_b32 vcc_lo, exec_lo, s39
	s_cbranch_vccz .LBB99_116
; %bb.1:
	s_load_b32 s24, s[34:35], 0x0
	s_add_i32 s25, s33, s38
	v_add_co_u32 v1, s2, s34, v70
	s_delay_alu instid0(VALU_DEP_1)
	v_add_co_ci_u32_e64 v2, null, s35, 0, s2
	v_cmp_gt_u32_e32 vcc_lo, s25, v0
	s_waitcnt lgkmcnt(0)
	v_mov_b32_e32 v3, s24
	s_and_saveexec_b32 s2, vcc_lo
	s_cbranch_execz .LBB99_3
; %bb.2:
	global_load_b32 v3, v[1:2], off
.LBB99_3:
	s_or_b32 exec_lo, exec_lo, s2
	v_or_b32_e32 v4, 64, v0
	s_delay_alu instid0(VALU_DEP_1) | instskip(SKIP_1) | instid1(VALU_DEP_2)
	v_cmp_gt_u32_e64 s2, s25, v4
	v_mov_b32_e32 v4, s24
	s_and_saveexec_b32 s3, s2
	s_cbranch_execz .LBB99_5
; %bb.4:
	global_load_b32 v4, v[1:2], off offset:256
.LBB99_5:
	s_or_b32 exec_lo, exec_lo, s3
	v_or_b32_e32 v5, 0x80, v0
	s_delay_alu instid0(VALU_DEP_1) | instskip(SKIP_1) | instid1(VALU_DEP_2)
	v_cmp_gt_u32_e64 s3, s25, v5
	v_mov_b32_e32 v5, s24
	s_and_saveexec_b32 s4, s3
	s_cbranch_execz .LBB99_7
; %bb.6:
	global_load_b32 v5, v[1:2], off offset:512
.LBB99_7:
	;; [unrolled: 10-line block ×15, first 2 shown]
	s_or_b32 exec_lo, exec_lo, s18
	v_or_b32_e32 v19, 0x400, v0
	s_delay_alu instid0(VALU_DEP_1) | instskip(SKIP_1) | instid1(VALU_DEP_2)
	v_cmp_gt_u32_e64 s18, s25, v19
	v_mov_b32_e32 v19, s24
	s_and_saveexec_b32 s20, s18
	s_cbranch_execz .LBB99_35
; %bb.34:
	v_add_co_u32 v19, s19, 0x1000, v1
	s_delay_alu instid0(VALU_DEP_1)
	v_add_co_ci_u32_e64 v20, s19, 0, v2, s19
	global_load_b32 v19, v[19:20], off
.LBB99_35:
	s_or_b32 exec_lo, exec_lo, s20
	v_or_b32_e32 v20, 0x440, v0
	s_delay_alu instid0(VALU_DEP_1) | instskip(SKIP_1) | instid1(VALU_DEP_2)
	v_cmp_gt_u32_e64 s19, s25, v20
	v_mov_b32_e32 v20, s24
	s_and_saveexec_b32 s21, s19
	s_cbranch_execz .LBB99_37
; %bb.36:
	v_add_co_u32 v20, s20, 0x1000, v1
	s_delay_alu instid0(VALU_DEP_1)
	v_add_co_ci_u32_e64 v21, s20, 0, v2, s20
	global_load_b32 v20, v[20:21], off offset:256
.LBB99_37:
	s_or_b32 exec_lo, exec_lo, s21
	v_or_b32_e32 v21, 0x480, v0
	s_delay_alu instid0(VALU_DEP_1) | instskip(SKIP_1) | instid1(VALU_DEP_2)
	v_cmp_gt_u32_e64 s20, s25, v21
	v_mov_b32_e32 v21, s24
	s_and_saveexec_b32 s22, s20
	s_cbranch_execz .LBB99_39
; %bb.38:
	v_add_co_u32 v21, s21, 0x1000, v1
	s_delay_alu instid0(VALU_DEP_1)
	v_add_co_ci_u32_e64 v22, s21, 0, v2, s21
	global_load_b32 v21, v[21:22], off offset:512
.LBB99_39:
	;; [unrolled: 13-line block ×5, first 2 shown]
	s_or_b32 exec_lo, exec_lo, s40
	s_waitcnt vmcnt(0)
	ds_store_2addr_stride64_b32 v70, v3, v4 offset1:1
	ds_store_2addr_stride64_b32 v70, v5, v6 offset0:2 offset1:3
	ds_store_2addr_stride64_b32 v70, v7, v8 offset0:4 offset1:5
	;; [unrolled: 1-line block ×10, first 2 shown]
	s_waitcnt lgkmcnt(0)
	s_barrier
	buffer_gl0_inv
	s_load_b32 s40, s[34:35], 0x0
	v_mad_u32_u24 v21, 0x54, v0, v70
	ds_load_2addr_b64 v[17:20], v21 offset1:1
	ds_load_2addr_b64 v[13:16], v21 offset0:2 offset1:3
	ds_load_2addr_b64 v[9:12], v21 offset0:4 offset1:5
	;; [unrolled: 1-line block ×4, first 2 shown]
	ds_load_b64 v[25:26], v21 offset:80
	v_mad_i32_i24 v23, 0xffffffac, v0, v21
	s_waitcnt lgkmcnt(0)
	v_mov_b32_e32 v71, s40
	s_mov_b32 s40, exec_lo
	ds_store_b32 v23, v17 offset:5888
	s_waitcnt lgkmcnt(0)
	s_barrier
	buffer_gl0_inv
	v_cmpx_ne_u32_e32 63, v0
	s_cbranch_execz .LBB99_47
; %bb.46:
	ds_load_b32 v71, v70 offset:5892
.LBB99_47:
	s_or_b32 exec_lo, exec_lo, s40
	v_lshlrev_b32_e32 v24, 1, v0
	s_waitcnt lgkmcnt(0)
	s_barrier
	buffer_gl0_inv
                                        ; implicit-def: $vgpr27
	v_add_co_u32 v21, s24, s26, v24
	s_delay_alu instid0(VALU_DEP_1)
	v_add_co_ci_u32_e64 v22, null, s27, 0, s24
	s_and_saveexec_b32 s24, vcc_lo
	s_cbranch_execz .LBB99_189
; %bb.48:
	global_load_u16 v27, v[21:22], off
	s_or_b32 exec_lo, exec_lo, s24
                                        ; implicit-def: $vgpr28
	s_and_saveexec_b32 s24, s2
	s_cbranch_execnz .LBB99_190
.LBB99_49:
	s_or_b32 exec_lo, exec_lo, s24
                                        ; implicit-def: $vgpr29
	s_and_saveexec_b32 s2, s3
	s_cbranch_execz .LBB99_191
.LBB99_50:
	global_load_u16 v29, v[21:22], off offset:256
	s_or_b32 exec_lo, exec_lo, s2
                                        ; implicit-def: $vgpr30
	s_and_saveexec_b32 s2, s4
	s_cbranch_execnz .LBB99_192
.LBB99_51:
	s_or_b32 exec_lo, exec_lo, s2
                                        ; implicit-def: $vgpr31
	s_and_saveexec_b32 s2, s5
	s_cbranch_execz .LBB99_193
.LBB99_52:
	global_load_u16 v31, v[21:22], off offset:512
	s_or_b32 exec_lo, exec_lo, s2
                                        ; implicit-def: $vgpr32
	s_and_saveexec_b32 s2, s6
	s_cbranch_execnz .LBB99_194
.LBB99_53:
	s_or_b32 exec_lo, exec_lo, s2
                                        ; implicit-def: $vgpr33
	s_and_saveexec_b32 s2, s7
	s_cbranch_execz .LBB99_195
.LBB99_54:
	global_load_u16 v33, v[21:22], off offset:768
	s_or_b32 exec_lo, exec_lo, s2
                                        ; implicit-def: $vgpr34
	s_and_saveexec_b32 s2, s8
	s_cbranch_execnz .LBB99_196
.LBB99_55:
	s_or_b32 exec_lo, exec_lo, s2
                                        ; implicit-def: $vgpr35
	s_and_saveexec_b32 s2, s9
	s_cbranch_execz .LBB99_197
.LBB99_56:
	global_load_u16 v35, v[21:22], off offset:1024
	s_or_b32 exec_lo, exec_lo, s2
                                        ; implicit-def: $vgpr36
	s_and_saveexec_b32 s2, s10
	s_cbranch_execnz .LBB99_198
.LBB99_57:
	s_or_b32 exec_lo, exec_lo, s2
                                        ; implicit-def: $vgpr37
	s_and_saveexec_b32 s2, s11
	s_cbranch_execz .LBB99_199
.LBB99_58:
	global_load_u16 v37, v[21:22], off offset:1280
	s_or_b32 exec_lo, exec_lo, s2
                                        ; implicit-def: $vgpr38
	s_and_saveexec_b32 s2, s12
	s_cbranch_execnz .LBB99_200
.LBB99_59:
	s_or_b32 exec_lo, exec_lo, s2
                                        ; implicit-def: $vgpr39
	s_and_saveexec_b32 s2, s13
	s_cbranch_execz .LBB99_201
.LBB99_60:
	global_load_u16 v39, v[21:22], off offset:1536
	s_or_b32 exec_lo, exec_lo, s2
                                        ; implicit-def: $vgpr40
	s_and_saveexec_b32 s2, s14
	s_cbranch_execnz .LBB99_202
.LBB99_61:
	s_or_b32 exec_lo, exec_lo, s2
                                        ; implicit-def: $vgpr41
	s_and_saveexec_b32 s2, s16
	s_cbranch_execz .LBB99_203
.LBB99_62:
	global_load_u16 v41, v[21:22], off offset:1792
	s_or_b32 exec_lo, exec_lo, s2
                                        ; implicit-def: $vgpr42
	s_and_saveexec_b32 s2, s17
	s_cbranch_execnz .LBB99_204
.LBB99_63:
	s_or_b32 exec_lo, exec_lo, s2
                                        ; implicit-def: $vgpr43
	s_and_saveexec_b32 s2, s18
	s_cbranch_execz .LBB99_205
.LBB99_64:
	global_load_u16 v43, v[21:22], off offset:2048
	s_or_b32 exec_lo, exec_lo, s2
                                        ; implicit-def: $vgpr44
	s_and_saveexec_b32 s2, s19
	s_cbranch_execnz .LBB99_206
.LBB99_65:
	s_or_b32 exec_lo, exec_lo, s2
                                        ; implicit-def: $vgpr45
	s_and_saveexec_b32 s2, s20
	s_cbranch_execz .LBB99_207
.LBB99_66:
	global_load_u16 v45, v[21:22], off offset:2304
	s_or_b32 exec_lo, exec_lo, s2
                                        ; implicit-def: $vgpr46
	s_and_saveexec_b32 s2, s21
	s_cbranch_execnz .LBB99_208
.LBB99_67:
	s_or_b32 exec_lo, exec_lo, s2
                                        ; implicit-def: $vgpr47
	s_and_saveexec_b32 s2, s22
	s_cbranch_execz .LBB99_69
.LBB99_68:
	global_load_u16 v47, v[21:22], off offset:2560
.LBB99_69:
	s_or_b32 exec_lo, exec_lo, s2
	v_mul_u32_u24_e32 v72, 22, v0
                                        ; implicit-def: $vgpr48
	s_and_saveexec_b32 s2, s23
	s_cbranch_execz .LBB99_71
; %bb.70:
	global_load_u16 v48, v[21:22], off offset:2688
.LBB99_71:
	s_or_b32 exec_lo, exec_lo, s2
	v_sub_nc_u32_e32 v21, v23, v24
	v_cmp_gt_u32_e32 vcc_lo, s25, v72
	v_mov_b32_e32 v69, 0
	v_dual_mov_b32 v67, 0 :: v_dual_mov_b32 v62, 0
	s_waitcnt vmcnt(0)
	ds_store_b16 v21, v27
	ds_store_b16 v21, v28 offset:128
	ds_store_b16 v21, v29 offset:256
	;; [unrolled: 1-line block ×21, first 2 shown]
	v_dual_mov_b32 v33, 0 :: v_dual_mov_b32 v34, 0
	v_dual_mov_b32 v27, 0 :: v_dual_mov_b32 v32, 0
	;; [unrolled: 1-line block ×19, first 2 shown]
	v_mov_b32_e32 v49, 0
	s_mov_b32 s3, 0
	s_mov_b32 s4, 0
	s_waitcnt lgkmcnt(0)
	s_barrier
	buffer_gl0_inv
                                        ; implicit-def: $sgpr2
                                        ; implicit-def: $vgpr30
	s_and_saveexec_b32 s5, vcc_lo
	s_cbranch_execz .LBB99_115
; %bb.72:
	v_mad_u32_u24 v22, v0, 42, v21
	v_cmp_ne_u32_e32 vcc_lo, v17, v18
	v_or_b32_e32 v23, 1, v72
	v_dual_mov_b32 v27, 0 :: v_dual_mov_b32 v46, 0
	ds_load_u16 v17, v22
	v_cndmask_b32_e64 v33, 0, 1, vcc_lo
	v_dual_mov_b32 v47, 0 :: v_dual_mov_b32 v38, 0
	v_dual_mov_b32 v48, 0 :: v_dual_mov_b32 v39, 0
	;; [unrolled: 1-line block ×10, first 2 shown]
	v_cmp_gt_u32_e64 s2, s25, v23
	s_waitcnt lgkmcnt(0)
	v_cndmask_b32_e64 v34, v17, s44, vcc_lo
	v_dual_mov_b32 v32, 0 :: v_dual_mov_b32 v29, 0
	v_dual_mov_b32 v69, 0 :: v_dual_mov_b32 v68, 0
	;; [unrolled: 1-line block ×8, first 2 shown]
	v_mov_b32_e32 v41, 0
	v_mov_b32_e32 v45, 0
	s_mov_b32 s6, 0
	s_mov_b32 s7, 0
                                        ; implicit-def: $sgpr8
                                        ; implicit-def: $vgpr30
	s_and_saveexec_b32 s3, s2
	s_cbranch_execz .LBB99_114
; %bb.73:
	v_mul_u32_u24_e32 v17, 42, v0
	v_dual_mov_b32 v27, 0 :: v_dual_add_nc_u32 v28, 2, v72
	v_cmp_ne_u32_e32 vcc_lo, v18, v19
	v_dual_mov_b32 v47, 0 :: v_dual_mov_b32 v48, 0
	s_delay_alu instid0(VALU_DEP_4)
	v_dual_mov_b32 v46, 0 :: v_dual_add_nc_u32 v17, v21, v17
	v_cndmask_b32_e64 v38, 0, 1, vcc_lo
	v_dual_mov_b32 v50, 0 :: v_dual_mov_b32 v39, 0
	ds_load_b128 v[21:24], v17 offset:2
	v_dual_mov_b32 v53, 0 :: v_dual_mov_b32 v56, 0
	v_dual_mov_b32 v40, 0 :: v_dual_mov_b32 v59, 0
	;; [unrolled: 1-line block ×9, first 2 shown]
	v_cmp_gt_u32_e64 s2, s25, v28
	s_waitcnt lgkmcnt(0)
	v_cndmask_b32_e64 v29, v21, s44, vcc_lo
	v_dual_mov_b32 v35, 0 :: v_dual_mov_b32 v66, 0
	v_dual_mov_b32 v67, 0 :: v_dual_mov_b32 v36, 0
	;; [unrolled: 1-line block ×6, first 2 shown]
	v_mov_b32_e32 v41, 0
	v_mov_b32_e32 v45, 0
	s_mov_b32 s8, 0
                                        ; implicit-def: $sgpr9
                                        ; implicit-def: $vgpr30
	s_and_saveexec_b32 s6, s2
	s_cbranch_execz .LBB99_113
; %bb.74:
	v_lshrrev_b32_e32 v18, 16, v21
	v_cmp_ne_u32_e32 vcc_lo, v19, v20
	v_dual_mov_b32 v46, 0 :: v_dual_add_nc_u32 v19, 3, v72
	v_dual_mov_b32 v27, 0 :: v_dual_mov_b32 v48, 0
	v_cndmask_b32_e64 v39, 0, 1, vcc_lo
	v_cndmask_b32_e64 v35, v18, s44, vcc_lo
	s_delay_alu instid0(VALU_DEP_4)
	v_cmp_gt_u32_e32 vcc_lo, s25, v19
	v_dual_mov_b32 v47, 0 :: v_dual_mov_b32 v50, 0
	v_dual_mov_b32 v53, 0 :: v_dual_mov_b32 v56, 0
	;; [unrolled: 1-line block ×16, first 2 shown]
	v_mov_b32_e32 v45, 0
	s_mov_b32 s2, 0
                                        ; implicit-def: $sgpr9
                                        ; implicit-def: $vgpr30
	s_and_saveexec_b32 s7, vcc_lo
	s_cbranch_execz .LBB99_112
; %bb.75:
	v_cmp_ne_u32_e32 vcc_lo, v20, v13
	v_dual_mov_b32 v27, 0 :: v_dual_add_nc_u32 v18, 4, v72
	v_dual_mov_b32 v46, 0 :: v_dual_mov_b32 v47, 0
	v_cndmask_b32_e64 v40, 0, 1, vcc_lo
	v_cndmask_b32_e64 v36, v22, s44, vcc_lo
	s_delay_alu instid0(VALU_DEP_4)
	v_cmp_gt_u32_e32 vcc_lo, s25, v18
	v_dual_mov_b32 v48, 0 :: v_dual_mov_b32 v53, 0
	v_dual_mov_b32 v50, 0 :: v_dual_mov_b32 v59, 0
	;; [unrolled: 1-line block ×15, first 2 shown]
	v_mov_b32_e32 v45, 0
	s_mov_b32 s10, 0
                                        ; implicit-def: $sgpr9
                                        ; implicit-def: $vgpr30
	s_and_saveexec_b32 s8, vcc_lo
	s_cbranch_execz .LBB99_111
; %bb.76:
	v_lshrrev_b32_e32 v18, 16, v22
	v_cmp_ne_u32_e32 vcc_lo, v13, v14
	v_dual_mov_b32 v46, 0 :: v_dual_add_nc_u32 v13, 5, v72
	v_dual_mov_b32 v27, 0 :: v_dual_mov_b32 v48, 0
	v_cndmask_b32_e64 v42, 0, 1, vcc_lo
	v_cndmask_b32_e64 v37, v18, s44, vcc_lo
	s_delay_alu instid0(VALU_DEP_4)
	v_cmp_gt_u32_e32 vcc_lo, s25, v13
	v_dual_mov_b32 v47, 0 :: v_dual_mov_b32 v50, 0
	v_dual_mov_b32 v53, 0 :: v_dual_mov_b32 v56, 0
	;; [unrolled: 1-line block ×13, first 2 shown]
	v_mov_b32_e32 v61, 0
	v_mov_b32_e32 v41, 0
	;; [unrolled: 1-line block ×3, first 2 shown]
                                        ; implicit-def: $sgpr11
                                        ; implicit-def: $vgpr30
	s_and_saveexec_b32 s9, vcc_lo
	s_cbranch_execz .LBB99_110
; %bb.77:
	v_cmp_ne_u32_e32 vcc_lo, v14, v15
	v_dual_mov_b32 v46, 0 :: v_dual_add_nc_u32 v13, 6, v72
	v_dual_mov_b32 v27, 0 :: v_dual_mov_b32 v48, 0
	v_cndmask_b32_e64 v43, 0, 1, vcc_lo
	v_cndmask_b32_e64 v41, v23, s44, vcc_lo
	s_delay_alu instid0(VALU_DEP_4)
	v_cmp_gt_u32_e32 vcc_lo, s25, v13
	v_dual_mov_b32 v47, 0 :: v_dual_mov_b32 v50, 0
	v_dual_mov_b32 v53, 0 :: v_dual_mov_b32 v56, 0
	;; [unrolled: 1-line block ×13, first 2 shown]
	v_mov_b32_e32 v45, 0
	s_mov_b32 s12, 0
                                        ; implicit-def: $sgpr11
                                        ; implicit-def: $vgpr30
	s_and_saveexec_b32 s10, vcc_lo
	s_cbranch_execz .LBB99_109
; %bb.78:
	v_lshrrev_b32_e32 v13, 16, v23
	v_cmp_ne_u32_e32 vcc_lo, v15, v16
	v_dual_mov_b32 v27, 0 :: v_dual_add_nc_u32 v14, 7, v72
	v_dual_mov_b32 v46, 0 :: v_dual_mov_b32 v47, 0
	v_cndmask_b32_e64 v44, 0, 1, vcc_lo
	v_cndmask_b32_e64 v45, v13, s44, vcc_lo
	s_delay_alu instid0(VALU_DEP_4)
	v_cmp_gt_u32_e32 vcc_lo, s25, v14
	v_dual_mov_b32 v48, 0 :: v_dual_mov_b32 v53, 0
	v_dual_mov_b32 v50, 0 :: v_dual_mov_b32 v59, 0
	;; [unrolled: 1-line block ×12, first 2 shown]
	v_mov_b32_e32 v28, 0
                                        ; implicit-def: $sgpr13
                                        ; implicit-def: $vgpr30
	s_and_saveexec_b32 s11, vcc_lo
	s_cbranch_execz .LBB99_108
; %bb.79:
	v_cmp_ne_u32_e32 vcc_lo, v16, v9
	v_dual_mov_b32 v46, 0 :: v_dual_add_nc_u32 v13, 8, v72
	v_dual_mov_b32 v27, 0 :: v_dual_mov_b32 v48, 0
	v_cndmask_b32_e64 v49, 0, 1, vcc_lo
	v_cndmask_b32_e64 v28, v24, s44, vcc_lo
	s_delay_alu instid0(VALU_DEP_4)
	v_cmp_gt_u32_e32 vcc_lo, s25, v13
	v_dual_mov_b32 v47, 0 :: v_dual_mov_b32 v50, 0
	v_dual_mov_b32 v53, 0 :: v_dual_mov_b32 v56, 0
	;; [unrolled: 1-line block ×11, first 2 shown]
	v_mov_b32_e32 v61, 0
	s_mov_b32 s14, 0
                                        ; implicit-def: $sgpr13
                                        ; implicit-def: $vgpr30
	s_and_saveexec_b32 s12, vcc_lo
	s_cbranch_execz .LBB99_107
; %bb.80:
	v_lshrrev_b32_e32 v13, 16, v24
	v_cmp_ne_u32_e32 vcc_lo, v9, v10
	v_dual_mov_b32 v46, 0 :: v_dual_add_nc_u32 v9, 9, v72
	v_dual_mov_b32 v27, 0 :: v_dual_mov_b32 v48, 0
	v_cndmask_b32_e64 v51, 0, 1, vcc_lo
	v_cndmask_b32_e64 v60, v13, s44, vcc_lo
	s_delay_alu instid0(VALU_DEP_4)
	v_cmp_gt_u32_e32 vcc_lo, s25, v9
	v_dual_mov_b32 v47, 0 :: v_dual_mov_b32 v50, 0
	v_dual_mov_b32 v53, 0 :: v_dual_mov_b32 v56, 0
	;; [unrolled: 1-line block ×10, first 2 shown]
	v_mov_b32_e32 v61, 0
	s_mov_b32 s16, 0
                                        ; implicit-def: $sgpr2
                                        ; implicit-def: $vgpr30
	s_and_saveexec_b32 s13, vcc_lo
	s_cbranch_execz .LBB99_106
; %bb.81:
	ds_load_b128 v[13:16], v17 offset:18
	v_cmp_ne_u32_e32 vcc_lo, v10, v11
	v_dual_mov_b32 v46, 0 :: v_dual_add_nc_u32 v9, 10, v72
	v_dual_mov_b32 v27, 0 :: v_dual_mov_b32 v48, 0
	v_cndmask_b32_e64 v52, 0, 1, vcc_lo
	v_dual_mov_b32 v47, 0 :: v_dual_mov_b32 v50, 0
	v_dual_mov_b32 v53, 0 :: v_dual_mov_b32 v56, 0
	;; [unrolled: 1-line block ×7, first 2 shown]
	s_waitcnt lgkmcnt(0)
	v_cndmask_b32_e64 v62, v13, s44, vcc_lo
	v_dual_mov_b32 v67, 0 :: v_dual_mov_b32 v64, 0
	v_mov_b32_e32 v65, 0
	v_mov_b32_e32 v63, 0
	;; [unrolled: 1-line block ×3, first 2 shown]
	s_mov_b32 s17, 0
	s_mov_b32 s14, exec_lo
                                        ; implicit-def: $sgpr18
                                        ; implicit-def: $vgpr30
	v_cmpx_gt_u32_e64 s25, v9
	s_cbranch_execz .LBB99_105
; %bb.82:
	v_lshrrev_b32_e32 v9, 16, v13
	v_cmp_ne_u32_e32 vcc_lo, v11, v12
	v_dual_mov_b32 v27, 0 :: v_dual_add_nc_u32 v10, 11, v72
	v_dual_mov_b32 v46, 0 :: v_dual_mov_b32 v47, 0
	v_cndmask_b32_e64 v54, 0, 1, vcc_lo
	v_cndmask_b32_e64 v61, v9, s44, vcc_lo
	s_delay_alu instid0(VALU_DEP_4)
	v_cmp_gt_u32_e32 vcc_lo, s25, v10
	v_dual_mov_b32 v48, 0 :: v_dual_mov_b32 v53, 0
	v_dual_mov_b32 v50, 0 :: v_dual_mov_b32 v59, 0
	;; [unrolled: 1-line block ×8, first 2 shown]
	v_mov_b32_e32 v63, 0
	s_mov_b32 s2, 0
                                        ; implicit-def: $sgpr18
                                        ; implicit-def: $vgpr30
	s_and_saveexec_b32 s16, vcc_lo
	s_cbranch_execz .LBB99_104
; %bb.83:
	v_cmp_ne_u32_e32 vcc_lo, v12, v5
	v_dual_mov_b32 v46, 0 :: v_dual_add_nc_u32 v9, 12, v72
	v_dual_mov_b32 v27, 0 :: v_dual_mov_b32 v48, 0
	v_cndmask_b32_e64 v55, 0, 1, vcc_lo
	v_cndmask_b32_e64 v63, v14, s44, vcc_lo
	s_delay_alu instid0(VALU_DEP_4)
	v_cmp_gt_u32_e32 vcc_lo, s25, v9
	v_dual_mov_b32 v47, 0 :: v_dual_mov_b32 v50, 0
	v_dual_mov_b32 v53, 0 :: v_dual_mov_b32 v56, 0
	;; [unrolled: 1-line block ×7, first 2 shown]
	v_mov_b32_e32 v65, 0
	s_mov_b32 s19, 0
                                        ; implicit-def: $sgpr18
                                        ; implicit-def: $vgpr30
	s_and_saveexec_b32 s17, vcc_lo
	s_cbranch_execz .LBB99_103
; %bb.84:
	v_lshrrev_b32_e32 v9, 16, v14
	v_cmp_ne_u32_e32 vcc_lo, v5, v6
	v_dual_mov_b32 v46, 0 :: v_dual_add_nc_u32 v5, 13, v72
	v_dual_mov_b32 v27, 0 :: v_dual_mov_b32 v48, 0
	v_cndmask_b32_e64 v58, 0, 1, vcc_lo
	v_cndmask_b32_e64 v64, v9, s44, vcc_lo
	v_dual_mov_b32 v47, 0 :: v_dual_mov_b32 v50, 0
	v_dual_mov_b32 v53, 0 :: v_dual_mov_b32 v56, 0
	;; [unrolled: 1-line block ×5, first 2 shown]
	v_mov_b32_e32 v69, 0
	v_mov_b32_e32 v67, 0
	;; [unrolled: 1-line block ×3, first 2 shown]
	s_mov_b32 s18, exec_lo
                                        ; implicit-def: $sgpr20
                                        ; implicit-def: $vgpr30
	v_cmpx_gt_u32_e64 s25, v5
	s_cbranch_execz .LBB99_102
; %bb.85:
	v_cmp_ne_u32_e32 vcc_lo, v6, v7
	v_dual_mov_b32 v46, 0 :: v_dual_add_nc_u32 v5, 14, v72
	v_dual_mov_b32 v27, 0 :: v_dual_mov_b32 v48, 0
	v_cndmask_b32_e64 v57, 0, 1, vcc_lo
	v_cndmask_b32_e64 v65, v15, s44, vcc_lo
	v_dual_mov_b32 v47, 0 :: v_dual_mov_b32 v50, 0
	v_dual_mov_b32 v53, 0 :: v_dual_mov_b32 v56, 0
	;; [unrolled: 1-line block ×5, first 2 shown]
	v_mov_b32_e32 v67, 0
	s_mov_b32 s21, 0
	s_mov_b32 s19, exec_lo
                                        ; implicit-def: $sgpr20
                                        ; implicit-def: $vgpr30
	v_cmpx_gt_u32_e64 s25, v5
	s_cbranch_execz .LBB99_101
; %bb.86:
	v_lshrrev_b32_e32 v5, 16, v15
	v_cmp_ne_u32_e32 vcc_lo, v7, v8
	v_dual_mov_b32 v27, 0 :: v_dual_add_nc_u32 v6, 15, v72
	v_dual_mov_b32 v46, 0 :: v_dual_mov_b32 v47, 0
	v_cndmask_b32_e64 v59, 0, 1, vcc_lo
	v_cndmask_b32_e64 v66, v5, s44, vcc_lo
	v_dual_mov_b32 v48, 0 :: v_dual_mov_b32 v53, 0
	v_dual_mov_b32 v50, 0 :: v_dual_mov_b32 v31, 0
	;; [unrolled: 1-line block ×4, first 2 shown]
	v_mov_b32_e32 v68, 0
	s_mov_b32 s20, exec_lo
                                        ; implicit-def: $sgpr22
                                        ; implicit-def: $vgpr30
	v_cmpx_gt_u32_e64 s25, v6
	s_cbranch_execz .LBB99_100
; %bb.87:
	v_cmp_ne_u32_e32 vcc_lo, v8, v1
	v_dual_mov_b32 v46, 0 :: v_dual_add_nc_u32 v5, 16, v72
	v_dual_mov_b32 v27, 0 :: v_dual_mov_b32 v48, 0
	v_cndmask_b32_e64 v56, 0, 1, vcc_lo
	v_cndmask_b32_e64 v67, v16, s44, vcc_lo
	v_dual_mov_b32 v47, 0 :: v_dual_mov_b32 v50, 0
	v_dual_mov_b32 v53, 0 :: v_dual_mov_b32 v32, 0
	;; [unrolled: 1-line block ×3, first 2 shown]
	v_mov_b32_e32 v69, 0
	s_mov_b32 s23, 0
	s_mov_b32 s21, exec_lo
                                        ; implicit-def: $sgpr22
                                        ; implicit-def: $vgpr30
	v_cmpx_gt_u32_e64 s25, v5
	s_cbranch_execz .LBB99_99
; %bb.88:
	v_lshrrev_b32_e32 v5, 16, v16
	v_cmp_ne_u32_e32 vcc_lo, v1, v2
	v_dual_mov_b32 v46, 0 :: v_dual_add_nc_u32 v1, 17, v72
	v_dual_mov_b32 v27, 0 :: v_dual_mov_b32 v48, 0
	v_cndmask_b32_e64 v53, 0, 1, vcc_lo
	v_cndmask_b32_e64 v68, v5, s44, vcc_lo
	v_dual_mov_b32 v47, 0 :: v_dual_mov_b32 v50, 0
	v_dual_mov_b32 v32, 0 :: v_dual_mov_b32 v31, 0
	v_mov_b32_e32 v69, 0
	s_mov_b32 s24, 0
	s_mov_b32 s22, exec_lo
                                        ; implicit-def: $sgpr2
                                        ; implicit-def: $vgpr30
	v_cmpx_gt_u32_e64 s25, v1
	s_cbranch_execz .LBB99_98
; %bb.89:
	ds_load_b64 v[5:6], v17 offset:34
	v_cmp_ne_u32_e32 vcc_lo, v2, v3
	v_dual_mov_b32 v46, 0 :: v_dual_add_nc_u32 v1, 18, v72
	v_dual_mov_b32 v27, 0 :: v_dual_mov_b32 v48, 0
	v_cndmask_b32_e64 v50, 0, 1, vcc_lo
	v_dual_mov_b32 v47, 0 :: v_dual_mov_b32 v32, 0
	v_mov_b32_e32 v31, 0
	s_mov_b32 s40, 0
	s_mov_b32 s23, exec_lo
                                        ; implicit-def: $sgpr41
                                        ; implicit-def: $vgpr30
	s_waitcnt lgkmcnt(0)
	v_cndmask_b32_e64 v69, v5, s44, vcc_lo
	v_cmpx_gt_u32_e64 s25, v1
	s_cbranch_execz .LBB99_97
; %bb.90:
	v_lshrrev_b32_e32 v1, 16, v5
	v_cmp_ne_u32_e32 vcc_lo, v3, v4
	v_dual_mov_b32 v27, 0 :: v_dual_add_nc_u32 v2, 19, v72
	v_dual_mov_b32 v46, 0 :: v_dual_mov_b32 v47, 0
	v_cndmask_b32_e64 v48, 0, 1, vcc_lo
	v_cndmask_b32_e64 v31, v1, s44, vcc_lo
	v_mov_b32_e32 v32, 0
	s_mov_b32 s41, 0
	s_mov_b32 s2, exec_lo
                                        ; implicit-def: $sgpr24
                                        ; implicit-def: $vgpr30
	v_cmpx_gt_u32_e64 s25, v2
	s_cbranch_execz .LBB99_96
; %bb.91:
	v_cmp_ne_u32_e32 vcc_lo, v4, v25
	v_dual_mov_b32 v46, 0 :: v_dual_add_nc_u32 v1, 20, v72
	v_mov_b32_e32 v27, 0
	s_mov_b32 s24, exec_lo
	v_cndmask_b32_e64 v47, 0, 1, vcc_lo
	v_cndmask_b32_e64 v32, v6, s44, vcc_lo
                                        ; implicit-def: $sgpr42
                                        ; implicit-def: $vgpr30
	v_cmpx_gt_u32_e64 s25, v1
	s_cbranch_execz .LBB99_95
; %bb.92:
	v_lshrrev_b32_e32 v1, 16, v6
	v_cmp_ne_u32_e32 vcc_lo, v25, v26
	v_add_nc_u32_e32 v2, 21, v72
                                        ; implicit-def: $vgpr30
	v_cndmask_b32_e64 v46, 0, 1, vcc_lo
	s_delay_alu instid0(VALU_DEP_4) | instskip(NEXT) | instid1(VALU_DEP_3)
	v_cndmask_b32_e64 v27, v1, s44, vcc_lo
	v_cmp_gt_u32_e32 vcc_lo, s25, v2
                                        ; implicit-def: $sgpr25
	s_and_saveexec_b32 s41, vcc_lo
	s_delay_alu instid0(SALU_CYCLE_1)
	s_xor_b32 s41, exec_lo, s41
	s_cbranch_execz .LBB99_94
; %bb.93:
	ds_load_u16 v1, v17 offset:42
	v_cmp_ne_u32_e32 vcc_lo, v26, v71
	s_mov_b32 s40, exec_lo
	s_and_b32 s25, vcc_lo, exec_lo
	s_waitcnt lgkmcnt(0)
	v_cndmask_b32_e64 v30, v1, s44, vcc_lo
.LBB99_94:
	s_or_b32 exec_lo, exec_lo, s41
	s_delay_alu instid0(SALU_CYCLE_1)
	s_and_b32 s42, s25, exec_lo
	s_and_b32 s41, s40, exec_lo
.LBB99_95:
	s_or_b32 exec_lo, exec_lo, s24
	s_delay_alu instid0(SALU_CYCLE_1)
	s_and_b32 s24, s42, exec_lo
	s_and_b32 s40, s41, exec_lo
.LBB99_96:
	s_or_b32 exec_lo, exec_lo, s2
	s_delay_alu instid0(SALU_CYCLE_1)
	s_and_b32 s41, s24, exec_lo
	s_and_b32 s24, s40, exec_lo
.LBB99_97:
	s_or_b32 exec_lo, exec_lo, s23
	s_delay_alu instid0(SALU_CYCLE_1)
	s_and_b32 s2, s41, exec_lo
	s_and_b32 s23, s24, exec_lo
.LBB99_98:
	s_or_b32 exec_lo, exec_lo, s22
	s_delay_alu instid0(SALU_CYCLE_1)
	s_and_b32 s22, s2, exec_lo
	s_and_b32 s2, s23, exec_lo
.LBB99_99:
	s_or_b32 exec_lo, exec_lo, s21
	s_delay_alu instid0(SALU_CYCLE_1)
	s_and_b32 s22, s22, exec_lo
	s_and_b32 s21, s2, exec_lo
.LBB99_100:
	s_or_b32 exec_lo, exec_lo, s20
	s_delay_alu instid0(SALU_CYCLE_1)
	s_and_b32 s20, s22, exec_lo
	s_and_b32 s2, s21, exec_lo
.LBB99_101:
	s_or_b32 exec_lo, exec_lo, s19
	s_delay_alu instid0(SALU_CYCLE_1)
	s_and_b32 s20, s20, exec_lo
	s_and_b32 s19, s2, exec_lo
.LBB99_102:
	s_or_b32 exec_lo, exec_lo, s18
	s_delay_alu instid0(SALU_CYCLE_1)
	s_and_b32 s18, s20, exec_lo
	s_and_b32 s2, s19, exec_lo
.LBB99_103:
	s_or_b32 exec_lo, exec_lo, s17
	s_delay_alu instid0(SALU_CYCLE_1)
	s_and_b32 s18, s18, exec_lo
	s_and_b32 s17, s2, exec_lo
.LBB99_104:
	s_or_b32 exec_lo, exec_lo, s16
	s_delay_alu instid0(SALU_CYCLE_1)
	s_and_b32 s18, s18, exec_lo
	s_and_b32 s16, s17, exec_lo
.LBB99_105:
	s_or_b32 exec_lo, exec_lo, s14
	s_delay_alu instid0(SALU_CYCLE_1)
	s_and_b32 s2, s18, exec_lo
	s_and_b32 s14, s16, exec_lo
.LBB99_106:
	s_or_b32 exec_lo, exec_lo, s13
	s_delay_alu instid0(SALU_CYCLE_1)
	s_and_b32 s13, s2, exec_lo
	s_and_b32 s2, s14, exec_lo
.LBB99_107:
	s_or_b32 exec_lo, exec_lo, s12
	s_delay_alu instid0(SALU_CYCLE_1)
	s_and_b32 s13, s13, exec_lo
	s_and_b32 s12, s2, exec_lo
.LBB99_108:
	s_or_b32 exec_lo, exec_lo, s11
	s_delay_alu instid0(SALU_CYCLE_1)
	s_and_b32 s11, s13, exec_lo
	s_and_b32 s2, s12, exec_lo
.LBB99_109:
	s_or_b32 exec_lo, exec_lo, s10
	s_delay_alu instid0(SALU_CYCLE_1)
	s_and_b32 s11, s11, exec_lo
	s_and_b32 s10, s2, exec_lo
.LBB99_110:
	s_or_b32 exec_lo, exec_lo, s9
	s_delay_alu instid0(SALU_CYCLE_1)
	s_and_b32 s9, s11, exec_lo
	s_and_b32 s2, s10, exec_lo
.LBB99_111:
	s_or_b32 exec_lo, exec_lo, s8
	s_delay_alu instid0(SALU_CYCLE_1)
	s_and_b32 s9, s9, exec_lo
	s_and_b32 s8, s2, exec_lo
.LBB99_112:
	s_or_b32 exec_lo, exec_lo, s7
	s_delay_alu instid0(SALU_CYCLE_1)
	s_and_b32 s9, s9, exec_lo
	s_and_b32 s7, s8, exec_lo
.LBB99_113:
	s_or_b32 exec_lo, exec_lo, s6
	s_delay_alu instid0(SALU_CYCLE_1)
	s_and_b32 s8, s9, exec_lo
	s_and_b32 s6, s7, exec_lo
.LBB99_114:
	s_or_b32 exec_lo, exec_lo, s3
	s_delay_alu instid0(SALU_CYCLE_1)
	s_and_b32 s2, s8, exec_lo
	s_and_b32 s3, s6, exec_lo
.LBB99_115:
	s_or_b32 exec_lo, exec_lo, s5
	s_mov_b32 s6, 0
	s_mov_b32 s5, 0
	s_and_b32 vcc_lo, exec_lo, s4
	s_cbranch_vccnz .LBB99_117
	s_branch .LBB99_122
.LBB99_116:
                                        ; implicit-def: $sgpr2
                                        ; implicit-def: $vgpr30
                                        ; implicit-def: $vgpr33
                                        ; implicit-def: $vgpr27
                                        ; implicit-def: $vgpr46
                                        ; implicit-def: $vgpr34
                                        ; implicit-def: $vgpr32
                                        ; implicit-def: $vgpr47
                                        ; implicit-def: $vgpr38
                                        ; implicit-def: $vgpr31
                                        ; implicit-def: $vgpr48
                                        ; implicit-def: $vgpr29
                                        ; implicit-def: $vgpr69
                                        ; implicit-def: $vgpr50
                                        ; implicit-def: $vgpr39
                                        ; implicit-def: $vgpr68
                                        ; implicit-def: $vgpr53
                                        ; implicit-def: $vgpr35
                                        ; implicit-def: $vgpr67
                                        ; implicit-def: $vgpr56
                                        ; implicit-def: $vgpr40
                                        ; implicit-def: $vgpr66
                                        ; implicit-def: $vgpr59
                                        ; implicit-def: $vgpr36
                                        ; implicit-def: $vgpr65
                                        ; implicit-def: $vgpr57
                                        ; implicit-def: $vgpr42
                                        ; implicit-def: $vgpr64
                                        ; implicit-def: $vgpr58
                                        ; implicit-def: $vgpr37
                                        ; implicit-def: $vgpr63
                                        ; implicit-def: $vgpr55
                                        ; implicit-def: $vgpr43
                                        ; implicit-def: $vgpr61
                                        ; implicit-def: $vgpr54
                                        ; implicit-def: $vgpr41
                                        ; implicit-def: $vgpr62
                                        ; implicit-def: $vgpr52
                                        ; implicit-def: $vgpr44
                                        ; implicit-def: $vgpr60
                                        ; implicit-def: $vgpr51
                                        ; implicit-def: $vgpr45
                                        ; implicit-def: $vgpr28
                                        ; implicit-def: $vgpr49
                                        ; implicit-def: $sgpr5
                                        ; implicit-def: $sgpr6
	s_cbranch_execz .LBB99_122
.LBB99_117:
	v_add_co_u32 v1, s2, s34, v70
	s_delay_alu instid0(VALU_DEP_1)
	v_add_co_ci_u32_e64 v2, null, s35, 0, s2
	s_clause 0x9
	global_load_b32 v3, v70, s[34:35]
	global_load_b32 v4, v70, s[34:35] offset:256
	global_load_b32 v5, v70, s[34:35] offset:512
	global_load_b32 v6, v70, s[34:35] offset:768
	global_load_b32 v7, v70, s[34:35] offset:1024
	global_load_b32 v8, v70, s[34:35] offset:1280
	global_load_b32 v9, v70, s[34:35] offset:1536
	global_load_b32 v10, v70, s[34:35] offset:1792
	global_load_b32 v11, v70, s[34:35] offset:2048
	global_load_b32 v12, v70, s[34:35] offset:2304
	v_add_co_u32 v1, vcc_lo, 0x1000, v1
	v_add_co_ci_u32_e32 v2, vcc_lo, 0, v2, vcc_lo
	s_clause 0xb
	global_load_b32 v13, v70, s[34:35] offset:2560
	global_load_b32 v14, v70, s[34:35] offset:2816
	;; [unrolled: 1-line block ×6, first 2 shown]
	global_load_b32 v19, v[1:2], off
	global_load_b32 v20, v[1:2], off offset:256
	global_load_b32 v21, v[1:2], off offset:512
	global_load_b32 v22, v[1:2], off offset:768
	global_load_b32 v23, v[1:2], off offset:1024
	global_load_b32 v1, v[1:2], off offset:1280
	v_mad_u32_u24 v24, 0x54, v0, v70
	s_waitcnt vmcnt(20)
	ds_store_2addr_stride64_b32 v70, v3, v4 offset1:1
	s_waitcnt vmcnt(18)
	ds_store_2addr_stride64_b32 v70, v5, v6 offset0:2 offset1:3
	s_waitcnt vmcnt(16)
	ds_store_2addr_stride64_b32 v70, v7, v8 offset0:4 offset1:5
	;; [unrolled: 2-line block ×10, first 2 shown]
	s_waitcnt lgkmcnt(0)
	s_barrier
	buffer_gl0_inv
	s_load_b32 s2, s[34:35], 0x1600
	ds_load_2addr_b64 v[17:20], v24 offset1:1
	ds_load_2addr_b64 v[13:16], v24 offset0:2 offset1:3
	ds_load_2addr_b64 v[9:12], v24 offset0:4 offset1:5
	;; [unrolled: 1-line block ×4, first 2 shown]
	ds_load_b64 v[29:30], v24 offset:80
	v_mad_i32_i24 v21, 0xffffffac, v0, v24
	s_waitcnt lgkmcnt(0)
	ds_store_b32 v21, v17 offset:5888
	s_waitcnt lgkmcnt(0)
	s_barrier
	buffer_gl0_inv
	v_mov_b32_e32 v71, s2
	s_mov_b32 s2, exec_lo
	v_cmpx_ne_u32_e32 63, v0
	s_cbranch_execz .LBB99_119
; %bb.118:
	ds_load_b32 v71, v70 offset:5892
.LBB99_119:
	s_or_b32 exec_lo, exec_lo, s2
	v_lshlrev_b32_e32 v22, 1, v0
	s_waitcnt lgkmcnt(0)
	s_barrier
	buffer_gl0_inv
	v_cmp_ne_u32_e32 vcc_lo, v17, v18
	s_clause 0x15
	global_load_u16 v23, v22, s[26:27]
	global_load_u16 v24, v22, s[26:27] offset:128
	global_load_u16 v25, v22, s[26:27] offset:256
	;; [unrolled: 1-line block ×21, first 2 shown]
	v_sub_nc_u32_e32 v33, v21, v22
	s_mov_b32 s3, exec_lo
	s_waitcnt vmcnt(21)
	ds_store_b16 v33, v23
	s_waitcnt vmcnt(20)
	ds_store_b16 v33, v24 offset:128
	s_waitcnt vmcnt(19)
	ds_store_b16 v33, v25 offset:256
	;; [unrolled: 2-line block ×21, first 2 shown]
	v_mad_u32_u24 v48, v0, 42, v33
	s_waitcnt lgkmcnt(0)
	s_barrier
	buffer_gl0_inv
	ds_load_b128 v[25:28], v48 offset:2
	ds_load_b128 v[21:24], v48 offset:18
	ds_load_b64 v[31:32], v48 offset:34
	ds_load_u16 v70, v48 offset:42
	v_mov_b32_e32 v34, s44
	v_cmpx_eq_u32_e64 v17, v18
	s_cbranch_execz .LBB99_121
; %bb.120:
	v_mul_u32_u24_e32 v17, 42, v0
	s_delay_alu instid0(VALU_DEP_1)
	v_add_nc_u32_e32 v17, v33, v17
	ds_load_u16 v34, v17
.LBB99_121:
	s_or_b32 exec_lo, exec_lo, s3
	s_waitcnt lgkmcnt(3)
	v_lshrrev_b32_e32 v17, 16, v25
	v_cmp_ne_u32_e64 s2, v19, v20
	v_lshrrev_b32_e32 v37, 16, v26
	v_lshrrev_b32_e32 v45, 16, v27
	v_lshrrev_b32_e32 v60, 16, v28
	s_waitcnt lgkmcnt(2)
	v_lshrrev_b32_e32 v61, 16, v21
	v_lshrrev_b32_e32 v64, 16, v22
	;; [unrolled: 1-line block ×4, first 2 shown]
	s_waitcnt lgkmcnt(1)
	v_lshrrev_b32_e32 v72, 16, v31
	v_lshrrev_b32_e32 v73, 16, v32
	v_cndmask_b32_e64 v33, 0, 1, vcc_lo
	v_cmp_ne_u32_e32 vcc_lo, v18, v19
	v_cndmask_b32_e64 v39, 0, 1, s2
	v_cmp_ne_u32_e64 s3, v20, v13
	v_cmp_ne_u32_e64 s4, v13, v14
	;; [unrolled: 1-line block ×18, first 2 shown]
	v_cndmask_b32_e64 v35, v17, s44, s2
	v_cmp_ne_u32_e64 s2, v30, v71
	v_cndmask_b32_e64 v38, 0, 1, vcc_lo
	v_cndmask_b32_e64 v40, 0, 1, s3
	v_cndmask_b32_e64 v42, 0, 1, s4
	;; [unrolled: 1-line block ×18, first 2 shown]
	v_cndmask_b32_e64 v29, v25, s44, vcc_lo
	v_cndmask_b32_e64 v36, v26, s44, s3
	v_cndmask_b32_e64 v37, v37, s44, s4
	;; [unrolled: 1-line block ×18, first 2 shown]
	s_waitcnt lgkmcnt(0)
	v_cndmask_b32_e64 v30, v70, s44, s2
	s_mov_b32 s3, -1
                                        ; implicit-def: $sgpr5
                                        ; implicit-def: $sgpr6
.LBB99_122:
	v_dual_mov_b32 v8, s6 :: v_dual_mov_b32 v9, s5
	s_and_saveexec_b32 s4, s3
; %bb.123:
	v_cndmask_b32_e64 v8, 0, 1, s2
	v_mov_b32_e32 v9, v30
; %bb.124:
	s_or_b32 exec_lo, exec_lo, s4
	v_and_b32_e32 v10, 0xff, v38
	s_cmp_lg_u32 s15, 0
	s_barrier
	buffer_gl0_inv
	s_cbranch_scc0 .LBB99_209
; %bb.125:
	v_cmp_eq_u16_e64 s2, 0, v10
	s_mov_b32 s3, exec_lo
                                        ; implicit-def: $vgpr1
	v_cmpx_ne_u16_e32 0, v10
	s_xor_b32 s3, exec_lo, s3
; %bb.126:
	v_mov_b32_e32 v1, v29
; %bb.127:
	s_and_not1_saveexec_b32 s3, s3
; %bb.128:
	v_cmp_gt_f16_e32 vcc_lo, v29, v34
	v_cndmask_b32_e32 v1, v34, v29, vcc_lo
; %bb.129:
	s_or_b32 exec_lo, exec_lo, s3
	v_and_b32_e32 v2, 0xff, v39
	s_delay_alu instid0(VALU_DEP_2) | instskip(SKIP_2) | instid1(VALU_DEP_4)
	v_cmp_lt_f16_e32 vcc_lo, v1, v35
	v_or_b32_e32 v3, v8, v46
	v_lshrrev_b32_e32 v4, 5, v0
	v_cmp_eq_u16_e64 s3, 0, v2
	v_dual_cndmask_b32 v1, v1, v35 :: v_dual_and_b32 v2, 0xff, v40
	s_delay_alu instid0(VALU_DEP_4) | instskip(NEXT) | instid1(VALU_DEP_4)
	v_or_b32_e32 v3, v3, v47
	v_add_lshl_u32 v4, v4, v0, 2
	s_delay_alu instid0(VALU_DEP_3) | instskip(NEXT) | instid1(VALU_DEP_4)
	v_cndmask_b32_e64 v1, v35, v1, s3
	v_cmp_eq_u16_e64 s4, 0, v2
	s_delay_alu instid0(VALU_DEP_4) | instskip(NEXT) | instid1(VALU_DEP_3)
	v_or_b32_e32 v3, v3, v48
	v_cmp_lt_f16_e32 vcc_lo, v1, v36
	s_delay_alu instid0(VALU_DEP_2) | instskip(SKIP_1) | instid1(VALU_DEP_2)
	v_or_b32_e32 v3, v3, v50
	v_cndmask_b32_e32 v1, v1, v36, vcc_lo
	v_or_b32_e32 v3, v3, v53
	s_delay_alu instid0(VALU_DEP_2) | instskip(NEXT) | instid1(VALU_DEP_2)
	v_cndmask_b32_e64 v1, v36, v1, s4
	v_or_b32_e32 v3, v3, v56
	s_delay_alu instid0(VALU_DEP_2) | instskip(SKIP_1) | instid1(VALU_DEP_3)
	v_cmp_lt_f16_e32 vcc_lo, v1, v37
	v_and_b32_e32 v2, 0xff, v42
	v_or_b32_e32 v3, v3, v59
	v_cndmask_b32_e32 v1, v1, v37, vcc_lo
	s_delay_alu instid0(VALU_DEP_3) | instskip(NEXT) | instid1(VALU_DEP_3)
	v_cmp_eq_u16_e64 s5, 0, v2
	v_or_b32_e32 v3, v3, v57
	s_delay_alu instid0(VALU_DEP_2) | instskip(NEXT) | instid1(VALU_DEP_2)
	v_cndmask_b32_e64 v1, v37, v1, s5
	v_or_b32_e32 v3, v3, v58
	s_delay_alu instid0(VALU_DEP_2) | instskip(SKIP_1) | instid1(VALU_DEP_3)
	v_cmp_lt_f16_e32 vcc_lo, v1, v41
	v_and_b32_e32 v2, 0xff, v43
	v_or_b32_e32 v3, v3, v55
	v_cndmask_b32_e32 v1, v1, v41, vcc_lo
	s_delay_alu instid0(VALU_DEP_3) | instskip(NEXT) | instid1(VALU_DEP_3)
	v_cmp_eq_u16_e64 s6, 0, v2
	;; [unrolled: 11-line block ×4, first 2 shown]
	v_or_b32_e32 v3, v3, v42
	s_delay_alu instid0(VALU_DEP_2) | instskip(NEXT) | instid1(VALU_DEP_1)
	v_cndmask_b32_e64 v1, v28, v1, s8
	v_cmp_lt_f16_e32 vcc_lo, v1, v60
	v_dual_cndmask_b32 v1, v1, v60 :: v_dual_and_b32 v2, 0xff, v51
	s_delay_alu instid0(VALU_DEP_1) | instskip(NEXT) | instid1(VALU_DEP_1)
	v_cmp_eq_u16_e64 s9, 0, v2
	v_cndmask_b32_e64 v1, v60, v1, s9
	s_delay_alu instid0(VALU_DEP_1) | instskip(SKIP_1) | instid1(VALU_DEP_1)
	v_cmp_lt_f16_e32 vcc_lo, v1, v62
	v_dual_cndmask_b32 v1, v1, v62 :: v_dual_and_b32 v2, 0xff, v52
	v_cmp_eq_u16_e64 s10, 0, v2
	s_delay_alu instid0(VALU_DEP_1) | instskip(NEXT) | instid1(VALU_DEP_1)
	v_cndmask_b32_e64 v1, v62, v1, s10
	v_cmp_lt_f16_e32 vcc_lo, v1, v61
	v_dual_cndmask_b32 v1, v1, v61 :: v_dual_and_b32 v2, 0xff, v54
	s_delay_alu instid0(VALU_DEP_1) | instskip(SKIP_1) | instid1(VALU_DEP_2)
	v_cmp_eq_u16_e64 s11, 0, v2
	v_and_b32_e32 v2, 0xff, v55
	v_cndmask_b32_e64 v1, v61, v1, s11
	s_delay_alu instid0(VALU_DEP_2) | instskip(SKIP_1) | instid1(VALU_DEP_3)
	v_cmp_eq_u16_e64 s12, 0, v2
	v_and_b32_e32 v2, 0xff, v58
	v_cmp_lt_f16_e32 vcc_lo, v1, v63
	s_delay_alu instid0(VALU_DEP_2) | instskip(SKIP_1) | instid1(VALU_DEP_1)
	v_cmp_eq_u16_e64 s13, 0, v2
	v_dual_cndmask_b32 v1, v1, v63 :: v_dual_and_b32 v2, 0xff, v57
	v_cmp_eq_u16_e64 s14, 0, v2
	v_and_b32_e32 v2, 0xff, v59
	s_delay_alu instid0(VALU_DEP_3) | instskip(NEXT) | instid1(VALU_DEP_2)
	v_cndmask_b32_e64 v1, v63, v1, s12
	v_cmp_eq_u16_e64 s16, 0, v2
	s_delay_alu instid0(VALU_DEP_2) | instskip(SKIP_1) | instid1(VALU_DEP_1)
	v_cmp_lt_f16_e32 vcc_lo, v1, v64
	v_cndmask_b32_e32 v1, v1, v64, vcc_lo
	v_cndmask_b32_e64 v1, v64, v1, s13
	s_delay_alu instid0(VALU_DEP_1) | instskip(SKIP_1) | instid1(VALU_DEP_1)
	v_cmp_lt_f16_e32 vcc_lo, v1, v65
	v_cndmask_b32_e32 v1, v1, v65, vcc_lo
	v_cndmask_b32_e64 v1, v65, v1, s14
	s_delay_alu instid0(VALU_DEP_1) | instskip(SKIP_1) | instid1(VALU_DEP_1)
	;; [unrolled: 4-line block ×3, first 2 shown]
	v_cmp_lt_f16_e32 vcc_lo, v1, v67
	v_dual_cndmask_b32 v1, v1, v67 :: v_dual_and_b32 v2, 0xff, v56
	v_cmp_eq_u16_e64 s17, 0, v2
	s_delay_alu instid0(VALU_DEP_1) | instskip(NEXT) | instid1(VALU_DEP_1)
	v_cndmask_b32_e64 v1, v67, v1, s17
	v_cmp_lt_f16_e32 vcc_lo, v1, v68
	v_dual_cndmask_b32 v1, v1, v68 :: v_dual_and_b32 v2, 0xff, v53
	s_delay_alu instid0(VALU_DEP_1) | instskip(NEXT) | instid1(VALU_DEP_1)
	v_cmp_eq_u16_e64 s18, 0, v2
	v_cndmask_b32_e64 v1, v68, v1, s18
	s_delay_alu instid0(VALU_DEP_1) | instskip(SKIP_1) | instid1(VALU_DEP_1)
	v_cmp_lt_f16_e32 vcc_lo, v1, v69
	v_dual_cndmask_b32 v1, v1, v69 :: v_dual_and_b32 v2, 0xff, v50
	v_cmp_eq_u16_e64 s19, 0, v2
	s_delay_alu instid0(VALU_DEP_1) | instskip(NEXT) | instid1(VALU_DEP_1)
	v_cndmask_b32_e64 v1, v69, v1, s19
	v_cmp_lt_f16_e32 vcc_lo, v1, v31
	v_dual_cndmask_b32 v1, v1, v31 :: v_dual_and_b32 v2, 0xff, v48
	s_delay_alu instid0(VALU_DEP_1) | instskip(NEXT) | instid1(VALU_DEP_1)
	v_cmp_eq_u16_e64 s20, 0, v2
	v_cndmask_b32_e64 v1, v31, v1, s20
	s_delay_alu instid0(VALU_DEP_1) | instskip(SKIP_1) | instid1(VALU_DEP_1)
	v_cmp_lt_f16_e32 vcc_lo, v1, v32
	v_dual_cndmask_b32 v1, v1, v32 :: v_dual_and_b32 v2, 0xff, v47
	v_cmp_eq_u16_e64 s21, 0, v2
	v_or_b32_e32 v2, v3, v40
	v_and_b32_e32 v3, 0xff, v46
	s_delay_alu instid0(VALU_DEP_3) | instskip(NEXT) | instid1(VALU_DEP_3)
	v_cndmask_b32_e64 v1, v32, v1, s21
	v_or_b32_e32 v2, v2, v39
	s_delay_alu instid0(VALU_DEP_3) | instskip(SKIP_1) | instid1(VALU_DEP_4)
	v_cmp_eq_u16_e64 s22, 0, v3
	v_and_b32_e32 v3, 0xff, v8
	v_cmp_lt_f16_e32 vcc_lo, v1, v27
	s_delay_alu instid0(VALU_DEP_4) | instskip(NEXT) | instid1(VALU_DEP_1)
	v_or_b32_e32 v2, v2, v38
	v_dual_cndmask_b32 v1, v1, v27 :: v_dual_and_b32 v2, 1, v2
	s_delay_alu instid0(VALU_DEP_1) | instskip(NEXT) | instid1(VALU_DEP_1)
	v_cndmask_b32_e64 v1, v27, v1, s22
	v_cmp_lt_f16_e32 vcc_lo, v1, v9
	v_cndmask_b32_e32 v1, v1, v9, vcc_lo
	v_cmp_eq_u16_e32 vcc_lo, 0, v3
	s_delay_alu instid0(VALU_DEP_2)
	v_cndmask_b32_e32 v11, v9, v1, vcc_lo
	v_cmp_eq_u32_e32 vcc_lo, 1, v2
	v_cndmask_b32_e64 v12, v33, 1, vcc_lo
	v_cmp_gt_u32_e32 vcc_lo, 32, v0
	ds_store_b16 v4, v11
	ds_store_b8 v4, v12 offset:2
	s_waitcnt lgkmcnt(0)
	s_barrier
	buffer_gl0_inv
	s_and_saveexec_b32 s23, vcc_lo
	s_delay_alu instid0(SALU_CYCLE_1)
	s_xor_b32 s27, exec_lo, s23
	s_cbranch_execz .LBB99_143
; %bb.130:
	v_lshrrev_b32_e32 v1, 2, v0
                                        ; implicit-def: $vgpr3
                                        ; implicit-def: $vgpr13
	s_delay_alu instid0(VALU_DEP_1) | instskip(NEXT) | instid1(VALU_DEP_1)
	v_and_b32_e32 v1, 12, v1
	v_lshl_or_b32 v1, v0, 3, v1
	ds_load_u8 v7, v1 offset:6
	ds_load_u16 v2, v1
	ds_load_u16 v4, v1 offset:2
	s_waitcnt lgkmcnt(2)
	v_cmp_eq_u16_e64 s23, 0, v7
	v_cmp_ne_u16_e64 s24, 0, v7
	s_delay_alu instid0(VALU_DEP_1) | instskip(NEXT) | instid1(SALU_CYCLE_1)
	s_and_saveexec_b32 s25, s24
	s_xor_b32 s24, exec_lo, s25
	s_cbranch_execz .LBB99_132
; %bb.131:
	ds_load_u16 v3, v1 offset:4
	s_waitcnt lgkmcnt(0)
	v_mov_b32_e32 v13, v3
.LBB99_132:
	s_or_saveexec_b32 s25, s24
	s_delay_alu instid0(VALU_DEP_1)
	v_dual_mov_b32 v5, v13 :: v_dual_mov_b32 v14, v3
	s_xor_b32 exec_lo, exec_lo, s25
	s_cbranch_execz .LBB99_134
; %bb.133:
	ds_load_u16 v5, v1 offset:4
	s_waitcnt lgkmcnt(0)
	v_cmp_gt_f16_e64 s24, v5, v2
	v_mov_b32_e32 v3, v5
	s_delay_alu instid0(VALU_DEP_2) | instskip(NEXT) | instid1(VALU_DEP_1)
	v_cndmask_b32_e64 v13, v2, v5, s24
	v_mov_b32_e32 v14, v13
.LBB99_134:
	s_or_b32 exec_lo, exec_lo, s25
	s_waitcnt lgkmcnt(0)
	v_and_b32_e32 v6, 1, v4
	v_and_b32_e32 v16, 1, v7
	v_lshrrev_b16 v15, 8, v4
	s_mov_b32 s26, exec_lo
	s_delay_alu instid0(VALU_DEP_3) | instskip(NEXT) | instid1(VALU_DEP_3)
	v_lshlrev_b32_e32 v17, 16, v6
	v_cmp_eq_u32_e64 s24, 1, v16
	s_delay_alu instid0(VALU_DEP_3) | instskip(SKIP_1) | instid1(VALU_DEP_3)
	v_lshlrev_b32_e32 v7, 24, v15
	v_mbcnt_lo_u32_b32 v15, -1, 0
	v_cndmask_b32_e64 v16, v17, 0x10000, s24
	v_and_b32_e32 v17, 0xffff, v14
	s_delay_alu instid0(VALU_DEP_2) | instskip(NEXT) | instid1(VALU_DEP_2)
	v_or_b32_e32 v19, v16, v7
	v_or3_b32 v18, v7, v17, v16
	v_and_b32_e32 v17, 15, v15
	s_delay_alu instid0(VALU_DEP_3) | instskip(NEXT) | instid1(VALU_DEP_3)
	v_lshrrev_b32_e32 v16, 16, v19
	v_mov_b32_dpp v20, v18 row_shr:1 row_mask:0xf bank_mask:0xf
	s_delay_alu instid0(VALU_DEP_3)
	v_cmpx_ne_u32_e32 0, v17
	s_cbranch_execz .LBB99_136
; %bb.135:
	s_delay_alu instid0(VALU_DEP_3) | instskip(NEXT) | instid1(VALU_DEP_3)
	v_and_b32_e32 v16, 0xff, v16
	v_cmp_gt_f16_e64 s25, v13, v20
	v_lshrrev_b32_e32 v18, 16, v20
	v_and_b32_e32 v19, 0x10000, v19
	s_delay_alu instid0(VALU_DEP_3) | instskip(SKIP_1) | instid1(VALU_DEP_4)
	v_cndmask_b32_e64 v13, v20, v13, s25
	v_cmp_eq_u16_e64 s25, 0, v16
	v_and_b32_e32 v18, 1, v18
	s_delay_alu instid0(VALU_DEP_2) | instskip(SKIP_1) | instid1(VALU_DEP_2)
	v_cndmask_b32_e64 v14, v14, v13, s25
	v_cmp_ne_u32_e64 s25, 0, v19
	v_and_b32_e32 v13, 0xffff, v14
	s_delay_alu instid0(VALU_DEP_2) | instskip(NEXT) | instid1(VALU_DEP_1)
	v_cndmask_b32_e64 v16, v18, 1, s25
	v_lshlrev_b32_e32 v18, 16, v16
	s_delay_alu instid0(VALU_DEP_1)
	v_or3_b32 v18, v18, v13, v7
	v_mov_b32_e32 v13, v14
.LBB99_136:
	s_or_b32 exec_lo, exec_lo, s26
	s_delay_alu instid0(VALU_DEP_2)
	v_lshrrev_b32_e32 v19, 16, v18
	v_mov_b32_dpp v20, v18 row_shr:2 row_mask:0xf bank_mask:0xf
	s_mov_b32 s26, exec_lo
	v_cmpx_lt_u32_e32 1, v17
	s_cbranch_execz .LBB99_138
; %bb.137:
	v_lshrrev_b32_e32 v16, 16, v18
	v_lshrrev_b32_e32 v19, 16, v20
	v_and_b32_e32 v18, 0x10000, v18
	v_cmp_gt_f16_e64 s25, v13, v20
	s_delay_alu instid0(VALU_DEP_4) | instskip(NEXT) | instid1(VALU_DEP_4)
	v_and_b32_e32 v21, 0xff, v16
	v_and_b32_e32 v16, 1, v19
	s_delay_alu instid0(VALU_DEP_3) | instskip(SKIP_1) | instid1(VALU_DEP_1)
	v_cndmask_b32_e64 v13, v20, v13, s25
	v_cmp_ne_u32_e64 s25, 0, v18
	v_cndmask_b32_e64 v16, v16, 1, s25
	v_cmp_eq_u16_e64 s25, 0, v21
	s_delay_alu instid0(VALU_DEP_2) | instskip(NEXT) | instid1(VALU_DEP_2)
	v_lshlrev_b32_e32 v18, 16, v16
	v_cndmask_b32_e64 v13, v14, v13, s25
	s_delay_alu instid0(VALU_DEP_1) | instskip(NEXT) | instid1(VALU_DEP_1)
	v_dual_mov_b32 v14, v13 :: v_dual_and_b32 v19, 0xffff, v13
	v_or3_b32 v18, v18, v19, v7
	v_mov_b32_e32 v19, v16
.LBB99_138:
	s_or_b32 exec_lo, exec_lo, s26
	s_delay_alu instid0(VALU_DEP_2)
	v_mov_b32_dpp v20, v18 row_shr:4 row_mask:0xf bank_mask:0xf
	s_mov_b32 s26, exec_lo
	v_cmpx_lt_u32_e32 3, v17
	s_cbranch_execz .LBB99_140
; %bb.139:
	v_and_b32_e32 v18, 0xff, v19
	v_cmp_gt_f16_e64 s25, v13, v20
	v_lshrrev_b32_e32 v16, 16, v20
	s_delay_alu instid0(VALU_DEP_2) | instskip(NEXT) | instid1(VALU_DEP_4)
	v_cndmask_b32_e64 v13, v20, v13, s25
	v_cmp_eq_u16_e64 s25, 0, v18
	s_delay_alu instid0(VALU_DEP_3) | instskip(NEXT) | instid1(VALU_DEP_2)
	v_and_b32_e32 v16, 1, v16
	v_cndmask_b32_e64 v13, v14, v13, s25
	s_delay_alu instid0(VALU_DEP_1) | instskip(NEXT) | instid1(VALU_DEP_1)
	v_dual_mov_b32 v14, v13 :: v_dual_and_b32 v19, 1, v19
	v_cmp_eq_u32_e64 s25, 1, v19
	v_and_b32_e32 v18, 0xffff, v13
	s_delay_alu instid0(VALU_DEP_2) | instskip(NEXT) | instid1(VALU_DEP_1)
	v_cndmask_b32_e64 v16, v16, 1, s25
	v_lshlrev_b32_e32 v19, 16, v16
	s_delay_alu instid0(VALU_DEP_1)
	v_or3_b32 v18, v19, v18, v7
	v_mov_b32_e32 v19, v16
.LBB99_140:
	s_or_b32 exec_lo, exec_lo, s26
	s_delay_alu instid0(VALU_DEP_2)
	v_mov_b32_dpp v20, v18 row_shr:8 row_mask:0xf bank_mask:0xf
	s_mov_b32 s26, exec_lo
	v_cmpx_lt_u32_e32 7, v17
	s_cbranch_execz .LBB99_142
; %bb.141:
	v_and_b32_e32 v17, 0xff, v19
	v_cmp_gt_f16_e64 s25, v13, v20
	v_lshrrev_b32_e32 v16, 16, v20
	v_and_b32_e32 v18, 1, v19
	s_delay_alu instid0(VALU_DEP_3) | instskip(SKIP_1) | instid1(VALU_DEP_4)
	v_cndmask_b32_e64 v13, v20, v13, s25
	v_cmp_eq_u16_e64 s25, 0, v17
	v_and_b32_e32 v16, 1, v16
	s_delay_alu instid0(VALU_DEP_2) | instskip(SKIP_1) | instid1(VALU_DEP_2)
	v_cndmask_b32_e64 v13, v14, v13, s25
	v_cmp_eq_u32_e64 s25, 1, v18
	v_and_b32_e32 v17, 0xffff, v13
	s_delay_alu instid0(VALU_DEP_2) | instskip(NEXT) | instid1(VALU_DEP_1)
	v_cndmask_b32_e64 v16, v16, 1, s25
	v_dual_mov_b32 v14, v13 :: v_dual_mov_b32 v19, v16
	v_lshlrev_b32_e32 v18, 16, v16
	s_delay_alu instid0(VALU_DEP_1)
	v_or3_b32 v18, v18, v17, v7
.LBB99_142:
	s_or_b32 exec_lo, exec_lo, s26
	ds_swizzle_b32 v17, v18 offset:swizzle(BROADCAST,32,15)
	v_and_b32_e32 v20, 0xff, v19
	v_and_b32_e32 v19, 1, v19
	;; [unrolled: 1-line block ×4, first 2 shown]
	v_cmp_eq_u32_e64 s26, 1, v6
	s_waitcnt lgkmcnt(0)
	v_lshrrev_b32_e32 v18, 16, v17
	v_cmp_gt_f16_e64 s25, v13, v17
	s_delay_alu instid0(VALU_DEP_2) | instskip(NEXT) | instid1(VALU_DEP_2)
	v_and_b32_e32 v18, 1, v18
	v_cndmask_b32_e64 v13, v17, v13, s25
	v_cmp_eq_u32_e64 s25, 1, v19
	s_delay_alu instid0(VALU_DEP_1) | instskip(SKIP_1) | instid1(VALU_DEP_1)
	v_cndmask_b32_e64 v17, v18, 1, s25
	v_cmp_eq_u16_e64 s25, 0, v20
	v_cndmask_b32_e64 v13, v14, v13, s25
	v_cmp_eq_u32_e64 s25, 0, v21
	s_delay_alu instid0(VALU_DEP_1) | instskip(SKIP_1) | instid1(VALU_DEP_4)
	v_cndmask_b32_e64 v16, v17, v16, s25
	v_add_nc_u32_e32 v17, -1, v15
	v_cndmask_b32_e64 v13, v13, v14, s25
	s_delay_alu instid0(VALU_DEP_3) | instskip(NEXT) | instid1(VALU_DEP_3)
	v_and_b32_e32 v14, 0xff, v16
	v_cmp_gt_i32_e64 s25, 0, v17
	s_delay_alu instid0(VALU_DEP_3) | instskip(NEXT) | instid1(VALU_DEP_3)
	v_and_b32_e32 v13, 0xffff, v13
	v_lshlrev_b32_e32 v14, 16, v14
	s_delay_alu instid0(VALU_DEP_3) | instskip(NEXT) | instid1(VALU_DEP_2)
	v_cndmask_b32_e64 v15, v17, v15, s25
	v_or3_b32 v7, v14, v13, v7
	s_delay_alu instid0(VALU_DEP_2) | instskip(SKIP_3) | instid1(VALU_DEP_1)
	v_lshlrev_b32_e32 v15, 2, v15
	ds_bpermute_b32 v7, v15, v7
	s_waitcnt lgkmcnt(0)
	v_cmp_gt_f16_e64 s25, v2, v7
	v_cndmask_b32_e64 v13, v7, v2, s25
	v_cmp_eq_u16_e64 s25, 0, v4
	v_lshrrev_b32_e32 v7, 16, v7
	s_delay_alu instid0(VALU_DEP_2) | instskip(SKIP_1) | instid1(VALU_DEP_3)
	v_cndmask_b32_e64 v2, v2, v13, s25
	v_cmp_eq_u32_e64 s25, 0, v0
	v_and_b32_e32 v4, 1, v7
	s_delay_alu instid0(VALU_DEP_2) | instskip(NEXT) | instid1(VALU_DEP_2)
	v_cndmask_b32_e64 v2, v2, v11, s25
	v_cndmask_b32_e64 v4, v4, 1, s26
	s_delay_alu instid0(VALU_DEP_2) | instskip(NEXT) | instid1(VALU_DEP_2)
	v_cmp_gt_f16_e64 s26, v5, v2
	v_cndmask_b32_e64 v4, v4, v12, s25
	s_delay_alu instid0(VALU_DEP_2) | instskip(NEXT) | instid1(VALU_DEP_1)
	v_cndmask_b32_e64 v5, v2, v5, s26
	v_cndmask_b32_e64 v3, v3, v5, s23
	s_delay_alu instid0(VALU_DEP_3)
	v_cndmask_b32_e64 v5, v4, 1, s24
	ds_store_b16 v1, v2
	ds_store_b8 v1, v4 offset:2
	ds_store_b16 v1, v3 offset:4
	ds_store_b8 v1, v5 offset:6
.LBB99_143:
	s_or_b32 exec_lo, exec_lo, s27
	v_cmp_eq_u32_e64 s23, 0, v0
	s_mov_b32 s25, exec_lo
	s_waitcnt lgkmcnt(0)
	s_barrier
	buffer_gl0_inv
	v_cmpx_ne_u32_e32 0, v0
	s_cbranch_execz .LBB99_145
; %bb.144:
	v_add_nc_u32_e32 v1, -1, v0
	s_delay_alu instid0(VALU_DEP_1) | instskip(NEXT) | instid1(VALU_DEP_1)
	v_lshrrev_b32_e32 v2, 5, v1
	v_add_lshl_u32 v1, v2, v1, 2
	ds_load_u16 v11, v1
	ds_load_u8 v12, v1 offset:2
.LBB99_145:
	s_or_b32 exec_lo, exec_lo, s25
	s_and_saveexec_b32 s25, vcc_lo
	s_cbranch_execz .LBB99_188
; %bb.146:
	v_mov_b32_e32 v4, 0
	v_mbcnt_lo_u32_b32 v22, -1, 0
	s_mov_b32 s27, 0
	ds_load_b32 v1, v4 offset:256
	v_cmp_eq_u32_e64 s24, 0, v22
	s_delay_alu instid0(VALU_DEP_1)
	s_and_saveexec_b32 s34, s24
	s_cbranch_execz .LBB99_148
; %bb.147:
	s_add_i32 s26, s15, 32
	v_mov_b32_e32 v2, 1
	s_lshl_b64 s[26:27], s[26:27], 3
	s_delay_alu instid0(SALU_CYCLE_1)
	s_add_u32 s26, s36, s26
	s_addc_u32 s27, s37, s27
	s_waitcnt lgkmcnt(0)
	global_store_b64 v4, v[1:2], s[26:27]
.LBB99_148:
	s_or_b32 exec_lo, exec_lo, s34
	v_xad_u32 v2, v22, -1, s15
	s_mov_b32 s26, exec_lo
	s_delay_alu instid0(VALU_DEP_1) | instskip(NEXT) | instid1(VALU_DEP_1)
	v_add_nc_u32_e32 v3, 32, v2
	v_lshlrev_b64 v[3:4], 3, v[3:4]
	s_delay_alu instid0(VALU_DEP_1) | instskip(NEXT) | instid1(VALU_DEP_2)
	v_add_co_u32 v6, vcc_lo, s36, v3
	v_add_co_ci_u32_e32 v7, vcc_lo, s37, v4, vcc_lo
	global_load_b64 v[4:5], v[6:7], off glc
	s_waitcnt vmcnt(0)
	v_and_b32_e32 v3, 0xff, v5
	s_delay_alu instid0(VALU_DEP_1)
	v_cmpx_eq_u16_e32 0, v3
	s_cbranch_execz .LBB99_152
; %bb.149:
	s_mov_b32 s27, 0
.LBB99_150:                             ; =>This Inner Loop Header: Depth=1
	global_load_b64 v[4:5], v[6:7], off glc
	s_waitcnt vmcnt(0)
	v_and_b32_e32 v3, 0xff, v5
	s_delay_alu instid0(VALU_DEP_1) | instskip(SKIP_1) | instid1(SALU_CYCLE_1)
	v_cmp_ne_u16_e32 vcc_lo, 0, v3
	s_or_b32 s27, vcc_lo, s27
	s_and_not1_b32 exec_lo, exec_lo, s27
	s_cbranch_execnz .LBB99_150
; %bb.151:
	s_or_b32 exec_lo, exec_lo, s27
.LBB99_152:
	s_delay_alu instid0(SALU_CYCLE_1)
	s_or_b32 exec_lo, exec_lo, s26
	v_cmp_ne_u32_e32 vcc_lo, 31, v22
	v_and_b32_e32 v7, 0xffffff, v4
	v_and_b32_e32 v6, 0xff, v5
	v_lshlrev_b32_e64 v14, v22, -1
	v_add_nc_u32_e32 v15, 1, v22
	v_add_co_ci_u32_e32 v3, vcc_lo, 0, v22, vcc_lo
	s_delay_alu instid0(VALU_DEP_4) | instskip(SKIP_2) | instid1(VALU_DEP_4)
	v_cmp_eq_u16_e32 vcc_lo, 2, v6
	v_lshrrev_b32_e32 v6, 16, v4
	v_bfe_u32 v23, v4, 16, 8
	v_lshlrev_b32_e32 v13, 2, v3
	s_mov_b32 s26, exec_lo
	v_and_or_b32 v3, vcc_lo, v14, 0x80000000
	ds_bpermute_b32 v16, v13, v7
	v_ctz_i32_b32_e32 v3, v3
	s_delay_alu instid0(VALU_DEP_1)
	v_cmpx_le_u32_e64 v15, v3
	s_cbranch_execz .LBB99_154
; %bb.153:
	v_and_b32_e32 v6, 0xff0000, v4
	s_waitcnt lgkmcnt(0)
	v_cmp_gt_f16_e32 vcc_lo, v4, v16
	v_lshrrev_b32_e32 v7, 16, v16
	s_delay_alu instid0(VALU_DEP_3) | instskip(SKIP_1) | instid1(VALU_DEP_2)
	v_dual_cndmask_b32 v16, v16, v4 :: v_dual_and_b32 v17, 0x10000, v6
	v_cmp_eq_u32_e32 vcc_lo, 0, v6
	v_dual_cndmask_b32 v4, v4, v16 :: v_dual_and_b32 v7, 1, v7
	s_delay_alu instid0(VALU_DEP_3) | instskip(NEXT) | instid1(VALU_DEP_2)
	v_cmp_ne_u32_e32 vcc_lo, 0, v17
	v_cndmask_b32_e64 v6, v7, 1, vcc_lo
	s_delay_alu instid0(VALU_DEP_3) | instskip(NEXT) | instid1(VALU_DEP_2)
	v_and_b32_e32 v7, 0xffff, v4
	v_dual_mov_b32 v23, v6 :: v_dual_lshlrev_b32 v16, 16, v6
	s_delay_alu instid0(VALU_DEP_1)
	v_or_b32_e32 v7, v16, v7
.LBB99_154:
	s_or_b32 exec_lo, exec_lo, s26
	v_cmp_gt_u32_e32 vcc_lo, 30, v22
	v_add_nc_u32_e32 v17, 2, v22
	s_mov_b32 s26, exec_lo
	s_waitcnt lgkmcnt(0)
	v_cndmask_b32_e64 v16, 0, 1, vcc_lo
	s_delay_alu instid0(VALU_DEP_1) | instskip(NEXT) | instid1(VALU_DEP_1)
	v_lshlrev_b32_e32 v16, 1, v16
	v_add_lshl_u32 v16, v16, v22, 2
	ds_bpermute_b32 v18, v16, v7
	v_cmpx_le_u32_e64 v17, v3
	s_cbranch_execz .LBB99_156
; %bb.155:
	s_waitcnt lgkmcnt(0)
	v_cmp_gt_f16_e32 vcc_lo, v4, v18
	v_lshrrev_b32_e32 v6, 16, v18
	v_dual_cndmask_b32 v7, v18, v4 :: v_dual_and_b32 v18, 1, v23
	v_cmp_eq_u16_e32 vcc_lo, 0, v23
	s_delay_alu instid0(VALU_DEP_3) | instskip(NEXT) | instid1(VALU_DEP_3)
	v_and_b32_e32 v6, 1, v6
	v_cndmask_b32_e32 v4, v4, v7, vcc_lo
	s_delay_alu instid0(VALU_DEP_4) | instskip(NEXT) | instid1(VALU_DEP_3)
	v_cmp_eq_u32_e32 vcc_lo, 1, v18
	v_cndmask_b32_e64 v6, v6, 1, vcc_lo
	s_delay_alu instid0(VALU_DEP_1) | instskip(NEXT) | instid1(VALU_DEP_4)
	v_mov_b32_e32 v23, v6
	v_and_b32_e32 v7, 0xffff, v4
	v_lshlrev_b32_e32 v18, 16, v6
	s_delay_alu instid0(VALU_DEP_1)
	v_or_b32_e32 v7, v18, v7
.LBB99_156:
	s_or_b32 exec_lo, exec_lo, s26
	v_cmp_gt_u32_e32 vcc_lo, 28, v22
	v_add_nc_u32_e32 v19, 4, v22
	s_mov_b32 s26, exec_lo
	s_waitcnt lgkmcnt(0)
	v_cndmask_b32_e64 v18, 0, 1, vcc_lo
	s_delay_alu instid0(VALU_DEP_1) | instskip(NEXT) | instid1(VALU_DEP_1)
	v_lshlrev_b32_e32 v18, 2, v18
	v_add_lshl_u32 v18, v18, v22, 2
	ds_bpermute_b32 v20, v18, v7
	v_cmpx_le_u32_e64 v19, v3
	s_cbranch_execz .LBB99_158
; %bb.157:
	s_waitcnt lgkmcnt(0)
	v_cmp_gt_f16_e32 vcc_lo, v4, v20
	v_lshrrev_b32_e32 v6, 16, v20
	v_dual_cndmask_b32 v7, v20, v4 :: v_dual_and_b32 v20, 1, v23
	v_cmp_eq_u16_e32 vcc_lo, 0, v23
	s_delay_alu instid0(VALU_DEP_3) | instskip(NEXT) | instid1(VALU_DEP_3)
	v_and_b32_e32 v6, 1, v6
	v_cndmask_b32_e32 v4, v4, v7, vcc_lo
	s_delay_alu instid0(VALU_DEP_4) | instskip(NEXT) | instid1(VALU_DEP_3)
	v_cmp_eq_u32_e32 vcc_lo, 1, v20
	v_cndmask_b32_e64 v6, v6, 1, vcc_lo
	s_delay_alu instid0(VALU_DEP_1) | instskip(NEXT) | instid1(VALU_DEP_4)
	v_mov_b32_e32 v23, v6
	v_and_b32_e32 v7, 0xffff, v4
	v_lshlrev_b32_e32 v20, 16, v6
	s_delay_alu instid0(VALU_DEP_1)
	v_or_b32_e32 v7, v20, v7
.LBB99_158:
	s_or_b32 exec_lo, exec_lo, s26
	v_cmp_gt_u32_e32 vcc_lo, 24, v22
	v_add_nc_u32_e32 v21, 8, v22
	s_mov_b32 s26, exec_lo
	s_waitcnt lgkmcnt(0)
	v_cndmask_b32_e64 v20, 0, 1, vcc_lo
	s_delay_alu instid0(VALU_DEP_1) | instskip(NEXT) | instid1(VALU_DEP_1)
	v_lshlrev_b32_e32 v20, 3, v20
	v_add_lshl_u32 v20, v20, v22, 2
	ds_bpermute_b32 v24, v20, v7
	v_cmpx_le_u32_e64 v21, v3
	s_xor_b32 s26, exec_lo, s26
	s_cbranch_execz .LBB99_160
; %bb.159:
	s_waitcnt lgkmcnt(0)
	v_lshrrev_b32_e32 v6, 16, v24
	v_cmp_gt_f16_e32 vcc_lo, v4, v24
	v_and_b32_e32 v7, 1, v23
	s_delay_alu instid0(VALU_DEP_3) | instskip(SKIP_1) | instid1(VALU_DEP_3)
	v_and_b32_e32 v6, 1, v6
	v_cndmask_b32_e32 v24, v24, v4, vcc_lo
	v_cmp_eq_u32_e32 vcc_lo, 1, v7
	s_delay_alu instid0(VALU_DEP_3) | instskip(SKIP_1) | instid1(VALU_DEP_2)
	v_cndmask_b32_e64 v6, v6, 1, vcc_lo
	v_cmp_eq_u16_e32 vcc_lo, 0, v23
	v_dual_cndmask_b32 v4, v4, v24 :: v_dual_lshlrev_b32 v7, 16, v6
	s_delay_alu instid0(VALU_DEP_1) | instskip(NEXT) | instid1(VALU_DEP_1)
	v_and_b32_e32 v23, 0xffff, v4
	v_or_b32_e32 v7, v7, v23
                                        ; implicit-def: $vgpr23
.LBB99_160:
	s_or_saveexec_b32 s26, s26
	v_mov_b32_e32 v26, v6
	s_xor_b32 exec_lo, exec_lo, s26
; %bb.161:
	v_mov_b32_e32 v26, v23
; %bb.162:
	s_or_b32 exec_lo, exec_lo, s26
	v_cmp_gt_u32_e32 vcc_lo, 16, v22
	v_add_nc_u32_e32 v25, 16, v22
	s_mov_b32 s26, exec_lo
	v_cndmask_b32_e64 v23, 0, 1, vcc_lo
	s_delay_alu instid0(VALU_DEP_1) | instskip(SKIP_1) | instid1(VALU_DEP_1)
	v_lshlrev_b32_e32 v23, 4, v23
	s_waitcnt lgkmcnt(0)
	v_add_lshl_u32 v24, v23, v22, 2
	ds_bpermute_b32 v7, v24, v7
	v_cmpx_le_u32_e64 v25, v3
	s_cbranch_execz .LBB99_164
; %bb.163:
	s_waitcnt lgkmcnt(0)
	v_lshrrev_b32_e32 v3, 16, v7
	v_and_b32_e32 v6, 1, v26
	v_cmp_gt_f16_e32 vcc_lo, v4, v7
	v_and_b32_e32 v22, 0xff, v26
	s_delay_alu instid0(VALU_DEP_4) | instskip(SKIP_2) | instid1(VALU_DEP_3)
	v_and_b32_e32 v3, 1, v3
	v_cndmask_b32_e32 v7, v7, v4, vcc_lo
	v_cmp_eq_u32_e32 vcc_lo, 1, v6
	v_cndmask_b32_e64 v6, v3, 1, vcc_lo
	v_cmp_eq_u16_e32 vcc_lo, 0, v22
	s_delay_alu instid0(VALU_DEP_4)
	v_cndmask_b32_e32 v4, v4, v7, vcc_lo
.LBB99_164:
	s_or_b32 exec_lo, exec_lo, s26
	v_mov_b32_e32 v3, 0
	s_branch .LBB99_166
.LBB99_165:                             ;   in Loop: Header=BB99_166 Depth=1
	s_or_b32 exec_lo, exec_lo, s26
	v_and_b32_e32 v6, 0xff, v22
	s_delay_alu instid0(VALU_DEP_2)
	v_cmp_gt_f16_e32 vcc_lo, v23, v4
	s_waitcnt lgkmcnt(0)
	v_and_b32_e32 v26, 1, v22
	v_subrev_nc_u32_e32 v2, 32, v2
	v_cndmask_b32_e32 v4, v4, v23, vcc_lo
	v_cmp_eq_u16_e32 vcc_lo, 0, v6
	s_delay_alu instid0(VALU_DEP_2) | instskip(SKIP_1) | instid1(VALU_DEP_2)
	v_dual_cndmask_b32 v4, v23, v4 :: v_dual_and_b32 v7, 1, v7
	v_cmp_eq_u32_e32 vcc_lo, 1, v26
	v_cndmask_b32_e64 v6, v7, 1, vcc_lo
.LBB99_166:                             ; =>This Loop Header: Depth=1
                                        ;     Child Loop BB99_169 Depth 2
	s_delay_alu instid0(VALU_DEP_1) | instskip(NEXT) | instid1(VALU_DEP_3)
	v_dual_mov_b32 v22, v6 :: v_dual_and_b32 v5, 0xff, v5
	v_mov_b32_e32 v23, v4
	s_delay_alu instid0(VALU_DEP_2) | instskip(SKIP_2) | instid1(VALU_DEP_1)
	v_cmp_ne_u16_e32 vcc_lo, 2, v5
	v_cndmask_b32_e64 v5, 0, 1, vcc_lo
	;;#ASMSTART
	;;#ASMEND
	v_cmp_ne_u32_e32 vcc_lo, 0, v5
	s_cmp_lg_u32 vcc_lo, exec_lo
	s_cbranch_scc1 .LBB99_183
; %bb.167:                              ;   in Loop: Header=BB99_166 Depth=1
	v_lshlrev_b64 v[4:5], 3, v[2:3]
	s_mov_b32 s26, exec_lo
	s_delay_alu instid0(VALU_DEP_1) | instskip(SKIP_1) | instid1(VALU_DEP_2)
	v_add_co_u32 v6, vcc_lo, s36, v4
	s_waitcnt lgkmcnt(0)
	v_add_co_ci_u32_e32 v7, vcc_lo, s37, v5, vcc_lo
	global_load_b64 v[4:5], v[6:7], off glc
	s_waitcnt vmcnt(0)
	v_and_b32_e32 v26, 0xff, v5
	s_delay_alu instid0(VALU_DEP_1)
	v_cmpx_eq_u16_e32 0, v26
	s_cbranch_execz .LBB99_171
; %bb.168:                              ;   in Loop: Header=BB99_166 Depth=1
	s_mov_b32 s27, 0
.LBB99_169:                             ;   Parent Loop BB99_166 Depth=1
                                        ; =>  This Inner Loop Header: Depth=2
	global_load_b64 v[4:5], v[6:7], off glc
	s_waitcnt vmcnt(0)
	v_and_b32_e32 v26, 0xff, v5
	s_delay_alu instid0(VALU_DEP_1) | instskip(SKIP_1) | instid1(SALU_CYCLE_1)
	v_cmp_ne_u16_e32 vcc_lo, 0, v26
	s_or_b32 s27, vcc_lo, s27
	s_and_not1_b32 exec_lo, exec_lo, s27
	s_cbranch_execnz .LBB99_169
; %bb.170:                              ;   in Loop: Header=BB99_166 Depth=1
	s_or_b32 exec_lo, exec_lo, s27
.LBB99_171:                             ;   in Loop: Header=BB99_166 Depth=1
	s_delay_alu instid0(SALU_CYCLE_1)
	s_or_b32 exec_lo, exec_lo, s26
	v_and_b32_e32 v30, 0xffffff, v4
	v_and_b32_e32 v6, 0xff, v5
	v_lshrrev_b32_e32 v7, 16, v4
	v_bfe_u32 v26, v4, 16, 8
	s_mov_b32 s26, exec_lo
	ds_bpermute_b32 v70, v13, v30
	v_cmp_eq_u16_e32 vcc_lo, 2, v6
	v_and_or_b32 v6, vcc_lo, v14, 0x80000000
	s_delay_alu instid0(VALU_DEP_1) | instskip(NEXT) | instid1(VALU_DEP_1)
	v_ctz_i32_b32_e32 v6, v6
	v_cmpx_le_u32_e64 v15, v6
	s_cbranch_execz .LBB99_173
; %bb.172:                              ;   in Loop: Header=BB99_166 Depth=1
	s_waitcnt lgkmcnt(0)
	v_cmp_gt_f16_e32 vcc_lo, v4, v70
	v_lshrrev_b32_e32 v26, 16, v70
	v_cndmask_b32_e32 v30, v70, v4, vcc_lo
	v_and_b32_e32 v7, 0xff0000, v4
	s_delay_alu instid0(VALU_DEP_3) | instskip(NEXT) | instid1(VALU_DEP_2)
	v_and_b32_e32 v26, 1, v26
	v_cmp_eq_u32_e32 vcc_lo, 0, v7
	s_delay_alu instid0(VALU_DEP_4) | instskip(SKIP_1) | instid1(VALU_DEP_1)
	v_cndmask_b32_e32 v4, v4, v30, vcc_lo
	v_and_b32_e32 v70, 0x10000, v7
	v_cmp_ne_u32_e32 vcc_lo, 0, v70
	v_cndmask_b32_e64 v7, v26, 1, vcc_lo
	s_delay_alu instid0(VALU_DEP_4) | instskip(NEXT) | instid1(VALU_DEP_2)
	v_and_b32_e32 v26, 0xffff, v4
	v_lshlrev_b32_e32 v30, 16, v7
	s_delay_alu instid0(VALU_DEP_1)
	v_or_b32_e32 v30, v30, v26
	v_mov_b32_e32 v26, v7
.LBB99_173:                             ;   in Loop: Header=BB99_166 Depth=1
	s_or_b32 exec_lo, exec_lo, s26
	s_waitcnt lgkmcnt(0)
	ds_bpermute_b32 v70, v16, v30
	s_mov_b32 s26, exec_lo
	v_cmpx_le_u32_e64 v17, v6
	s_cbranch_execz .LBB99_175
; %bb.174:                              ;   in Loop: Header=BB99_166 Depth=1
	s_waitcnt lgkmcnt(0)
	v_cmp_gt_f16_e32 vcc_lo, v4, v70
	v_lshrrev_b32_e32 v7, 16, v70
	s_delay_alu instid0(VALU_DEP_1) | instskip(SKIP_2) | instid1(VALU_DEP_3)
	v_dual_cndmask_b32 v30, v70, v4 :: v_dual_and_b32 v7, 1, v7
	v_and_b32_e32 v70, 1, v26
	v_cmp_eq_u16_e32 vcc_lo, 0, v26
	v_cndmask_b32_e32 v4, v4, v30, vcc_lo
	s_delay_alu instid0(VALU_DEP_3) | instskip(NEXT) | instid1(VALU_DEP_2)
	v_cmp_eq_u32_e32 vcc_lo, 1, v70
	v_and_b32_e32 v26, 0xffff, v4
	v_cndmask_b32_e64 v7, v7, 1, vcc_lo
	s_delay_alu instid0(VALU_DEP_1) | instskip(NEXT) | instid1(VALU_DEP_1)
	v_lshlrev_b32_e32 v30, 16, v7
	v_or_b32_e32 v30, v30, v26
	v_mov_b32_e32 v26, v7
.LBB99_175:                             ;   in Loop: Header=BB99_166 Depth=1
	s_or_b32 exec_lo, exec_lo, s26
	s_waitcnt lgkmcnt(0)
	ds_bpermute_b32 v70, v18, v30
	s_mov_b32 s26, exec_lo
	v_cmpx_le_u32_e64 v19, v6
	s_cbranch_execz .LBB99_177
; %bb.176:                              ;   in Loop: Header=BB99_166 Depth=1
	s_waitcnt lgkmcnt(0)
	v_cmp_gt_f16_e32 vcc_lo, v4, v70
	v_lshrrev_b32_e32 v7, 16, v70
	s_delay_alu instid0(VALU_DEP_1) | instskip(SKIP_2) | instid1(VALU_DEP_3)
	v_dual_cndmask_b32 v30, v70, v4 :: v_dual_and_b32 v7, 1, v7
	v_and_b32_e32 v70, 1, v26
	v_cmp_eq_u16_e32 vcc_lo, 0, v26
	v_cndmask_b32_e32 v4, v4, v30, vcc_lo
	s_delay_alu instid0(VALU_DEP_3) | instskip(NEXT) | instid1(VALU_DEP_2)
	v_cmp_eq_u32_e32 vcc_lo, 1, v70
	v_and_b32_e32 v26, 0xffff, v4
	v_cndmask_b32_e64 v7, v7, 1, vcc_lo
	s_delay_alu instid0(VALU_DEP_1) | instskip(NEXT) | instid1(VALU_DEP_1)
	v_lshlrev_b32_e32 v30, 16, v7
	v_or_b32_e32 v30, v30, v26
	v_mov_b32_e32 v26, v7
.LBB99_177:                             ;   in Loop: Header=BB99_166 Depth=1
	s_or_b32 exec_lo, exec_lo, s26
	s_waitcnt lgkmcnt(0)
	ds_bpermute_b32 v70, v20, v30
	s_mov_b32 s26, exec_lo
	v_cmpx_le_u32_e64 v21, v6
	s_xor_b32 s26, exec_lo, s26
	s_cbranch_execz .LBB99_179
; %bb.178:                              ;   in Loop: Header=BB99_166 Depth=1
	s_waitcnt lgkmcnt(0)
	v_lshrrev_b32_e32 v7, 16, v70
	v_and_b32_e32 v30, 1, v26
	v_cmp_gt_f16_e32 vcc_lo, v4, v70
	s_delay_alu instid0(VALU_DEP_3) | instskip(NEXT) | instid1(VALU_DEP_3)
	v_dual_cndmask_b32 v70, v70, v4 :: v_dual_and_b32 v7, 1, v7
	v_cmp_eq_u32_e32 vcc_lo, 1, v30
	s_delay_alu instid0(VALU_DEP_2) | instskip(SKIP_1) | instid1(VALU_DEP_2)
	v_cndmask_b32_e64 v7, v7, 1, vcc_lo
	v_cmp_eq_u16_e32 vcc_lo, 0, v26
	v_lshlrev_b32_e32 v26, 16, v7
	v_cndmask_b32_e32 v4, v4, v70, vcc_lo
	s_delay_alu instid0(VALU_DEP_1) | instskip(NEXT) | instid1(VALU_DEP_1)
	v_and_b32_e32 v30, 0xffff, v4
	v_or_b32_e32 v30, v26, v30
                                        ; implicit-def: $vgpr26
.LBB99_179:                             ;   in Loop: Header=BB99_166 Depth=1
	s_or_saveexec_b32 s26, s26
	s_waitcnt lgkmcnt(0)
	v_mov_b32_e32 v70, v7
	s_xor_b32 exec_lo, exec_lo, s26
; %bb.180:                              ;   in Loop: Header=BB99_166 Depth=1
	v_mov_b32_e32 v70, v26
; %bb.181:                              ;   in Loop: Header=BB99_166 Depth=1
	s_or_b32 exec_lo, exec_lo, s26
	ds_bpermute_b32 v26, v24, v30
	s_mov_b32 s26, exec_lo
	v_cmpx_le_u32_e64 v25, v6
	s_cbranch_execz .LBB99_165
; %bb.182:                              ;   in Loop: Header=BB99_166 Depth=1
	s_waitcnt lgkmcnt(0)
	v_cmp_gt_f16_e32 vcc_lo, v4, v26
	v_and_b32_e32 v7, 1, v70
	v_and_b32_e32 v6, 0xff, v70
	v_lshrrev_b32_e32 v30, 16, v26
	v_cndmask_b32_e32 v26, v26, v4, vcc_lo
	s_delay_alu instid0(VALU_DEP_4) | instskip(NEXT) | instid1(VALU_DEP_3)
	v_cmp_eq_u32_e32 vcc_lo, 1, v7
	v_cndmask_b32_e64 v7, v30, 1, vcc_lo
	v_cmp_eq_u16_e32 vcc_lo, 0, v6
	s_delay_alu instid0(VALU_DEP_4)
	v_cndmask_b32_e32 v4, v4, v26, vcc_lo
	s_branch .LBB99_165
.LBB99_183:                             ;   in Loop: Header=BB99_166 Depth=1
                                        ; implicit-def: $vgpr6
                                        ; implicit-def: $vgpr4
	s_cbranch_execz .LBB99_166
; %bb.184:
	s_and_saveexec_b32 s26, s24
	s_cbranch_execz .LBB99_186
; %bb.185:
	v_cmp_lt_f16_e32 vcc_lo, v23, v1
	v_and_b32_e32 v3, 1, v22
	s_mov_b32 s35, 0
	s_add_i32 s34, s15, 32
	v_cndmask_b32_e32 v4, v23, v1, vcc_lo
	v_and_b32_e32 v2, 0xff0000, v1
	v_lshlrev_b32_e32 v3, 16, v3
	v_and_b32_e32 v5, 0x10000, v1
	s_lshl_b64 s[34:35], s[34:35], 3
	s_delay_alu instid0(VALU_DEP_3) | instskip(SKIP_4) | instid1(VALU_DEP_2)
	v_cmp_eq_u32_e32 vcc_lo, 0, v2
	s_add_u32 s34, s36, s34
	s_addc_u32 s35, s37, s35
	v_cndmask_b32_e32 v1, v1, v4, vcc_lo
	v_cmp_eq_u32_e32 vcc_lo, 0, v5
	v_and_b32_e32 v1, 0xffff, v1
	v_dual_cndmask_b32 v2, 0x10000, v3 :: v_dual_mov_b32 v3, 0
	s_delay_alu instid0(VALU_DEP_1)
	v_or_b32_e32 v1, v2, v1
	v_mov_b32_e32 v2, 2
	global_store_b64 v3, v[1:2], s[34:35]
.LBB99_186:
	s_or_b32 exec_lo, exec_lo, s26
	s_delay_alu instid0(SALU_CYCLE_1)
	s_and_b32 exec_lo, exec_lo, s23
	s_cbranch_execz .LBB99_188
; %bb.187:
	v_mov_b32_e32 v1, 0
	ds_store_b16 v1, v23
	ds_store_b8 v1, v22 offset:2
.LBB99_188:
	s_or_b32 exec_lo, exec_lo, s25
	s_waitcnt lgkmcnt(0)
	v_dual_mov_b32 v1, 0 :: v_dual_and_b32 v2, 0xff, v12
	s_waitcnt_vscnt null, 0x0
	s_barrier
	buffer_gl0_inv
	ds_load_u16 v1, v1
	s_waitcnt lgkmcnt(0)
	v_cmp_gt_f16_e32 vcc_lo, v11, v1
	v_cndmask_b32_e32 v3, v1, v11, vcc_lo
	v_cmp_eq_u16_e32 vcc_lo, 0, v2
	s_delay_alu instid0(VALU_DEP_2) | instskip(NEXT) | instid1(VALU_DEP_1)
	v_cndmask_b32_e32 v2, v11, v3, vcc_lo
	v_cndmask_b32_e64 v2, v2, v1, s23
	v_and_b32_e32 v1, 0xff, v33
	s_delay_alu instid0(VALU_DEP_2) | instskip(SKIP_1) | instid1(VALU_DEP_3)
	v_cmp_lt_f16_e32 vcc_lo, v2, v34
	v_cndmask_b32_e32 v3, v2, v34, vcc_lo
	v_cmp_eq_u16_e32 vcc_lo, 0, v1
	s_delay_alu instid0(VALU_DEP_2) | instskip(NEXT) | instid1(VALU_DEP_1)
	v_cndmask_b32_e32 v3, v34, v3, vcc_lo
	v_cmp_lt_f16_e32 vcc_lo, v3, v29
	v_cndmask_b32_e32 v1, v3, v29, vcc_lo
	s_delay_alu instid0(VALU_DEP_1) | instskip(NEXT) | instid1(VALU_DEP_1)
	v_cndmask_b32_e64 v4, v29, v1, s2
	v_cmp_lt_f16_e32 vcc_lo, v4, v35
	v_cndmask_b32_e32 v1, v4, v35, vcc_lo
	s_delay_alu instid0(VALU_DEP_1) | instskip(NEXT) | instid1(VALU_DEP_1)
	v_cndmask_b32_e64 v5, v35, v1, s3
	;; [unrolled: 4-line block ×19, first 2 shown]
	v_cmp_lt_f16_e32 vcc_lo, v30, v27
	v_cndmask_b32_e32 v1, v30, v27, vcc_lo
	s_delay_alu instid0(VALU_DEP_1)
	v_cndmask_b32_e64 v1, v27, v1, s22
	s_branch .LBB99_235
.LBB99_189:
	s_or_b32 exec_lo, exec_lo, s24
                                        ; implicit-def: $vgpr28
	s_and_saveexec_b32 s24, s2
	s_cbranch_execz .LBB99_49
.LBB99_190:
	global_load_u16 v28, v[21:22], off offset:128
	s_or_b32 exec_lo, exec_lo, s24
                                        ; implicit-def: $vgpr29
	s_and_saveexec_b32 s2, s3
	s_cbranch_execnz .LBB99_50
.LBB99_191:
	s_or_b32 exec_lo, exec_lo, s2
                                        ; implicit-def: $vgpr30
	s_and_saveexec_b32 s2, s4
	s_cbranch_execz .LBB99_51
.LBB99_192:
	global_load_u16 v30, v[21:22], off offset:384
	s_or_b32 exec_lo, exec_lo, s2
                                        ; implicit-def: $vgpr31
	s_and_saveexec_b32 s2, s5
	s_cbranch_execnz .LBB99_52
.LBB99_193:
	s_or_b32 exec_lo, exec_lo, s2
                                        ; implicit-def: $vgpr32
	s_and_saveexec_b32 s2, s6
	s_cbranch_execz .LBB99_53
.LBB99_194:
	global_load_u16 v32, v[21:22], off offset:640
	s_or_b32 exec_lo, exec_lo, s2
                                        ; implicit-def: $vgpr33
	s_and_saveexec_b32 s2, s7
	s_cbranch_execnz .LBB99_54
.LBB99_195:
	s_or_b32 exec_lo, exec_lo, s2
                                        ; implicit-def: $vgpr34
	s_and_saveexec_b32 s2, s8
	s_cbranch_execz .LBB99_55
.LBB99_196:
	global_load_u16 v34, v[21:22], off offset:896
	s_or_b32 exec_lo, exec_lo, s2
                                        ; implicit-def: $vgpr35
	s_and_saveexec_b32 s2, s9
	s_cbranch_execnz .LBB99_56
.LBB99_197:
	s_or_b32 exec_lo, exec_lo, s2
                                        ; implicit-def: $vgpr36
	s_and_saveexec_b32 s2, s10
	s_cbranch_execz .LBB99_57
.LBB99_198:
	global_load_u16 v36, v[21:22], off offset:1152
	s_or_b32 exec_lo, exec_lo, s2
                                        ; implicit-def: $vgpr37
	s_and_saveexec_b32 s2, s11
	s_cbranch_execnz .LBB99_58
.LBB99_199:
	s_or_b32 exec_lo, exec_lo, s2
                                        ; implicit-def: $vgpr38
	s_and_saveexec_b32 s2, s12
	s_cbranch_execz .LBB99_59
.LBB99_200:
	global_load_u16 v38, v[21:22], off offset:1408
	s_or_b32 exec_lo, exec_lo, s2
                                        ; implicit-def: $vgpr39
	s_and_saveexec_b32 s2, s13
	s_cbranch_execnz .LBB99_60
.LBB99_201:
	s_or_b32 exec_lo, exec_lo, s2
                                        ; implicit-def: $vgpr40
	s_and_saveexec_b32 s2, s14
	s_cbranch_execz .LBB99_61
.LBB99_202:
	global_load_u16 v40, v[21:22], off offset:1664
	s_or_b32 exec_lo, exec_lo, s2
                                        ; implicit-def: $vgpr41
	s_and_saveexec_b32 s2, s16
	s_cbranch_execnz .LBB99_62
.LBB99_203:
	s_or_b32 exec_lo, exec_lo, s2
                                        ; implicit-def: $vgpr42
	s_and_saveexec_b32 s2, s17
	s_cbranch_execz .LBB99_63
.LBB99_204:
	global_load_u16 v42, v[21:22], off offset:1920
	s_or_b32 exec_lo, exec_lo, s2
                                        ; implicit-def: $vgpr43
	s_and_saveexec_b32 s2, s18
	s_cbranch_execnz .LBB99_64
.LBB99_205:
	s_or_b32 exec_lo, exec_lo, s2
                                        ; implicit-def: $vgpr44
	s_and_saveexec_b32 s2, s19
	s_cbranch_execz .LBB99_65
.LBB99_206:
	global_load_u16 v44, v[21:22], off offset:2176
	s_or_b32 exec_lo, exec_lo, s2
                                        ; implicit-def: $vgpr45
	s_and_saveexec_b32 s2, s20
	s_cbranch_execnz .LBB99_66
.LBB99_207:
	s_or_b32 exec_lo, exec_lo, s2
                                        ; implicit-def: $vgpr46
	s_and_saveexec_b32 s2, s21
	s_cbranch_execz .LBB99_67
.LBB99_208:
	global_load_u16 v46, v[21:22], off offset:2432
	s_or_b32 exec_lo, exec_lo, s2
                                        ; implicit-def: $vgpr47
	s_and_saveexec_b32 s2, s22
	s_cbranch_execz .LBB99_69
	s_branch .LBB99_68
.LBB99_209:
                                        ; implicit-def: $vgpr1
                                        ; implicit-def: $vgpr30
                                        ; implicit-def: $vgpr2
                                        ; implicit-def: $vgpr26
                                        ; implicit-def: $vgpr25
                                        ; implicit-def: $vgpr3
                                        ; implicit-def: $vgpr24
                                        ; implicit-def: $vgpr23
                                        ; implicit-def: $vgpr4
                                        ; implicit-def: $vgpr22
                                        ; implicit-def: $vgpr21
                                        ; implicit-def: $vgpr5
                                        ; implicit-def: $vgpr20
                                        ; implicit-def: $vgpr19
                                        ; implicit-def: $vgpr11
                                        ; implicit-def: $vgpr18
                                        ; implicit-def: $vgpr17
                                        ; implicit-def: $vgpr12
                                        ; implicit-def: $vgpr16
                                        ; implicit-def: $vgpr15
                                        ; implicit-def: $vgpr13
                                        ; implicit-def: $vgpr14
	s_cbranch_execz .LBB99_235
; %bb.210:
	v_mov_b32_e32 v1, s44
	s_cmp_eq_u64 s[30:31], 0
	s_cbranch_scc1 .LBB99_212
; %bb.211:
	v_mov_b32_e32 v1, 0
	global_load_u16 v1, v1, s[30:31]
.LBB99_212:
	v_cmp_eq_u16_e32 vcc_lo, 0, v10
	v_cmp_ne_u16_e64 s2, 0, v10
                                        ; implicit-def: $vgpr2
	s_delay_alu instid0(VALU_DEP_1) | instskip(NEXT) | instid1(SALU_CYCLE_1)
	s_and_saveexec_b32 s3, s2
	s_xor_b32 s2, exec_lo, s3
; %bb.213:
	v_mov_b32_e32 v2, v29
; %bb.214:
	s_and_not1_saveexec_b32 s3, s2
; %bb.215:
	v_cmp_gt_f16_e64 s2, v29, v34
	s_delay_alu instid0(VALU_DEP_1)
	v_cndmask_b32_e64 v2, v34, v29, s2
; %bb.216:
	s_or_b32 exec_lo, exec_lo, s3
	v_and_b32_e32 v3, 0xff, v39
	s_delay_alu instid0(VALU_DEP_2) | instskip(SKIP_3) | instid1(VALU_DEP_3)
	v_cmp_lt_f16_e64 s2, v2, v35
	v_or_b32_e32 v4, v8, v46
	v_lshrrev_b32_e32 v5, 5, v0
	s_mov_b32 s22, exec_lo
	v_cndmask_b32_e64 v2, v2, v35, s2
	v_cmp_eq_u16_e64 s2, 0, v3
	v_and_b32_e32 v3, 0xff, v40
	v_or_b32_e32 v4, v4, v47
	v_add_lshl_u32 v5, v5, v0, 2
	s_delay_alu instid0(VALU_DEP_4) | instskip(NEXT) | instid1(VALU_DEP_3)
	v_cndmask_b32_e64 v2, v35, v2, s2
	v_or_b32_e32 v4, v4, v48
	s_delay_alu instid0(VALU_DEP_2) | instskip(NEXT) | instid1(VALU_DEP_2)
	v_cmp_lt_f16_e64 s3, v2, v36
	v_or_b32_e32 v4, v4, v50
	s_delay_alu instid0(VALU_DEP_2) | instskip(SKIP_2) | instid1(VALU_DEP_4)
	v_cndmask_b32_e64 v2, v2, v36, s3
	v_cmp_eq_u16_e64 s3, 0, v3
	v_and_b32_e32 v3, 0xff, v42
	v_or_b32_e32 v4, v4, v53
	s_delay_alu instid0(VALU_DEP_3) | instskip(NEXT) | instid1(VALU_DEP_2)
	v_cndmask_b32_e64 v2, v36, v2, s3
	v_or_b32_e32 v4, v4, v56
	s_delay_alu instid0(VALU_DEP_2) | instskip(NEXT) | instid1(VALU_DEP_2)
	v_cmp_lt_f16_e64 s4, v2, v37
	v_or_b32_e32 v4, v4, v59
	s_delay_alu instid0(VALU_DEP_2) | instskip(SKIP_2) | instid1(VALU_DEP_4)
	v_cndmask_b32_e64 v2, v2, v37, s4
	v_cmp_eq_u16_e64 s4, 0, v3
	v_and_b32_e32 v3, 0xff, v43
	v_or_b32_e32 v4, v4, v57
	s_delay_alu instid0(VALU_DEP_3) | instskip(NEXT) | instid1(VALU_DEP_2)
	;; [unrolled: 11-line block ×4, first 2 shown]
	v_cndmask_b32_e64 v2, v45, v2, s6
	v_or_b32_e32 v4, v4, v44
	s_delay_alu instid0(VALU_DEP_2) | instskip(NEXT) | instid1(VALU_DEP_2)
	v_cmp_lt_f16_e64 s7, v2, v28
	v_or_b32_e32 v4, v4, v43
	s_delay_alu instid0(VALU_DEP_2) | instskip(SKIP_2) | instid1(VALU_DEP_4)
	v_cndmask_b32_e64 v2, v2, v28, s7
	v_cmp_eq_u16_e64 s7, 0, v3
	v_and_b32_e32 v3, 0xff, v51
	v_or_b32_e32 v4, v4, v42
	s_delay_alu instid0(VALU_DEP_3) | instskip(NEXT) | instid1(VALU_DEP_1)
	v_cndmask_b32_e64 v2, v28, v2, s7
	v_cmp_lt_f16_e64 s8, v2, v60
	s_delay_alu instid0(VALU_DEP_1) | instskip(SKIP_2) | instid1(VALU_DEP_2)
	v_cndmask_b32_e64 v2, v2, v60, s8
	v_cmp_eq_u16_e64 s8, 0, v3
	v_and_b32_e32 v3, 0xff, v52
	v_cndmask_b32_e64 v2, v60, v2, s8
	s_delay_alu instid0(VALU_DEP_1) | instskip(NEXT) | instid1(VALU_DEP_1)
	v_cmp_lt_f16_e64 s9, v2, v62
	v_cndmask_b32_e64 v2, v2, v62, s9
	s_delay_alu instid0(VALU_DEP_4) | instskip(SKIP_1) | instid1(VALU_DEP_2)
	v_cmp_eq_u16_e64 s9, 0, v3
	v_and_b32_e32 v3, 0xff, v54
	v_cndmask_b32_e64 v2, v62, v2, s9
	s_delay_alu instid0(VALU_DEP_1) | instskip(NEXT) | instid1(VALU_DEP_1)
	v_cmp_lt_f16_e64 s10, v2, v61
	v_cndmask_b32_e64 v2, v2, v61, s10
	s_delay_alu instid0(VALU_DEP_4) | instskip(SKIP_1) | instid1(VALU_DEP_2)
	;; [unrolled: 7-line block ×5, first 2 shown]
	v_cmp_eq_u16_e64 s13, 0, v3
	v_and_b32_e32 v3, 0xff, v59
	v_cndmask_b32_e64 v2, v65, v2, s13
	s_delay_alu instid0(VALU_DEP_2) | instskip(SKIP_1) | instid1(VALU_DEP_3)
	v_cmp_eq_u16_e64 s15, 0, v3
	v_and_b32_e32 v3, 0xff, v56
	v_cmp_lt_f16_e64 s14, v2, v66
	s_delay_alu instid0(VALU_DEP_2) | instskip(SKIP_1) | instid1(VALU_DEP_3)
	v_cmp_eq_u16_e64 s16, 0, v3
	v_and_b32_e32 v3, 0xff, v53
	v_cndmask_b32_e64 v2, v2, v66, s14
	s_delay_alu instid0(VALU_DEP_2) | instskip(SKIP_1) | instid1(VALU_DEP_3)
	v_cmp_eq_u16_e64 s17, 0, v3
	v_and_b32_e32 v3, 0xff, v50
	v_cndmask_b32_e64 v2, v66, v2, s15
	s_delay_alu instid0(VALU_DEP_2) | instskip(NEXT) | instid1(VALU_DEP_2)
	v_cmp_eq_u16_e64 s18, 0, v3
	v_cmp_lt_f16_e64 s14, v2, v67
	v_and_b32_e32 v3, 0xff, v48
	s_delay_alu instid0(VALU_DEP_2) | instskip(NEXT) | instid1(VALU_DEP_2)
	v_cndmask_b32_e64 v2, v2, v67, s14
	v_cmp_eq_u16_e64 s19, 0, v3
	v_and_b32_e32 v3, 0xff, v47
	s_delay_alu instid0(VALU_DEP_3) | instskip(NEXT) | instid1(VALU_DEP_2)
	v_cndmask_b32_e64 v2, v67, v2, s16
	v_cmp_eq_u16_e64 s20, 0, v3
	v_or_b32_e32 v3, v4, v40
	v_and_b32_e32 v4, 0xff, v46
	s_delay_alu instid0(VALU_DEP_4) | instskip(NEXT) | instid1(VALU_DEP_3)
	v_cmp_lt_f16_e64 s14, v2, v68
	v_or_b32_e32 v3, v3, v39
	s_delay_alu instid0(VALU_DEP_2) | instskip(NEXT) | instid1(VALU_DEP_2)
	v_cndmask_b32_e64 v2, v2, v68, s14
	v_or_b32_e32 v3, v3, v38
	s_delay_alu instid0(VALU_DEP_2) | instskip(NEXT) | instid1(VALU_DEP_2)
	v_cndmask_b32_e64 v2, v68, v2, s17
	v_and_b32_e32 v6, 1, v3
	s_delay_alu instid0(VALU_DEP_2) | instskip(NEXT) | instid1(VALU_DEP_1)
	v_cmp_lt_f16_e64 s14, v2, v69
	v_cndmask_b32_e64 v2, v2, v69, s14
	s_delay_alu instid0(VALU_DEP_1) | instskip(NEXT) | instid1(VALU_DEP_1)
	v_cndmask_b32_e64 v2, v69, v2, s18
	v_cmp_lt_f16_e64 s14, v2, v31
	s_delay_alu instid0(VALU_DEP_1) | instskip(NEXT) | instid1(VALU_DEP_1)
	v_cndmask_b32_e64 v2, v2, v31, s14
	v_cndmask_b32_e64 v2, v31, v2, s19
	s_delay_alu instid0(VALU_DEP_1) | instskip(NEXT) | instid1(VALU_DEP_1)
	v_cmp_lt_f16_e64 s14, v2, v32
	v_cndmask_b32_e64 v2, v2, v32, s14
	s_delay_alu instid0(VALU_DEP_1) | instskip(NEXT) | instid1(VALU_DEP_1)
	v_cndmask_b32_e64 v2, v32, v2, s20
	v_cmp_lt_f16_e64 s14, v2, v27
	s_delay_alu instid0(VALU_DEP_1) | instskip(SKIP_2) | instid1(VALU_DEP_2)
	v_cndmask_b32_e64 v2, v2, v27, s14
	v_cmp_eq_u16_e64 s14, 0, v4
	v_and_b32_e32 v4, 0xff, v8
	v_cndmask_b32_e64 v2, v27, v2, s14
	s_delay_alu instid0(VALU_DEP_1) | instskip(NEXT) | instid1(VALU_DEP_1)
	v_cmp_lt_f16_e64 s21, v2, v9
	v_cndmask_b32_e64 v2, v2, v9, s21
	s_delay_alu instid0(VALU_DEP_4) | instskip(NEXT) | instid1(VALU_DEP_1)
	v_cmp_eq_u16_e64 s21, 0, v4
	v_cndmask_b32_e64 v3, v9, v2, s21
	v_cmp_eq_u32_e64 s21, 1, v6
	s_delay_alu instid0(VALU_DEP_1)
	v_cndmask_b32_e64 v2, v33, 1, s21
	ds_store_b16 v5, v3
	ds_store_b8 v5, v2 offset:2
	s_waitcnt vmcnt(0) lgkmcnt(0)
	s_barrier
	buffer_gl0_inv
	v_cmpx_gt_u32_e32 32, v0
	s_xor_b32 s25, exec_lo, s22
	s_cbranch_execz .LBB99_230
; %bb.217:
	v_lshrrev_b32_e32 v4, 2, v0
                                        ; implicit-def: $vgpr6
                                        ; implicit-def: $vgpr11
	s_delay_alu instid0(VALU_DEP_1) | instskip(NEXT) | instid1(VALU_DEP_1)
	v_and_b32_e32 v4, 12, v4
	v_lshl_or_b32 v4, v0, 3, v4
	ds_load_u8 v10, v4 offset:6
	ds_load_u16 v5, v4
	ds_load_u16 v7, v4 offset:2
	s_waitcnt lgkmcnt(2)
	v_cmp_eq_u16_e64 s21, 0, v10
	v_cmp_ne_u16_e64 s22, 0, v10
	s_delay_alu instid0(VALU_DEP_1) | instskip(NEXT) | instid1(SALU_CYCLE_1)
	s_and_saveexec_b32 s23, s22
	s_xor_b32 s22, exec_lo, s23
	s_cbranch_execz .LBB99_219
; %bb.218:
	ds_load_u16 v6, v4 offset:4
	s_waitcnt lgkmcnt(0)
	v_mov_b32_e32 v11, v6
.LBB99_219:
	s_or_saveexec_b32 s23, s22
	s_delay_alu instid0(VALU_DEP_1)
	v_mov_b32_e32 v8, v11
	v_mov_b32_e32 v12, v6
	s_xor_b32 exec_lo, exec_lo, s23
	s_cbranch_execz .LBB99_221
; %bb.220:
	ds_load_u16 v8, v4 offset:4
	s_waitcnt lgkmcnt(0)
	v_cmp_gt_f16_e64 s22, v8, v5
	v_mov_b32_e32 v6, v8
	s_delay_alu instid0(VALU_DEP_2) | instskip(NEXT) | instid1(VALU_DEP_1)
	v_cndmask_b32_e64 v11, v5, v8, s22
	v_mov_b32_e32 v12, v11
.LBB99_221:
	s_or_b32 exec_lo, exec_lo, s23
	s_waitcnt lgkmcnt(0)
	v_and_b32_e32 v9, 1, v7
	v_and_b32_e32 v14, 1, v10
	v_lshrrev_b16 v13, 8, v7
	s_mov_b32 s24, exec_lo
	s_delay_alu instid0(VALU_DEP_3) | instskip(NEXT) | instid1(VALU_DEP_3)
	v_lshlrev_b32_e32 v15, 16, v9
	v_cmp_eq_u32_e64 s22, 1, v14
	s_delay_alu instid0(VALU_DEP_3) | instskip(SKIP_1) | instid1(VALU_DEP_3)
	v_lshlrev_b32_e32 v10, 24, v13
	v_mbcnt_lo_u32_b32 v13, -1, 0
	v_cndmask_b32_e64 v14, v15, 0x10000, s22
	v_and_b32_e32 v15, 0xffff, v12
	s_delay_alu instid0(VALU_DEP_2) | instskip(NEXT) | instid1(VALU_DEP_2)
	v_or_b32_e32 v17, v14, v10
	v_or3_b32 v16, v10, v15, v14
	v_and_b32_e32 v15, 15, v13
	s_delay_alu instid0(VALU_DEP_3) | instskip(NEXT) | instid1(VALU_DEP_3)
	v_lshrrev_b32_e32 v14, 16, v17
	v_mov_b32_dpp v18, v16 row_shr:1 row_mask:0xf bank_mask:0xf
	s_delay_alu instid0(VALU_DEP_3)
	v_cmpx_ne_u32_e32 0, v15
	s_cbranch_execz .LBB99_223
; %bb.222:
	s_delay_alu instid0(VALU_DEP_3) | instskip(NEXT) | instid1(VALU_DEP_3)
	v_and_b32_e32 v14, 0xff, v14
	v_cmp_gt_f16_e64 s23, v11, v18
	v_lshrrev_b32_e32 v16, 16, v18
	v_and_b32_e32 v17, 0x10000, v17
	s_delay_alu instid0(VALU_DEP_3) | instskip(SKIP_1) | instid1(VALU_DEP_4)
	v_cndmask_b32_e64 v11, v18, v11, s23
	v_cmp_eq_u16_e64 s23, 0, v14
	v_and_b32_e32 v16, 1, v16
	s_delay_alu instid0(VALU_DEP_2) | instskip(SKIP_1) | instid1(VALU_DEP_2)
	v_cndmask_b32_e64 v12, v12, v11, s23
	v_cmp_ne_u32_e64 s23, 0, v17
	v_and_b32_e32 v11, 0xffff, v12
	s_delay_alu instid0(VALU_DEP_2) | instskip(NEXT) | instid1(VALU_DEP_1)
	v_cndmask_b32_e64 v14, v16, 1, s23
	v_lshlrev_b32_e32 v16, 16, v14
	s_delay_alu instid0(VALU_DEP_1)
	v_or3_b32 v16, v16, v11, v10
	v_mov_b32_e32 v11, v12
.LBB99_223:
	s_or_b32 exec_lo, exec_lo, s24
	s_delay_alu instid0(VALU_DEP_2)
	v_lshrrev_b32_e32 v17, 16, v16
	v_mov_b32_dpp v18, v16 row_shr:2 row_mask:0xf bank_mask:0xf
	s_mov_b32 s24, exec_lo
	v_cmpx_lt_u32_e32 1, v15
	s_cbranch_execz .LBB99_225
; %bb.224:
	v_lshrrev_b32_e32 v14, 16, v16
	v_lshrrev_b32_e32 v17, 16, v18
	v_and_b32_e32 v16, 0x10000, v16
	v_cmp_gt_f16_e64 s23, v11, v18
	s_delay_alu instid0(VALU_DEP_4) | instskip(NEXT) | instid1(VALU_DEP_4)
	v_and_b32_e32 v19, 0xff, v14
	v_and_b32_e32 v14, 1, v17
	s_delay_alu instid0(VALU_DEP_3) | instskip(SKIP_1) | instid1(VALU_DEP_1)
	v_cndmask_b32_e64 v11, v18, v11, s23
	v_cmp_ne_u32_e64 s23, 0, v16
	v_cndmask_b32_e64 v14, v14, 1, s23
	v_cmp_eq_u16_e64 s23, 0, v19
	s_delay_alu instid0(VALU_DEP_2) | instskip(NEXT) | instid1(VALU_DEP_2)
	v_lshlrev_b32_e32 v16, 16, v14
	v_cndmask_b32_e64 v11, v12, v11, s23
	s_delay_alu instid0(VALU_DEP_1) | instskip(NEXT) | instid1(VALU_DEP_1)
	v_dual_mov_b32 v12, v11 :: v_dual_and_b32 v17, 0xffff, v11
	v_or3_b32 v16, v16, v17, v10
	v_mov_b32_e32 v17, v14
.LBB99_225:
	s_or_b32 exec_lo, exec_lo, s24
	s_delay_alu instid0(VALU_DEP_2)
	v_mov_b32_dpp v18, v16 row_shr:4 row_mask:0xf bank_mask:0xf
	s_mov_b32 s24, exec_lo
	v_cmpx_lt_u32_e32 3, v15
	s_cbranch_execz .LBB99_227
; %bb.226:
	v_and_b32_e32 v16, 0xff, v17
	v_cmp_gt_f16_e64 s23, v11, v18
	v_lshrrev_b32_e32 v14, 16, v18
	s_delay_alu instid0(VALU_DEP_2) | instskip(NEXT) | instid1(VALU_DEP_4)
	v_cndmask_b32_e64 v11, v18, v11, s23
	v_cmp_eq_u16_e64 s23, 0, v16
	s_delay_alu instid0(VALU_DEP_3) | instskip(NEXT) | instid1(VALU_DEP_2)
	v_and_b32_e32 v14, 1, v14
	v_cndmask_b32_e64 v11, v12, v11, s23
	s_delay_alu instid0(VALU_DEP_1) | instskip(NEXT) | instid1(VALU_DEP_1)
	v_dual_mov_b32 v12, v11 :: v_dual_and_b32 v17, 1, v17
	v_cmp_eq_u32_e64 s23, 1, v17
	v_and_b32_e32 v16, 0xffff, v11
	s_delay_alu instid0(VALU_DEP_2) | instskip(NEXT) | instid1(VALU_DEP_1)
	v_cndmask_b32_e64 v14, v14, 1, s23
	v_lshlrev_b32_e32 v17, 16, v14
	s_delay_alu instid0(VALU_DEP_1)
	v_or3_b32 v16, v17, v16, v10
	v_mov_b32_e32 v17, v14
.LBB99_227:
	s_or_b32 exec_lo, exec_lo, s24
	s_delay_alu instid0(VALU_DEP_2)
	v_mov_b32_dpp v18, v16 row_shr:8 row_mask:0xf bank_mask:0xf
	s_mov_b32 s24, exec_lo
	v_cmpx_lt_u32_e32 7, v15
	s_cbranch_execz .LBB99_229
; %bb.228:
	v_and_b32_e32 v15, 0xff, v17
	v_cmp_gt_f16_e64 s23, v11, v18
	v_lshrrev_b32_e32 v14, 16, v18
	v_and_b32_e32 v16, 1, v17
	s_delay_alu instid0(VALU_DEP_3) | instskip(SKIP_1) | instid1(VALU_DEP_4)
	v_cndmask_b32_e64 v11, v18, v11, s23
	v_cmp_eq_u16_e64 s23, 0, v15
	v_and_b32_e32 v14, 1, v14
	s_delay_alu instid0(VALU_DEP_2) | instskip(SKIP_1) | instid1(VALU_DEP_2)
	v_cndmask_b32_e64 v11, v12, v11, s23
	v_cmp_eq_u32_e64 s23, 1, v16
	v_and_b32_e32 v15, 0xffff, v11
	s_delay_alu instid0(VALU_DEP_2) | instskip(NEXT) | instid1(VALU_DEP_1)
	v_cndmask_b32_e64 v14, v14, 1, s23
	v_dual_mov_b32 v12, v11 :: v_dual_mov_b32 v17, v14
	v_lshlrev_b32_e32 v16, 16, v14
	s_delay_alu instid0(VALU_DEP_1)
	v_or3_b32 v16, v16, v15, v10
.LBB99_229:
	s_or_b32 exec_lo, exec_lo, s24
	ds_swizzle_b32 v15, v16 offset:swizzle(BROADCAST,32,15)
	v_and_b32_e32 v18, 0xff, v17
	v_and_b32_e32 v17, 1, v17
	;; [unrolled: 1-line block ×4, first 2 shown]
	v_cmp_eq_u32_e64 s24, 1, v9
	s_waitcnt lgkmcnt(0)
	v_lshrrev_b32_e32 v16, 16, v15
	v_cmp_gt_f16_e64 s23, v11, v15
	s_delay_alu instid0(VALU_DEP_2) | instskip(NEXT) | instid1(VALU_DEP_2)
	v_and_b32_e32 v16, 1, v16
	v_cndmask_b32_e64 v11, v15, v11, s23
	v_cmp_eq_u32_e64 s23, 1, v17
	s_delay_alu instid0(VALU_DEP_1) | instskip(SKIP_1) | instid1(VALU_DEP_1)
	v_cndmask_b32_e64 v15, v16, 1, s23
	v_cmp_eq_u16_e64 s23, 0, v18
	v_cndmask_b32_e64 v11, v12, v11, s23
	v_cmp_eq_u32_e64 s23, 0, v19
	s_delay_alu instid0(VALU_DEP_1) | instskip(SKIP_1) | instid1(VALU_DEP_4)
	v_cndmask_b32_e64 v14, v15, v14, s23
	v_add_nc_u32_e32 v15, -1, v13
	v_cndmask_b32_e64 v11, v11, v12, s23
	s_delay_alu instid0(VALU_DEP_3) | instskip(NEXT) | instid1(VALU_DEP_3)
	v_and_b32_e32 v12, 0xff, v14
	v_cmp_gt_i32_e64 s23, 0, v15
	s_delay_alu instid0(VALU_DEP_3) | instskip(NEXT) | instid1(VALU_DEP_3)
	v_and_b32_e32 v11, 0xffff, v11
	v_lshlrev_b32_e32 v12, 16, v12
	s_delay_alu instid0(VALU_DEP_3) | instskip(NEXT) | instid1(VALU_DEP_2)
	v_cndmask_b32_e64 v13, v15, v13, s23
	v_or3_b32 v10, v12, v11, v10
	s_delay_alu instid0(VALU_DEP_2) | instskip(SKIP_3) | instid1(VALU_DEP_1)
	v_lshlrev_b32_e32 v13, 2, v13
	ds_bpermute_b32 v10, v13, v10
	s_waitcnt lgkmcnt(0)
	v_cmp_gt_f16_e64 s23, v5, v10
	v_cndmask_b32_e64 v11, v10, v5, s23
	v_cmp_eq_u16_e64 s23, 0, v7
	v_lshrrev_b32_e32 v10, 16, v10
	s_delay_alu instid0(VALU_DEP_2) | instskip(SKIP_1) | instid1(VALU_DEP_3)
	v_cndmask_b32_e64 v5, v5, v11, s23
	v_cmp_eq_u32_e64 s23, 0, v0
	v_and_b32_e32 v7, 1, v10
	s_delay_alu instid0(VALU_DEP_2) | instskip(NEXT) | instid1(VALU_DEP_2)
	v_cndmask_b32_e64 v3, v5, v3, s23
	v_cndmask_b32_e64 v5, v7, 1, s24
	s_delay_alu instid0(VALU_DEP_2) | instskip(NEXT) | instid1(VALU_DEP_2)
	v_cmp_gt_f16_e64 s24, v8, v3
	v_cndmask_b32_e64 v2, v5, v2, s23
	s_delay_alu instid0(VALU_DEP_2) | instskip(NEXT) | instid1(VALU_DEP_1)
	v_cndmask_b32_e64 v7, v3, v8, s24
	v_cndmask_b32_e64 v5, v6, v7, s21
	s_delay_alu instid0(VALU_DEP_3)
	v_cndmask_b32_e64 v6, v2, 1, s22
	ds_store_b16 v4, v3
	ds_store_b8 v4, v2 offset:2
	ds_store_b16 v4, v5 offset:4
	ds_store_b8 v4, v6 offset:6
.LBB99_230:
	s_or_b32 exec_lo, exec_lo, s25
	v_cmp_eq_u32_e64 s21, 0, v0
	v_mov_b32_e32 v2, v1
	s_mov_b32 s23, exec_lo
	s_waitcnt lgkmcnt(0)
	s_barrier
	buffer_gl0_inv
	v_cmpx_ne_u32_e32 0, v0
	s_cbranch_execz .LBB99_232
; %bb.231:
	v_add_nc_u32_e32 v2, -1, v0
	s_delay_alu instid0(VALU_DEP_1) | instskip(NEXT) | instid1(VALU_DEP_1)
	v_lshrrev_b32_e32 v3, 5, v2
	v_add_lshl_u32 v2, v3, v2, 2
	ds_load_u16 v3, v2
	ds_load_u8 v2, v2 offset:2
	s_waitcnt lgkmcnt(1)
	v_cmp_gt_f16_e64 s22, v3, v1
	s_delay_alu instid0(VALU_DEP_1) | instskip(SKIP_2) | instid1(VALU_DEP_1)
	v_cndmask_b32_e64 v4, v1, v3, s22
	s_waitcnt lgkmcnt(0)
	v_cmp_eq_u16_e64 s22, 0, v2
	v_cndmask_b32_e64 v2, v3, v4, s22
.LBB99_232:
	s_or_b32 exec_lo, exec_lo, s23
	v_and_b32_e32 v3, 0xff, v33
	s_delay_alu instid0(VALU_DEP_2) | instskip(NEXT) | instid1(VALU_DEP_1)
	v_cmp_lt_f16_e64 s22, v2, v34
	v_cndmask_b32_e64 v4, v2, v34, s22
	s_delay_alu instid0(VALU_DEP_3) | instskip(NEXT) | instid1(VALU_DEP_1)
	v_cmp_eq_u16_e64 s22, 0, v3
	v_cndmask_b32_e64 v3, v34, v4, s22
	s_delay_alu instid0(VALU_DEP_1) | instskip(NEXT) | instid1(VALU_DEP_1)
	v_cmp_lt_f16_e64 s22, v3, v29
	v_cndmask_b32_e64 v4, v3, v29, s22
	s_delay_alu instid0(VALU_DEP_1) | instskip(NEXT) | instid1(VALU_DEP_1)
	v_cndmask_b32_e32 v4, v29, v4, vcc_lo
	v_cmp_lt_f16_e32 vcc_lo, v4, v35
	v_cndmask_b32_e32 v5, v4, v35, vcc_lo
	s_delay_alu instid0(VALU_DEP_1) | instskip(NEXT) | instid1(VALU_DEP_1)
	v_cndmask_b32_e64 v5, v35, v5, s2
	v_cmp_lt_f16_e32 vcc_lo, v5, v36
	v_cndmask_b32_e32 v6, v5, v36, vcc_lo
	s_delay_alu instid0(VALU_DEP_1) | instskip(NEXT) | instid1(VALU_DEP_1)
	v_cndmask_b32_e64 v11, v36, v6, s3
	;; [unrolled: 4-line block ×18, first 2 shown]
	v_cmp_lt_f16_e32 vcc_lo, v30, v27
	v_cndmask_b32_e32 v6, v30, v27, vcc_lo
	s_and_saveexec_b32 s2, s21
	s_cbranch_execz .LBB99_234
; %bb.233:
	v_mov_b32_e32 v9, 0
	ds_load_u16 v7, v9 offset:256
	ds_load_u8 v8, v9 offset:258
	s_waitcnt lgkmcnt(1)
	v_cmp_gt_f16_e32 vcc_lo, v7, v1
	v_cndmask_b32_e32 v1, v1, v7, vcc_lo
	s_waitcnt lgkmcnt(0)
	v_cmp_eq_u32_e32 vcc_lo, 0, v8
	s_delay_alu instid0(VALU_DEP_2) | instskip(SKIP_1) | instid1(VALU_DEP_2)
	v_cndmask_b32_e32 v1, v7, v1, vcc_lo
	v_dual_mov_b32 v8, 2 :: v_dual_lshlrev_b32 v7, 16, v8
	v_and_b32_e32 v1, 0xffff, v1
	s_delay_alu instid0(VALU_DEP_1)
	v_or_b32_e32 v7, v7, v1
	global_store_b64 v9, v[7:8], s[36:37] offset:256
.LBB99_234:
	s_or_b32 exec_lo, exec_lo, s2
	s_delay_alu instid0(VALU_DEP_1)
	v_cndmask_b32_e64 v1, v27, v6, s14
.LBB99_235:
	s_load_b64 s[0:1], s[0:1], 0x18
	v_mul_u32_u24_e32 v27, 22, v0
	v_perm_b32 v6, v5, v4, 0x5040100
	v_perm_b32 v7, v3, v2, 0x5040100
	v_perm_b32 v8, v14, v13, 0x5040100
	v_perm_b32 v9, v12, v11, 0x5040100
	v_perm_b32 v10, v18, v17, 0x5040100
	v_perm_b32 v11, v16, v15, 0x5040100
	v_perm_b32 v12, v22, v21, 0x5040100
	v_perm_b32 v13, v20, v19, 0x5040100
	v_perm_b32 v14, v26, v25, 0x5040100
	v_perm_b32 v15, v24, v23, 0x5040100
	v_perm_b32 v16, v1, v30, 0x5040100
	v_lshlrev_b32_e32 v5, 1, v27
	v_lshlrev_b32_e32 v4, 1, v0
	s_waitcnt lgkmcnt(0)
	s_add_u32 s0, s0, s28
	s_addc_u32 s1, s1, s29
	s_and_b32 vcc_lo, exec_lo, s39
	s_cbranch_vccz .LBB99_279
; %bb.236:
	v_mad_i32_i24 v1, 0xffffffd6, v0, v5
	s_waitcnt_vscnt null, 0x0
	s_barrier
	buffer_gl0_inv
	ds_store_2addr_b32 v5, v7, v6 offset1:1
	ds_store_2addr_b32 v5, v9, v8 offset0:2 offset1:3
	ds_store_2addr_b32 v5, v11, v10 offset0:4 offset1:5
	;; [unrolled: 1-line block ×4, first 2 shown]
	ds_store_b32 v5, v16 offset:40
	s_waitcnt lgkmcnt(0)
	s_barrier
	buffer_gl0_inv
	ds_load_u16 v37, v1 offset:128
	ds_load_u16 v36, v1 offset:256
	ds_load_u16 v35, v1 offset:384
	ds_load_u16 v34, v1 offset:512
	ds_load_u16 v33, v1 offset:640
	ds_load_u16 v32, v1 offset:768
	ds_load_u16 v31, v1 offset:896
	ds_load_u16 v30, v1 offset:1024
	ds_load_u16 v29, v1 offset:1152
	ds_load_u16 v28, v1 offset:1280
	ds_load_u16 v27, v1 offset:1408
	ds_load_u16 v26, v1 offset:1536
	ds_load_u16 v25, v1 offset:1664
	ds_load_u16 v24, v1 offset:1792
	ds_load_u16 v23, v1 offset:1920
	ds_load_u16 v22, v1 offset:2048
	ds_load_u16 v21, v1 offset:2176
	ds_load_u16 v20, v1 offset:2304
	ds_load_u16 v19, v1 offset:2432
	ds_load_u16 v18, v1 offset:2560
	ds_load_u16 v17, v1 offset:2688
	v_add_co_u32 v2, s2, s0, v4
	v_mov_b32_e32 v1, 0
	v_add_co_ci_u32_e64 v3, null, s1, 0, s2
	s_add_i32 s33, s33, s38
	s_mov_b32 s2, exec_lo
	v_cmpx_gt_u32_e64 s33, v0
	s_cbranch_execz .LBB99_238
; %bb.237:
	v_mul_i32_i24_e32 v38, 0xffffffd6, v0
	s_delay_alu instid0(VALU_DEP_1)
	v_add_nc_u32_e32 v38, v5, v38
	ds_load_u16 v38, v38
	s_waitcnt lgkmcnt(0)
	global_store_b16 v[2:3], v38, off
.LBB99_238:
	s_or_b32 exec_lo, exec_lo, s2
	v_or_b32_e32 v38, 64, v0
	s_mov_b32 s2, exec_lo
	s_delay_alu instid0(VALU_DEP_1)
	v_cmpx_gt_u32_e64 s33, v38
	s_cbranch_execz .LBB99_240
; %bb.239:
	s_waitcnt lgkmcnt(20)
	global_store_b16 v[2:3], v37, off offset:128
.LBB99_240:
	s_or_b32 exec_lo, exec_lo, s2
	s_waitcnt lgkmcnt(20)
	v_or_b32_e32 v37, 0x80, v0
	s_mov_b32 s2, exec_lo
	s_delay_alu instid0(VALU_DEP_1)
	v_cmpx_gt_u32_e64 s33, v37
	s_cbranch_execz .LBB99_242
; %bb.241:
	s_waitcnt lgkmcnt(19)
	global_store_b16 v[2:3], v36, off offset:256
.LBB99_242:
	s_or_b32 exec_lo, exec_lo, s2
	s_waitcnt lgkmcnt(19)
	v_or_b32_e32 v36, 0xc0, v0
	s_mov_b32 s2, exec_lo
	s_delay_alu instid0(VALU_DEP_1)
	v_cmpx_gt_u32_e64 s33, v36
	s_cbranch_execz .LBB99_244
; %bb.243:
	s_waitcnt lgkmcnt(18)
	global_store_b16 v[2:3], v35, off offset:384
.LBB99_244:
	s_or_b32 exec_lo, exec_lo, s2
	s_waitcnt lgkmcnt(18)
	v_or_b32_e32 v35, 0x100, v0
	s_mov_b32 s2, exec_lo
	s_delay_alu instid0(VALU_DEP_1)
	v_cmpx_gt_u32_e64 s33, v35
	s_cbranch_execz .LBB99_246
; %bb.245:
	s_waitcnt lgkmcnt(17)
	global_store_b16 v[2:3], v34, off offset:512
.LBB99_246:
	s_or_b32 exec_lo, exec_lo, s2
	s_waitcnt lgkmcnt(17)
	v_or_b32_e32 v34, 0x140, v0
	s_mov_b32 s2, exec_lo
	s_delay_alu instid0(VALU_DEP_1)
	v_cmpx_gt_u32_e64 s33, v34
	s_cbranch_execz .LBB99_248
; %bb.247:
	s_waitcnt lgkmcnt(16)
	global_store_b16 v[2:3], v33, off offset:640
.LBB99_248:
	s_or_b32 exec_lo, exec_lo, s2
	s_waitcnt lgkmcnt(16)
	v_or_b32_e32 v33, 0x180, v0
	s_mov_b32 s2, exec_lo
	s_delay_alu instid0(VALU_DEP_1)
	v_cmpx_gt_u32_e64 s33, v33
	s_cbranch_execz .LBB99_250
; %bb.249:
	s_waitcnt lgkmcnt(15)
	global_store_b16 v[2:3], v32, off offset:768
.LBB99_250:
	s_or_b32 exec_lo, exec_lo, s2
	s_waitcnt lgkmcnt(15)
	v_or_b32_e32 v32, 0x1c0, v0
	s_mov_b32 s2, exec_lo
	s_delay_alu instid0(VALU_DEP_1)
	v_cmpx_gt_u32_e64 s33, v32
	s_cbranch_execz .LBB99_252
; %bb.251:
	s_waitcnt lgkmcnt(14)
	global_store_b16 v[2:3], v31, off offset:896
.LBB99_252:
	s_or_b32 exec_lo, exec_lo, s2
	s_waitcnt lgkmcnt(14)
	v_or_b32_e32 v31, 0x200, v0
	s_mov_b32 s2, exec_lo
	s_delay_alu instid0(VALU_DEP_1)
	v_cmpx_gt_u32_e64 s33, v31
	s_cbranch_execz .LBB99_254
; %bb.253:
	s_waitcnt lgkmcnt(13)
	global_store_b16 v[2:3], v30, off offset:1024
.LBB99_254:
	s_or_b32 exec_lo, exec_lo, s2
	s_waitcnt lgkmcnt(13)
	v_or_b32_e32 v30, 0x240, v0
	s_mov_b32 s2, exec_lo
	s_delay_alu instid0(VALU_DEP_1)
	v_cmpx_gt_u32_e64 s33, v30
	s_cbranch_execz .LBB99_256
; %bb.255:
	s_waitcnt lgkmcnt(12)
	global_store_b16 v[2:3], v29, off offset:1152
.LBB99_256:
	s_or_b32 exec_lo, exec_lo, s2
	s_waitcnt lgkmcnt(12)
	v_or_b32_e32 v29, 0x280, v0
	s_mov_b32 s2, exec_lo
	s_delay_alu instid0(VALU_DEP_1)
	v_cmpx_gt_u32_e64 s33, v29
	s_cbranch_execz .LBB99_258
; %bb.257:
	s_waitcnt lgkmcnt(11)
	global_store_b16 v[2:3], v28, off offset:1280
.LBB99_258:
	s_or_b32 exec_lo, exec_lo, s2
	s_waitcnt lgkmcnt(11)
	v_or_b32_e32 v28, 0x2c0, v0
	s_mov_b32 s2, exec_lo
	s_delay_alu instid0(VALU_DEP_1)
	v_cmpx_gt_u32_e64 s33, v28
	s_cbranch_execz .LBB99_260
; %bb.259:
	s_waitcnt lgkmcnt(10)
	global_store_b16 v[2:3], v27, off offset:1408
.LBB99_260:
	s_or_b32 exec_lo, exec_lo, s2
	s_waitcnt lgkmcnt(10)
	v_or_b32_e32 v27, 0x300, v0
	s_mov_b32 s2, exec_lo
	s_delay_alu instid0(VALU_DEP_1)
	v_cmpx_gt_u32_e64 s33, v27
	s_cbranch_execz .LBB99_262
; %bb.261:
	s_waitcnt lgkmcnt(9)
	global_store_b16 v[2:3], v26, off offset:1536
.LBB99_262:
	s_or_b32 exec_lo, exec_lo, s2
	s_waitcnt lgkmcnt(9)
	v_or_b32_e32 v26, 0x340, v0
	s_mov_b32 s2, exec_lo
	s_delay_alu instid0(VALU_DEP_1)
	v_cmpx_gt_u32_e64 s33, v26
	s_cbranch_execz .LBB99_264
; %bb.263:
	s_waitcnt lgkmcnt(8)
	global_store_b16 v[2:3], v25, off offset:1664
.LBB99_264:
	s_or_b32 exec_lo, exec_lo, s2
	s_waitcnt lgkmcnt(8)
	v_or_b32_e32 v25, 0x380, v0
	s_mov_b32 s2, exec_lo
	s_delay_alu instid0(VALU_DEP_1)
	v_cmpx_gt_u32_e64 s33, v25
	s_cbranch_execz .LBB99_266
; %bb.265:
	s_waitcnt lgkmcnt(7)
	global_store_b16 v[2:3], v24, off offset:1792
.LBB99_266:
	s_or_b32 exec_lo, exec_lo, s2
	s_waitcnt lgkmcnt(7)
	v_or_b32_e32 v24, 0x3c0, v0
	s_mov_b32 s2, exec_lo
	s_delay_alu instid0(VALU_DEP_1)
	v_cmpx_gt_u32_e64 s33, v24
	s_cbranch_execz .LBB99_268
; %bb.267:
	s_waitcnt lgkmcnt(6)
	global_store_b16 v[2:3], v23, off offset:1920
.LBB99_268:
	s_or_b32 exec_lo, exec_lo, s2
	s_waitcnt lgkmcnt(6)
	v_or_b32_e32 v23, 0x400, v0
	s_mov_b32 s2, exec_lo
	s_delay_alu instid0(VALU_DEP_1)
	v_cmpx_gt_u32_e64 s33, v23
	s_cbranch_execz .LBB99_270
; %bb.269:
	s_waitcnt lgkmcnt(5)
	global_store_b16 v[2:3], v22, off offset:2048
.LBB99_270:
	s_or_b32 exec_lo, exec_lo, s2
	s_waitcnt lgkmcnt(5)
	v_or_b32_e32 v22, 0x440, v0
	s_mov_b32 s2, exec_lo
	s_delay_alu instid0(VALU_DEP_1)
	v_cmpx_gt_u32_e64 s33, v22
	s_cbranch_execz .LBB99_272
; %bb.271:
	s_waitcnt lgkmcnt(4)
	global_store_b16 v[2:3], v21, off offset:2176
.LBB99_272:
	s_or_b32 exec_lo, exec_lo, s2
	s_waitcnt lgkmcnt(4)
	v_or_b32_e32 v21, 0x480, v0
	s_mov_b32 s2, exec_lo
	s_delay_alu instid0(VALU_DEP_1)
	v_cmpx_gt_u32_e64 s33, v21
	s_cbranch_execz .LBB99_274
; %bb.273:
	s_waitcnt lgkmcnt(3)
	global_store_b16 v[2:3], v20, off offset:2304
.LBB99_274:
	s_or_b32 exec_lo, exec_lo, s2
	s_waitcnt lgkmcnt(3)
	v_or_b32_e32 v20, 0x4c0, v0
	s_mov_b32 s2, exec_lo
	s_delay_alu instid0(VALU_DEP_1)
	v_cmpx_gt_u32_e64 s33, v20
	s_cbranch_execz .LBB99_276
; %bb.275:
	s_waitcnt lgkmcnt(2)
	global_store_b16 v[2:3], v19, off offset:2432
.LBB99_276:
	s_or_b32 exec_lo, exec_lo, s2
	s_waitcnt lgkmcnt(2)
	v_or_b32_e32 v19, 0x500, v0
	s_mov_b32 s2, exec_lo
	s_delay_alu instid0(VALU_DEP_1)
	v_cmpx_gt_u32_e64 s33, v19
	s_cbranch_execz .LBB99_278
; %bb.277:
	s_waitcnt lgkmcnt(1)
	global_store_b16 v[2:3], v18, off offset:2560
.LBB99_278:
	s_or_b32 exec_lo, exec_lo, s2
	v_or_b32_e32 v2, 0x540, v0
	s_delay_alu instid0(VALU_DEP_1)
	v_cmp_gt_u32_e64 s2, s33, v2
	s_branch .LBB99_281
.LBB99_279:
	s_mov_b32 s2, 0
                                        ; implicit-def: $vgpr17
	s_cbranch_execz .LBB99_281
; %bb.280:
	v_mad_i32_i24 v2, 0xffffffd6, v0, v5
	s_waitcnt lgkmcnt(0)
	s_waitcnt_vscnt null, 0x0
	s_barrier
	buffer_gl0_inv
	ds_store_2addr_b32 v5, v7, v6 offset1:1
	ds_store_2addr_b32 v5, v9, v8 offset0:2 offset1:3
	ds_store_2addr_b32 v5, v11, v10 offset0:4 offset1:5
	ds_store_2addr_b32 v5, v13, v12 offset0:6 offset1:7
	ds_store_2addr_b32 v5, v15, v14 offset0:8 offset1:9
	ds_store_b32 v5, v16 offset:40
	s_waitcnt lgkmcnt(0)
	s_barrier
	buffer_gl0_inv
	ds_load_u16 v3, v2
	ds_load_u16 v5, v2 offset:128
	ds_load_u16 v6, v2 offset:256
	;; [unrolled: 1-line block ×21, first 2 shown]
	v_mov_b32_e32 v1, 0
	s_or_b32 s2, s2, exec_lo
	s_waitcnt lgkmcnt(21)
	global_store_b16 v4, v3, s[0:1]
	s_waitcnt lgkmcnt(20)
	global_store_b16 v4, v5, s[0:1] offset:128
	s_waitcnt lgkmcnt(19)
	global_store_b16 v4, v6, s[0:1] offset:256
	;; [unrolled: 2-line block ×20, first 2 shown]
.LBB99_281:
	s_delay_alu instid0(VALU_DEP_1)
	s_and_saveexec_b32 s3, s2
	s_cbranch_execz .LBB99_283
; %bb.282:
	v_lshlrev_b64 v[0:1], 1, v[0:1]
	s_delay_alu instid0(VALU_DEP_1) | instskip(NEXT) | instid1(VALU_DEP_2)
	v_add_co_u32 v0, vcc_lo, s0, v0
	v_add_co_ci_u32_e32 v1, vcc_lo, s1, v1, vcc_lo
	s_waitcnt lgkmcnt(0)
	global_store_b16 v[0:1], v17, off offset:2688
	s_nop 0
	s_sendmsg sendmsg(MSG_DEALLOC_VGPRS)
	s_endpgm
.LBB99_283:
	s_nop 0
	s_sendmsg sendmsg(MSG_DEALLOC_VGPRS)
	s_endpgm
	.section	.rodata,"a",@progbits
	.p2align	6, 0x0
	.amdhsa_kernel _ZN7rocprim6detail25device_scan_by_key_kernelILNS0_25lookback_scan_determinismE0ELb1ENS0_26wrapped_scan_by_key_configINS_14default_configEi6__halfEEPiN6hipcub22TransformInputIteratorIS5_NS8_6CastOpIS5_EEPS5_lEESC_S5_NS8_8EqualityENS8_3MaxENS0_19lookback_scan_stateINS_5tupleIJS5_bEEELb0ELb1EEES5_EEvT2_T3_T4_T5_T6_T7_T8_mmmPKNSH_IJT9_bEEE
		.amdhsa_group_segment_fixed_size 6144
		.amdhsa_private_segment_fixed_size 0
		.amdhsa_kernarg_size 80
		.amdhsa_user_sgpr_count 15
		.amdhsa_user_sgpr_dispatch_ptr 0
		.amdhsa_user_sgpr_queue_ptr 0
		.amdhsa_user_sgpr_kernarg_segment_ptr 1
		.amdhsa_user_sgpr_dispatch_id 0
		.amdhsa_user_sgpr_private_segment_size 0
		.amdhsa_wavefront_size32 1
		.amdhsa_uses_dynamic_stack 0
		.amdhsa_enable_private_segment 0
		.amdhsa_system_sgpr_workgroup_id_x 1
		.amdhsa_system_sgpr_workgroup_id_y 0
		.amdhsa_system_sgpr_workgroup_id_z 0
		.amdhsa_system_sgpr_workgroup_info 0
		.amdhsa_system_vgpr_workitem_id 0
		.amdhsa_next_free_vgpr 74
		.amdhsa_next_free_sgpr 45
		.amdhsa_reserve_vcc 1
		.amdhsa_float_round_mode_32 0
		.amdhsa_float_round_mode_16_64 0
		.amdhsa_float_denorm_mode_32 3
		.amdhsa_float_denorm_mode_16_64 3
		.amdhsa_dx10_clamp 1
		.amdhsa_ieee_mode 1
		.amdhsa_fp16_overflow 0
		.amdhsa_workgroup_processor_mode 1
		.amdhsa_memory_ordered 1
		.amdhsa_forward_progress 0
		.amdhsa_shared_vgpr_count 0
		.amdhsa_exception_fp_ieee_invalid_op 0
		.amdhsa_exception_fp_denorm_src 0
		.amdhsa_exception_fp_ieee_div_zero 0
		.amdhsa_exception_fp_ieee_overflow 0
		.amdhsa_exception_fp_ieee_underflow 0
		.amdhsa_exception_fp_ieee_inexact 0
		.amdhsa_exception_int_div_zero 0
	.end_amdhsa_kernel
	.section	.text._ZN7rocprim6detail25device_scan_by_key_kernelILNS0_25lookback_scan_determinismE0ELb1ENS0_26wrapped_scan_by_key_configINS_14default_configEi6__halfEEPiN6hipcub22TransformInputIteratorIS5_NS8_6CastOpIS5_EEPS5_lEESC_S5_NS8_8EqualityENS8_3MaxENS0_19lookback_scan_stateINS_5tupleIJS5_bEEELb0ELb1EEES5_EEvT2_T3_T4_T5_T6_T7_T8_mmmPKNSH_IJT9_bEEE,"axG",@progbits,_ZN7rocprim6detail25device_scan_by_key_kernelILNS0_25lookback_scan_determinismE0ELb1ENS0_26wrapped_scan_by_key_configINS_14default_configEi6__halfEEPiN6hipcub22TransformInputIteratorIS5_NS8_6CastOpIS5_EEPS5_lEESC_S5_NS8_8EqualityENS8_3MaxENS0_19lookback_scan_stateINS_5tupleIJS5_bEEELb0ELb1EEES5_EEvT2_T3_T4_T5_T6_T7_T8_mmmPKNSH_IJT9_bEEE,comdat
.Lfunc_end99:
	.size	_ZN7rocprim6detail25device_scan_by_key_kernelILNS0_25lookback_scan_determinismE0ELb1ENS0_26wrapped_scan_by_key_configINS_14default_configEi6__halfEEPiN6hipcub22TransformInputIteratorIS5_NS8_6CastOpIS5_EEPS5_lEESC_S5_NS8_8EqualityENS8_3MaxENS0_19lookback_scan_stateINS_5tupleIJS5_bEEELb0ELb1EEES5_EEvT2_T3_T4_T5_T6_T7_T8_mmmPKNSH_IJT9_bEEE, .Lfunc_end99-_ZN7rocprim6detail25device_scan_by_key_kernelILNS0_25lookback_scan_determinismE0ELb1ENS0_26wrapped_scan_by_key_configINS_14default_configEi6__halfEEPiN6hipcub22TransformInputIteratorIS5_NS8_6CastOpIS5_EEPS5_lEESC_S5_NS8_8EqualityENS8_3MaxENS0_19lookback_scan_stateINS_5tupleIJS5_bEEELb0ELb1EEES5_EEvT2_T3_T4_T5_T6_T7_T8_mmmPKNSH_IJT9_bEEE
                                        ; -- End function
	.section	.AMDGPU.csdata,"",@progbits
; Kernel info:
; codeLenInByte = 17416
; NumSgprs: 47
; NumVgprs: 74
; ScratchSize: 0
; MemoryBound: 0
; FloatMode: 240
; IeeeMode: 1
; LDSByteSize: 6144 bytes/workgroup (compile time only)
; SGPRBlocks: 5
; VGPRBlocks: 9
; NumSGPRsForWavesPerEU: 47
; NumVGPRsForWavesPerEU: 74
; Occupancy: 11
; WaveLimiterHint : 1
; COMPUTE_PGM_RSRC2:SCRATCH_EN: 0
; COMPUTE_PGM_RSRC2:USER_SGPR: 15
; COMPUTE_PGM_RSRC2:TRAP_HANDLER: 0
; COMPUTE_PGM_RSRC2:TGID_X_EN: 1
; COMPUTE_PGM_RSRC2:TGID_Y_EN: 0
; COMPUTE_PGM_RSRC2:TGID_Z_EN: 0
; COMPUTE_PGM_RSRC2:TIDIG_COMP_CNT: 0
	.section	.text._ZN7rocprim6detail25device_scan_by_key_kernelILNS0_25lookback_scan_determinismE0ELb1ENS0_26wrapped_scan_by_key_configINS_14default_configEi12hip_bfloat16EEPiN6hipcub22TransformInputIteratorIS5_NS8_6CastOpIS5_EEPS5_lEESC_S5_NS8_8EqualityENS8_3SumENS0_19lookback_scan_stateINS_5tupleIJS5_bEEELb1ELb1EEES5_EEvT2_T3_T4_T5_T6_T7_T8_mmmPKNSH_IJT9_bEEE,"axG",@progbits,_ZN7rocprim6detail25device_scan_by_key_kernelILNS0_25lookback_scan_determinismE0ELb1ENS0_26wrapped_scan_by_key_configINS_14default_configEi12hip_bfloat16EEPiN6hipcub22TransformInputIteratorIS5_NS8_6CastOpIS5_EEPS5_lEESC_S5_NS8_8EqualityENS8_3SumENS0_19lookback_scan_stateINS_5tupleIJS5_bEEELb1ELb1EEES5_EEvT2_T3_T4_T5_T6_T7_T8_mmmPKNSH_IJT9_bEEE,comdat
	.protected	_ZN7rocprim6detail25device_scan_by_key_kernelILNS0_25lookback_scan_determinismE0ELb1ENS0_26wrapped_scan_by_key_configINS_14default_configEi12hip_bfloat16EEPiN6hipcub22TransformInputIteratorIS5_NS8_6CastOpIS5_EEPS5_lEESC_S5_NS8_8EqualityENS8_3SumENS0_19lookback_scan_stateINS_5tupleIJS5_bEEELb1ELb1EEES5_EEvT2_T3_T4_T5_T6_T7_T8_mmmPKNSH_IJT9_bEEE ; -- Begin function _ZN7rocprim6detail25device_scan_by_key_kernelILNS0_25lookback_scan_determinismE0ELb1ENS0_26wrapped_scan_by_key_configINS_14default_configEi12hip_bfloat16EEPiN6hipcub22TransformInputIteratorIS5_NS8_6CastOpIS5_EEPS5_lEESC_S5_NS8_8EqualityENS8_3SumENS0_19lookback_scan_stateINS_5tupleIJS5_bEEELb1ELb1EEES5_EEvT2_T3_T4_T5_T6_T7_T8_mmmPKNSH_IJT9_bEEE
	.globl	_ZN7rocprim6detail25device_scan_by_key_kernelILNS0_25lookback_scan_determinismE0ELb1ENS0_26wrapped_scan_by_key_configINS_14default_configEi12hip_bfloat16EEPiN6hipcub22TransformInputIteratorIS5_NS8_6CastOpIS5_EEPS5_lEESC_S5_NS8_8EqualityENS8_3SumENS0_19lookback_scan_stateINS_5tupleIJS5_bEEELb1ELb1EEES5_EEvT2_T3_T4_T5_T6_T7_T8_mmmPKNSH_IJT9_bEEE
	.p2align	8
	.type	_ZN7rocprim6detail25device_scan_by_key_kernelILNS0_25lookback_scan_determinismE0ELb1ENS0_26wrapped_scan_by_key_configINS_14default_configEi12hip_bfloat16EEPiN6hipcub22TransformInputIteratorIS5_NS8_6CastOpIS5_EEPS5_lEESC_S5_NS8_8EqualityENS8_3SumENS0_19lookback_scan_stateINS_5tupleIJS5_bEEELb1ELb1EEES5_EEvT2_T3_T4_T5_T6_T7_T8_mmmPKNSH_IJT9_bEEE,@function
_ZN7rocprim6detail25device_scan_by_key_kernelILNS0_25lookback_scan_determinismE0ELb1ENS0_26wrapped_scan_by_key_configINS_14default_configEi12hip_bfloat16EEPiN6hipcub22TransformInputIteratorIS5_NS8_6CastOpIS5_EEPS5_lEESC_S5_NS8_8EqualityENS8_3SumENS0_19lookback_scan_stateINS_5tupleIJS5_bEEELb1ELb1EEES5_EEvT2_T3_T4_T5_T6_T7_T8_mmmPKNSH_IJT9_bEEE: ; @_ZN7rocprim6detail25device_scan_by_key_kernelILNS0_25lookback_scan_determinismE0ELb1ENS0_26wrapped_scan_by_key_configINS_14default_configEi12hip_bfloat16EEPiN6hipcub22TransformInputIteratorIS5_NS8_6CastOpIS5_EEPS5_lEESC_S5_NS8_8EqualityENS8_3SumENS0_19lookback_scan_stateINS_5tupleIJS5_bEEELb1ELb1EEES5_EEvT2_T3_T4_T5_T6_T7_T8_mmmPKNSH_IJT9_bEEE
; %bb.0:
	s_endpgm
	.section	.rodata,"a",@progbits
	.p2align	6, 0x0
	.amdhsa_kernel _ZN7rocprim6detail25device_scan_by_key_kernelILNS0_25lookback_scan_determinismE0ELb1ENS0_26wrapped_scan_by_key_configINS_14default_configEi12hip_bfloat16EEPiN6hipcub22TransformInputIteratorIS5_NS8_6CastOpIS5_EEPS5_lEESC_S5_NS8_8EqualityENS8_3SumENS0_19lookback_scan_stateINS_5tupleIJS5_bEEELb1ELb1EEES5_EEvT2_T3_T4_T5_T6_T7_T8_mmmPKNSH_IJT9_bEEE
		.amdhsa_group_segment_fixed_size 0
		.amdhsa_private_segment_fixed_size 0
		.amdhsa_kernarg_size 80
		.amdhsa_user_sgpr_count 15
		.amdhsa_user_sgpr_dispatch_ptr 0
		.amdhsa_user_sgpr_queue_ptr 0
		.amdhsa_user_sgpr_kernarg_segment_ptr 1
		.amdhsa_user_sgpr_dispatch_id 0
		.amdhsa_user_sgpr_private_segment_size 0
		.amdhsa_wavefront_size32 1
		.amdhsa_uses_dynamic_stack 0
		.amdhsa_enable_private_segment 0
		.amdhsa_system_sgpr_workgroup_id_x 1
		.amdhsa_system_sgpr_workgroup_id_y 0
		.amdhsa_system_sgpr_workgroup_id_z 0
		.amdhsa_system_sgpr_workgroup_info 0
		.amdhsa_system_vgpr_workitem_id 0
		.amdhsa_next_free_vgpr 1
		.amdhsa_next_free_sgpr 1
		.amdhsa_reserve_vcc 0
		.amdhsa_float_round_mode_32 0
		.amdhsa_float_round_mode_16_64 0
		.amdhsa_float_denorm_mode_32 3
		.amdhsa_float_denorm_mode_16_64 3
		.amdhsa_dx10_clamp 1
		.amdhsa_ieee_mode 1
		.amdhsa_fp16_overflow 0
		.amdhsa_workgroup_processor_mode 1
		.amdhsa_memory_ordered 1
		.amdhsa_forward_progress 0
		.amdhsa_shared_vgpr_count 0
		.amdhsa_exception_fp_ieee_invalid_op 0
		.amdhsa_exception_fp_denorm_src 0
		.amdhsa_exception_fp_ieee_div_zero 0
		.amdhsa_exception_fp_ieee_overflow 0
		.amdhsa_exception_fp_ieee_underflow 0
		.amdhsa_exception_fp_ieee_inexact 0
		.amdhsa_exception_int_div_zero 0
	.end_amdhsa_kernel
	.section	.text._ZN7rocprim6detail25device_scan_by_key_kernelILNS0_25lookback_scan_determinismE0ELb1ENS0_26wrapped_scan_by_key_configINS_14default_configEi12hip_bfloat16EEPiN6hipcub22TransformInputIteratorIS5_NS8_6CastOpIS5_EEPS5_lEESC_S5_NS8_8EqualityENS8_3SumENS0_19lookback_scan_stateINS_5tupleIJS5_bEEELb1ELb1EEES5_EEvT2_T3_T4_T5_T6_T7_T8_mmmPKNSH_IJT9_bEEE,"axG",@progbits,_ZN7rocprim6detail25device_scan_by_key_kernelILNS0_25lookback_scan_determinismE0ELb1ENS0_26wrapped_scan_by_key_configINS_14default_configEi12hip_bfloat16EEPiN6hipcub22TransformInputIteratorIS5_NS8_6CastOpIS5_EEPS5_lEESC_S5_NS8_8EqualityENS8_3SumENS0_19lookback_scan_stateINS_5tupleIJS5_bEEELb1ELb1EEES5_EEvT2_T3_T4_T5_T6_T7_T8_mmmPKNSH_IJT9_bEEE,comdat
.Lfunc_end100:
	.size	_ZN7rocprim6detail25device_scan_by_key_kernelILNS0_25lookback_scan_determinismE0ELb1ENS0_26wrapped_scan_by_key_configINS_14default_configEi12hip_bfloat16EEPiN6hipcub22TransformInputIteratorIS5_NS8_6CastOpIS5_EEPS5_lEESC_S5_NS8_8EqualityENS8_3SumENS0_19lookback_scan_stateINS_5tupleIJS5_bEEELb1ELb1EEES5_EEvT2_T3_T4_T5_T6_T7_T8_mmmPKNSH_IJT9_bEEE, .Lfunc_end100-_ZN7rocprim6detail25device_scan_by_key_kernelILNS0_25lookback_scan_determinismE0ELb1ENS0_26wrapped_scan_by_key_configINS_14default_configEi12hip_bfloat16EEPiN6hipcub22TransformInputIteratorIS5_NS8_6CastOpIS5_EEPS5_lEESC_S5_NS8_8EqualityENS8_3SumENS0_19lookback_scan_stateINS_5tupleIJS5_bEEELb1ELb1EEES5_EEvT2_T3_T4_T5_T6_T7_T8_mmmPKNSH_IJT9_bEEE
                                        ; -- End function
	.section	.AMDGPU.csdata,"",@progbits
; Kernel info:
; codeLenInByte = 4
; NumSgprs: 0
; NumVgprs: 0
; ScratchSize: 0
; MemoryBound: 0
; FloatMode: 240
; IeeeMode: 1
; LDSByteSize: 0 bytes/workgroup (compile time only)
; SGPRBlocks: 0
; VGPRBlocks: 0
; NumSGPRsForWavesPerEU: 1
; NumVGPRsForWavesPerEU: 1
; Occupancy: 16
; WaveLimiterHint : 0
; COMPUTE_PGM_RSRC2:SCRATCH_EN: 0
; COMPUTE_PGM_RSRC2:USER_SGPR: 15
; COMPUTE_PGM_RSRC2:TRAP_HANDLER: 0
; COMPUTE_PGM_RSRC2:TGID_X_EN: 1
; COMPUTE_PGM_RSRC2:TGID_Y_EN: 0
; COMPUTE_PGM_RSRC2:TGID_Z_EN: 0
; COMPUTE_PGM_RSRC2:TIDIG_COMP_CNT: 0
	.section	.text._ZN7rocprim6detail25device_scan_by_key_kernelILNS0_25lookback_scan_determinismE0ELb1ENS0_26wrapped_scan_by_key_configINS_14default_configEi12hip_bfloat16EEPiN6hipcub22TransformInputIteratorIS5_NS8_6CastOpIS5_EEPS5_lEESC_S5_NS8_8EqualityENS8_3SumENS0_19lookback_scan_stateINS_5tupleIJS5_bEEELb0ELb1EEES5_EEvT2_T3_T4_T5_T6_T7_T8_mmmPKNSH_IJT9_bEEE,"axG",@progbits,_ZN7rocprim6detail25device_scan_by_key_kernelILNS0_25lookback_scan_determinismE0ELb1ENS0_26wrapped_scan_by_key_configINS_14default_configEi12hip_bfloat16EEPiN6hipcub22TransformInputIteratorIS5_NS8_6CastOpIS5_EEPS5_lEESC_S5_NS8_8EqualityENS8_3SumENS0_19lookback_scan_stateINS_5tupleIJS5_bEEELb0ELb1EEES5_EEvT2_T3_T4_T5_T6_T7_T8_mmmPKNSH_IJT9_bEEE,comdat
	.protected	_ZN7rocprim6detail25device_scan_by_key_kernelILNS0_25lookback_scan_determinismE0ELb1ENS0_26wrapped_scan_by_key_configINS_14default_configEi12hip_bfloat16EEPiN6hipcub22TransformInputIteratorIS5_NS8_6CastOpIS5_EEPS5_lEESC_S5_NS8_8EqualityENS8_3SumENS0_19lookback_scan_stateINS_5tupleIJS5_bEEELb0ELb1EEES5_EEvT2_T3_T4_T5_T6_T7_T8_mmmPKNSH_IJT9_bEEE ; -- Begin function _ZN7rocprim6detail25device_scan_by_key_kernelILNS0_25lookback_scan_determinismE0ELb1ENS0_26wrapped_scan_by_key_configINS_14default_configEi12hip_bfloat16EEPiN6hipcub22TransformInputIteratorIS5_NS8_6CastOpIS5_EEPS5_lEESC_S5_NS8_8EqualityENS8_3SumENS0_19lookback_scan_stateINS_5tupleIJS5_bEEELb0ELb1EEES5_EEvT2_T3_T4_T5_T6_T7_T8_mmmPKNSH_IJT9_bEEE
	.globl	_ZN7rocprim6detail25device_scan_by_key_kernelILNS0_25lookback_scan_determinismE0ELb1ENS0_26wrapped_scan_by_key_configINS_14default_configEi12hip_bfloat16EEPiN6hipcub22TransformInputIteratorIS5_NS8_6CastOpIS5_EEPS5_lEESC_S5_NS8_8EqualityENS8_3SumENS0_19lookback_scan_stateINS_5tupleIJS5_bEEELb0ELb1EEES5_EEvT2_T3_T4_T5_T6_T7_T8_mmmPKNSH_IJT9_bEEE
	.p2align	8
	.type	_ZN7rocprim6detail25device_scan_by_key_kernelILNS0_25lookback_scan_determinismE0ELb1ENS0_26wrapped_scan_by_key_configINS_14default_configEi12hip_bfloat16EEPiN6hipcub22TransformInputIteratorIS5_NS8_6CastOpIS5_EEPS5_lEESC_S5_NS8_8EqualityENS8_3SumENS0_19lookback_scan_stateINS_5tupleIJS5_bEEELb0ELb1EEES5_EEvT2_T3_T4_T5_T6_T7_T8_mmmPKNSH_IJT9_bEEE,@function
_ZN7rocprim6detail25device_scan_by_key_kernelILNS0_25lookback_scan_determinismE0ELb1ENS0_26wrapped_scan_by_key_configINS_14default_configEi12hip_bfloat16EEPiN6hipcub22TransformInputIteratorIS5_NS8_6CastOpIS5_EEPS5_lEESC_S5_NS8_8EqualityENS8_3SumENS0_19lookback_scan_stateINS_5tupleIJS5_bEEELb0ELb1EEES5_EEvT2_T3_T4_T5_T6_T7_T8_mmmPKNSH_IJT9_bEEE: ; @_ZN7rocprim6detail25device_scan_by_key_kernelILNS0_25lookback_scan_determinismE0ELb1ENS0_26wrapped_scan_by_key_configINS_14default_configEi12hip_bfloat16EEPiN6hipcub22TransformInputIteratorIS5_NS8_6CastOpIS5_EEPS5_lEESC_S5_NS8_8EqualityENS8_3SumENS0_19lookback_scan_stateINS_5tupleIJS5_bEEELb0ELb1EEES5_EEvT2_T3_T4_T5_T6_T7_T8_mmmPKNSH_IJT9_bEEE
; %bb.0:
	s_clause 0x1
	s_load_b128 s[4:7], s[0:1], 0x0
	s_load_b256 s[36:43], s[0:1], 0x28
	s_mov_b32 s3, 0
	s_mul_i32 s2, s15, 0x580
	s_clause 0x1
	s_load_b32 s44, s[0:1], 0x20
	s_load_b64 s[28:29], s[0:1], 0x48
	s_lshl_b64 s[8:9], s[2:3], 2
	v_lshlrev_b32_e32 v49, 2, v0
	s_waitcnt lgkmcnt(0)
	s_add_u32 s34, s4, s8
	s_addc_u32 s35, s5, s9
	s_lshl_b64 s[26:27], s[2:3], 1
	s_delay_alu instid0(SALU_CYCLE_1)
	s_add_u32 s30, s6, s26
	s_addc_u32 s31, s7, s27
	s_add_u32 s4, s15, s40
	s_addc_u32 s5, 0, s41
	s_add_u32 s6, s42, -1
	s_addc_u32 s7, s43, -1
	s_mul_i32 s33, s6, 0xfffffa80
	v_cmp_ge_u64_e64 s39, s[4:5], s[6:7]
	s_delay_alu instid0(VALU_DEP_1)
	s_and_b32 vcc_lo, exec_lo, s39
	s_cbranch_vccz .LBB101_116
; %bb.1:
	s_load_b32 s24, s[34:35], 0x0
	s_add_i32 s25, s33, s38
	v_add_co_u32 v1, s2, s34, v49
	s_delay_alu instid0(VALU_DEP_1)
	v_add_co_ci_u32_e64 v2, null, s35, 0, s2
	v_cmp_gt_u32_e32 vcc_lo, s25, v0
	s_waitcnt lgkmcnt(0)
	v_mov_b32_e32 v3, s24
	s_and_saveexec_b32 s2, vcc_lo
	s_cbranch_execz .LBB101_3
; %bb.2:
	global_load_b32 v3, v[1:2], off
.LBB101_3:
	s_or_b32 exec_lo, exec_lo, s2
	v_or_b32_e32 v4, 64, v0
	s_delay_alu instid0(VALU_DEP_1) | instskip(SKIP_1) | instid1(VALU_DEP_2)
	v_cmp_gt_u32_e64 s2, s25, v4
	v_mov_b32_e32 v4, s24
	s_and_saveexec_b32 s3, s2
	s_cbranch_execz .LBB101_5
; %bb.4:
	global_load_b32 v4, v[1:2], off offset:256
.LBB101_5:
	s_or_b32 exec_lo, exec_lo, s3
	v_or_b32_e32 v5, 0x80, v0
	s_delay_alu instid0(VALU_DEP_1) | instskip(SKIP_1) | instid1(VALU_DEP_2)
	v_cmp_gt_u32_e64 s3, s25, v5
	v_mov_b32_e32 v5, s24
	s_and_saveexec_b32 s4, s3
	s_cbranch_execz .LBB101_7
; %bb.6:
	global_load_b32 v5, v[1:2], off offset:512
.LBB101_7:
	s_or_b32 exec_lo, exec_lo, s4
	v_or_b32_e32 v6, 0xc0, v0
	s_delay_alu instid0(VALU_DEP_1) | instskip(SKIP_1) | instid1(VALU_DEP_2)
	v_cmp_gt_u32_e64 s4, s25, v6
	v_mov_b32_e32 v6, s24
	s_and_saveexec_b32 s5, s4
	s_cbranch_execz .LBB101_9
; %bb.8:
	global_load_b32 v6, v[1:2], off offset:768
.LBB101_9:
	s_or_b32 exec_lo, exec_lo, s5
	v_or_b32_e32 v7, 0x100, v0
	s_delay_alu instid0(VALU_DEP_1) | instskip(SKIP_1) | instid1(VALU_DEP_2)
	v_cmp_gt_u32_e64 s5, s25, v7
	v_mov_b32_e32 v7, s24
	s_and_saveexec_b32 s6, s5
	s_cbranch_execz .LBB101_11
; %bb.10:
	global_load_b32 v7, v[1:2], off offset:1024
.LBB101_11:
	s_or_b32 exec_lo, exec_lo, s6
	v_or_b32_e32 v8, 0x140, v0
	s_delay_alu instid0(VALU_DEP_1) | instskip(SKIP_1) | instid1(VALU_DEP_2)
	v_cmp_gt_u32_e64 s6, s25, v8
	v_mov_b32_e32 v8, s24
	s_and_saveexec_b32 s7, s6
	s_cbranch_execz .LBB101_13
; %bb.12:
	global_load_b32 v8, v[1:2], off offset:1280
.LBB101_13:
	s_or_b32 exec_lo, exec_lo, s7
	v_or_b32_e32 v9, 0x180, v0
	s_delay_alu instid0(VALU_DEP_1) | instskip(SKIP_1) | instid1(VALU_DEP_2)
	v_cmp_gt_u32_e64 s7, s25, v9
	v_mov_b32_e32 v9, s24
	s_and_saveexec_b32 s8, s7
	s_cbranch_execz .LBB101_15
; %bb.14:
	global_load_b32 v9, v[1:2], off offset:1536
.LBB101_15:
	s_or_b32 exec_lo, exec_lo, s8
	v_or_b32_e32 v10, 0x1c0, v0
	s_delay_alu instid0(VALU_DEP_1) | instskip(SKIP_1) | instid1(VALU_DEP_2)
	v_cmp_gt_u32_e64 s8, s25, v10
	v_mov_b32_e32 v10, s24
	s_and_saveexec_b32 s9, s8
	s_cbranch_execz .LBB101_17
; %bb.16:
	global_load_b32 v10, v[1:2], off offset:1792
.LBB101_17:
	s_or_b32 exec_lo, exec_lo, s9
	v_or_b32_e32 v11, 0x200, v0
	s_delay_alu instid0(VALU_DEP_1) | instskip(SKIP_1) | instid1(VALU_DEP_2)
	v_cmp_gt_u32_e64 s9, s25, v11
	v_mov_b32_e32 v11, s24
	s_and_saveexec_b32 s10, s9
	s_cbranch_execz .LBB101_19
; %bb.18:
	global_load_b32 v11, v[1:2], off offset:2048
.LBB101_19:
	s_or_b32 exec_lo, exec_lo, s10
	v_or_b32_e32 v12, 0x240, v0
	s_delay_alu instid0(VALU_DEP_1) | instskip(SKIP_1) | instid1(VALU_DEP_2)
	v_cmp_gt_u32_e64 s10, s25, v12
	v_mov_b32_e32 v12, s24
	s_and_saveexec_b32 s11, s10
	s_cbranch_execz .LBB101_21
; %bb.20:
	global_load_b32 v12, v[1:2], off offset:2304
.LBB101_21:
	s_or_b32 exec_lo, exec_lo, s11
	v_or_b32_e32 v13, 0x280, v0
	s_delay_alu instid0(VALU_DEP_1) | instskip(SKIP_1) | instid1(VALU_DEP_2)
	v_cmp_gt_u32_e64 s11, s25, v13
	v_mov_b32_e32 v13, s24
	s_and_saveexec_b32 s12, s11
	s_cbranch_execz .LBB101_23
; %bb.22:
	global_load_b32 v13, v[1:2], off offset:2560
.LBB101_23:
	s_or_b32 exec_lo, exec_lo, s12
	v_or_b32_e32 v14, 0x2c0, v0
	s_delay_alu instid0(VALU_DEP_1) | instskip(SKIP_1) | instid1(VALU_DEP_2)
	v_cmp_gt_u32_e64 s12, s25, v14
	v_mov_b32_e32 v14, s24
	s_and_saveexec_b32 s13, s12
	s_cbranch_execz .LBB101_25
; %bb.24:
	global_load_b32 v14, v[1:2], off offset:2816
.LBB101_25:
	s_or_b32 exec_lo, exec_lo, s13
	v_or_b32_e32 v15, 0x300, v0
	s_delay_alu instid0(VALU_DEP_1) | instskip(SKIP_1) | instid1(VALU_DEP_2)
	v_cmp_gt_u32_e64 s13, s25, v15
	v_mov_b32_e32 v15, s24
	s_and_saveexec_b32 s14, s13
	s_cbranch_execz .LBB101_27
; %bb.26:
	global_load_b32 v15, v[1:2], off offset:3072
.LBB101_27:
	s_or_b32 exec_lo, exec_lo, s14
	v_or_b32_e32 v16, 0x340, v0
	s_delay_alu instid0(VALU_DEP_1) | instskip(SKIP_1) | instid1(VALU_DEP_2)
	v_cmp_gt_u32_e64 s14, s25, v16
	v_mov_b32_e32 v16, s24
	s_and_saveexec_b32 s16, s14
	s_cbranch_execz .LBB101_29
; %bb.28:
	global_load_b32 v16, v[1:2], off offset:3328
.LBB101_29:
	s_or_b32 exec_lo, exec_lo, s16
	v_or_b32_e32 v17, 0x380, v0
	s_delay_alu instid0(VALU_DEP_1) | instskip(SKIP_1) | instid1(VALU_DEP_2)
	v_cmp_gt_u32_e64 s16, s25, v17
	v_mov_b32_e32 v17, s24
	s_and_saveexec_b32 s17, s16
	s_cbranch_execz .LBB101_31
; %bb.30:
	global_load_b32 v17, v[1:2], off offset:3584
.LBB101_31:
	s_or_b32 exec_lo, exec_lo, s17
	v_or_b32_e32 v18, 0x3c0, v0
	s_delay_alu instid0(VALU_DEP_1) | instskip(SKIP_1) | instid1(VALU_DEP_2)
	v_cmp_gt_u32_e64 s17, s25, v18
	v_mov_b32_e32 v18, s24
	s_and_saveexec_b32 s18, s17
	s_cbranch_execz .LBB101_33
; %bb.32:
	global_load_b32 v18, v[1:2], off offset:3840
.LBB101_33:
	s_or_b32 exec_lo, exec_lo, s18
	v_or_b32_e32 v19, 0x400, v0
	s_delay_alu instid0(VALU_DEP_1) | instskip(SKIP_1) | instid1(VALU_DEP_2)
	v_cmp_gt_u32_e64 s18, s25, v19
	v_mov_b32_e32 v19, s24
	s_and_saveexec_b32 s20, s18
	s_cbranch_execz .LBB101_35
; %bb.34:
	v_add_co_u32 v19, s19, 0x1000, v1
	s_delay_alu instid0(VALU_DEP_1)
	v_add_co_ci_u32_e64 v20, s19, 0, v2, s19
	global_load_b32 v19, v[19:20], off
.LBB101_35:
	s_or_b32 exec_lo, exec_lo, s20
	v_or_b32_e32 v20, 0x440, v0
	s_delay_alu instid0(VALU_DEP_1) | instskip(SKIP_1) | instid1(VALU_DEP_2)
	v_cmp_gt_u32_e64 s19, s25, v20
	v_mov_b32_e32 v20, s24
	s_and_saveexec_b32 s21, s19
	s_cbranch_execz .LBB101_37
; %bb.36:
	v_add_co_u32 v20, s20, 0x1000, v1
	s_delay_alu instid0(VALU_DEP_1)
	v_add_co_ci_u32_e64 v21, s20, 0, v2, s20
	global_load_b32 v20, v[20:21], off offset:256
.LBB101_37:
	s_or_b32 exec_lo, exec_lo, s21
	v_or_b32_e32 v21, 0x480, v0
	s_delay_alu instid0(VALU_DEP_1) | instskip(SKIP_1) | instid1(VALU_DEP_2)
	v_cmp_gt_u32_e64 s20, s25, v21
	v_mov_b32_e32 v21, s24
	s_and_saveexec_b32 s22, s20
	s_cbranch_execz .LBB101_39
; %bb.38:
	v_add_co_u32 v21, s21, 0x1000, v1
	s_delay_alu instid0(VALU_DEP_1)
	v_add_co_ci_u32_e64 v22, s21, 0, v2, s21
	global_load_b32 v21, v[21:22], off offset:512
.LBB101_39:
	;; [unrolled: 13-line block ×5, first 2 shown]
	s_or_b32 exec_lo, exec_lo, s40
	s_waitcnt vmcnt(0)
	ds_store_2addr_stride64_b32 v49, v3, v4 offset1:1
	ds_store_2addr_stride64_b32 v49, v5, v6 offset0:2 offset1:3
	ds_store_2addr_stride64_b32 v49, v7, v8 offset0:4 offset1:5
	ds_store_2addr_stride64_b32 v49, v9, v10 offset0:6 offset1:7
	ds_store_2addr_stride64_b32 v49, v11, v12 offset0:8 offset1:9
	ds_store_2addr_stride64_b32 v49, v13, v14 offset0:10 offset1:11
	ds_store_2addr_stride64_b32 v49, v15, v16 offset0:12 offset1:13
	ds_store_2addr_stride64_b32 v49, v17, v18 offset0:14 offset1:15
	ds_store_2addr_stride64_b32 v49, v19, v20 offset0:16 offset1:17
	ds_store_2addr_stride64_b32 v49, v21, v22 offset0:18 offset1:19
	ds_store_2addr_stride64_b32 v49, v23, v24 offset0:20 offset1:21
	s_waitcnt lgkmcnt(0)
	s_barrier
	buffer_gl0_inv
	s_load_b32 s40, s[34:35], 0x0
	v_mad_u32_u24 v21, 0x54, v0, v49
	ds_load_2addr_b64 v[17:20], v21 offset1:1
	ds_load_2addr_b64 v[13:16], v21 offset0:2 offset1:3
	ds_load_2addr_b64 v[9:12], v21 offset0:4 offset1:5
	;; [unrolled: 1-line block ×4, first 2 shown]
	ds_load_b64 v[26:27], v21 offset:80
	v_mad_i32_i24 v23, 0xffffffac, v0, v21
	s_waitcnt lgkmcnt(0)
	v_mov_b32_e32 v50, s40
	s_mov_b32 s40, exec_lo
	ds_store_b32 v23, v17 offset:5888
	s_waitcnt lgkmcnt(0)
	s_barrier
	buffer_gl0_inv
	v_cmpx_ne_u32_e32 63, v0
	s_cbranch_execz .LBB101_47
; %bb.46:
	ds_load_b32 v50, v49 offset:5892
.LBB101_47:
	s_or_b32 exec_lo, exec_lo, s40
	v_lshlrev_b32_e32 v24, 1, v0
	s_waitcnt lgkmcnt(0)
	s_barrier
	buffer_gl0_inv
                                        ; implicit-def: $vgpr25
	v_add_co_u32 v21, s24, s30, v24
	s_delay_alu instid0(VALU_DEP_1)
	v_add_co_ci_u32_e64 v22, null, s31, 0, s24
	s_and_saveexec_b32 s24, vcc_lo
	s_cbranch_execz .LBB101_557
; %bb.48:
	global_load_u16 v25, v[21:22], off
	s_or_b32 exec_lo, exec_lo, s24
                                        ; implicit-def: $vgpr28
	s_and_saveexec_b32 s24, s2
	s_cbranch_execnz .LBB101_558
.LBB101_49:
	s_or_b32 exec_lo, exec_lo, s24
                                        ; implicit-def: $vgpr29
	s_and_saveexec_b32 s2, s3
	s_cbranch_execz .LBB101_559
.LBB101_50:
	global_load_u16 v29, v[21:22], off offset:256
	s_or_b32 exec_lo, exec_lo, s2
                                        ; implicit-def: $vgpr30
	s_and_saveexec_b32 s2, s4
	s_cbranch_execnz .LBB101_560
.LBB101_51:
	s_or_b32 exec_lo, exec_lo, s2
                                        ; implicit-def: $vgpr31
	s_and_saveexec_b32 s2, s5
	s_cbranch_execz .LBB101_561
.LBB101_52:
	global_load_u16 v31, v[21:22], off offset:512
	s_or_b32 exec_lo, exec_lo, s2
                                        ; implicit-def: $vgpr32
	s_and_saveexec_b32 s2, s6
	s_cbranch_execnz .LBB101_562
.LBB101_53:
	s_or_b32 exec_lo, exec_lo, s2
                                        ; implicit-def: $vgpr33
	s_and_saveexec_b32 s2, s7
	s_cbranch_execz .LBB101_563
.LBB101_54:
	global_load_u16 v33, v[21:22], off offset:768
	s_or_b32 exec_lo, exec_lo, s2
                                        ; implicit-def: $vgpr34
	s_and_saveexec_b32 s2, s8
	s_cbranch_execnz .LBB101_564
.LBB101_55:
	s_or_b32 exec_lo, exec_lo, s2
                                        ; implicit-def: $vgpr35
	s_and_saveexec_b32 s2, s9
	s_cbranch_execz .LBB101_565
.LBB101_56:
	global_load_u16 v35, v[21:22], off offset:1024
	s_or_b32 exec_lo, exec_lo, s2
                                        ; implicit-def: $vgpr36
	s_and_saveexec_b32 s2, s10
	s_cbranch_execnz .LBB101_566
.LBB101_57:
	s_or_b32 exec_lo, exec_lo, s2
                                        ; implicit-def: $vgpr37
	s_and_saveexec_b32 s2, s11
	s_cbranch_execz .LBB101_567
.LBB101_58:
	global_load_u16 v37, v[21:22], off offset:1280
	s_or_b32 exec_lo, exec_lo, s2
                                        ; implicit-def: $vgpr38
	s_and_saveexec_b32 s2, s12
	s_cbranch_execnz .LBB101_568
.LBB101_59:
	s_or_b32 exec_lo, exec_lo, s2
                                        ; implicit-def: $vgpr39
	s_and_saveexec_b32 s2, s13
	s_cbranch_execz .LBB101_569
.LBB101_60:
	global_load_u16 v39, v[21:22], off offset:1536
	s_or_b32 exec_lo, exec_lo, s2
                                        ; implicit-def: $vgpr40
	s_and_saveexec_b32 s2, s14
	s_cbranch_execnz .LBB101_570
.LBB101_61:
	s_or_b32 exec_lo, exec_lo, s2
                                        ; implicit-def: $vgpr41
	s_and_saveexec_b32 s2, s16
	s_cbranch_execz .LBB101_571
.LBB101_62:
	global_load_u16 v41, v[21:22], off offset:1792
	s_or_b32 exec_lo, exec_lo, s2
                                        ; implicit-def: $vgpr42
	s_and_saveexec_b32 s2, s17
	s_cbranch_execnz .LBB101_572
.LBB101_63:
	s_or_b32 exec_lo, exec_lo, s2
                                        ; implicit-def: $vgpr43
	s_and_saveexec_b32 s2, s18
	s_cbranch_execz .LBB101_573
.LBB101_64:
	global_load_u16 v43, v[21:22], off offset:2048
	s_or_b32 exec_lo, exec_lo, s2
                                        ; implicit-def: $vgpr44
	s_and_saveexec_b32 s2, s19
	s_cbranch_execnz .LBB101_574
.LBB101_65:
	s_or_b32 exec_lo, exec_lo, s2
                                        ; implicit-def: $vgpr45
	s_and_saveexec_b32 s2, s20
	s_cbranch_execz .LBB101_575
.LBB101_66:
	global_load_u16 v45, v[21:22], off offset:2304
	s_or_b32 exec_lo, exec_lo, s2
                                        ; implicit-def: $vgpr46
	s_and_saveexec_b32 s2, s21
	s_cbranch_execnz .LBB101_576
.LBB101_67:
	s_or_b32 exec_lo, exec_lo, s2
                                        ; implicit-def: $vgpr47
	s_and_saveexec_b32 s2, s22
	s_cbranch_execz .LBB101_69
.LBB101_68:
	global_load_u16 v47, v[21:22], off offset:2560
.LBB101_69:
	s_or_b32 exec_lo, exec_lo, s2
	v_mul_u32_u24_e32 v51, 22, v0
                                        ; implicit-def: $vgpr48
	s_and_saveexec_b32 s2, s23
	s_cbranch_execz .LBB101_71
; %bb.70:
	global_load_u16 v48, v[21:22], off offset:2688
.LBB101_71:
	s_or_b32 exec_lo, exec_lo, s2
	v_sub_nc_u32_e32 v21, v23, v24
	v_cmp_gt_u32_e32 vcc_lo, s25, v51
	s_mov_b32 s3, 0
	s_mov_b32 s2, 0
                                        ; implicit-def: $sgpr5
	s_waitcnt vmcnt(0)
	ds_store_b16 v21, v25
	ds_store_b16 v21, v28 offset:128
	ds_store_b16 v21, v29 offset:256
	;; [unrolled: 1-line block ×21, first 2 shown]
	v_dual_mov_b32 v25, 0 :: v_dual_mov_b32 v42, 0
	v_dual_mov_b32 v37, 0 :: v_dual_mov_b32 v36, 0
	;; [unrolled: 1-line block ×10, first 2 shown]
	v_mov_b32_e32 v29, 0
	s_waitcnt lgkmcnt(0)
	s_barrier
	buffer_gl0_inv
                                        ; implicit-def: $vgpr30
	s_and_saveexec_b32 s4, vcc_lo
	s_cbranch_execz .LBB101_115
; %bb.72:
	v_mad_u32_u24 v22, v0, 42, v21
	v_cmp_ne_u32_e32 vcc_lo, v17, v18
	v_or_b32_e32 v23, 1, v51
	v_dual_mov_b32 v42, 0 :: v_dual_mov_b32 v37, 0
	ds_load_u16 v22, v22
	v_cndmask_b32_e64 v24, 0, 1, vcc_lo
	v_cmp_eq_u32_e32 vcc_lo, v17, v18
	v_dual_mov_b32 v33, 0 :: v_dual_mov_b32 v36, 0
	v_dual_mov_b32 v28, 0 :: v_dual_mov_b32 v35, 0
	;; [unrolled: 1-line block ×7, first 2 shown]
	v_mov_b32_e32 v31, 0
	v_mov_b32_e32 v29, 0
	s_mov_b32 s7, 0
	s_waitcnt lgkmcnt(0)
	v_dual_cndmask_b32 v17, s44, v22 :: v_dual_mov_b32 v44, 0
	s_mov_b32 s6, 0
	s_mov_b32 s3, exec_lo
                                        ; implicit-def: $sgpr5
                                        ; implicit-def: $vgpr30
	s_delay_alu instid0(VALU_DEP_1) | instskip(NEXT) | instid1(VALU_DEP_1)
	v_dual_mov_b32 v32, 0 :: v_dual_and_b32 v17, 0xffff, v17
	v_lshl_or_b32 v25, v24, 16, v17
	v_cmpx_gt_u32_e64 s25, v23
	s_cbranch_execz .LBB101_114
; %bb.73:
	v_mul_u32_u24_e32 v17, 42, v0
	v_cmp_ne_u32_e32 vcc_lo, v18, v19
	v_dual_mov_b32 v28, 0 :: v_dual_add_nc_u32 v29, 2, v51
	v_dual_mov_b32 v37, 0 :: v_dual_mov_b32 v34, 0
	s_delay_alu instid0(VALU_DEP_4)
	v_dual_mov_b32 v36, 0 :: v_dual_add_nc_u32 v17, v21, v17
	v_cndmask_b32_e64 v30, 0, 1, vcc_lo
	v_cmp_eq_u32_e32 vcc_lo, v18, v19
	v_dual_mov_b32 v33, 0 :: v_dual_mov_b32 v38, 0
	ds_load_b128 v[21:24], v17 offset:2
	v_mov_b32_e32 v39, 0
	v_dual_mov_b32 v35, 0 :: v_dual_mov_b32 v40, 0
	v_dual_mov_b32 v41, 0 :: v_dual_mov_b32 v44, 0
	;; [unrolled: 1-line block ×5, first 2 shown]
                                        ; implicit-def: $sgpr8
	s_waitcnt lgkmcnt(0)
	v_dual_cndmask_b32 v18, s44, v21 :: v_dual_mov_b32 v45, 0
	v_cmp_gt_u32_e32 vcc_lo, s25, v29
	s_delay_alu instid0(VALU_DEP_2) | instskip(NEXT) | instid1(VALU_DEP_1)
	v_dual_mov_b32 v29, 0 :: v_dual_and_b32 v18, 0xffff, v18
	v_lshl_or_b32 v42, v30, 16, v18
                                        ; implicit-def: $vgpr30
	s_and_saveexec_b32 s5, vcc_lo
	s_cbranch_execz .LBB101_113
; %bb.74:
	v_cmp_ne_u32_e32 vcc_lo, v19, v20
	v_lshrrev_b32_e32 v18, 16, v21
	v_dual_mov_b32 v33, 0 :: v_dual_mov_b32 v36, 0
	v_dual_mov_b32 v28, 0 :: v_dual_mov_b32 v35, 0
	v_cndmask_b32_e64 v29, 0, 1, vcc_lo
	v_cmp_eq_u32_e32 vcc_lo, v19, v20
	v_dual_mov_b32 v34, 0 :: v_dual_add_nc_u32 v21, 3, v51
	v_dual_mov_b32 v41, 0 :: v_dual_mov_b32 v38, 0
	v_dual_mov_b32 v43, 0 :: v_dual_cndmask_b32 v18, s44, v18
	v_dual_mov_b32 v40, 0 :: v_dual_mov_b32 v45, 0
	v_dual_mov_b32 v39, 0 :: v_dual_mov_b32 v44, 0
	s_delay_alu instid0(VALU_DEP_3) | instskip(SKIP_3) | instid1(VALU_DEP_4)
	v_dual_mov_b32 v47, 0 :: v_dual_and_b32 v18, 0xffff, v18
	v_dual_mov_b32 v46, 0 :: v_dual_mov_b32 v31, 0
	v_mov_b32_e32 v48, 0
	v_mov_b32_e32 v32, 0
	v_lshl_or_b32 v37, v29, 16, v18
	v_mov_b32_e32 v29, 0
	s_mov_b32 s8, 0
	s_mov_b32 s6, exec_lo
                                        ; implicit-def: $sgpr9
                                        ; implicit-def: $vgpr30
	v_cmpx_gt_u32_e64 s25, v21
	s_cbranch_execz .LBB101_112
; %bb.75:
	v_cmp_eq_u32_e32 vcc_lo, v20, v13
	v_dual_mov_b32 v36, 0 :: v_dual_mov_b32 v39, 0
	v_dual_mov_b32 v28, 0 :: v_dual_mov_b32 v41, 0
	v_dual_cndmask_b32 v18, s44, v22 :: v_dual_add_nc_u32 v19, 4, v51
	v_cmp_ne_u32_e32 vcc_lo, v20, v13
	v_dual_mov_b32 v34, 0 :: v_dual_mov_b32 v43, 0
	s_delay_alu instid0(VALU_DEP_3) | instskip(SKIP_3) | instid1(VALU_DEP_3)
	v_dual_mov_b32 v35, 0 :: v_dual_and_b32 v18, 0xffff, v18
	v_cndmask_b32_e64 v20, 0, 1, vcc_lo
	v_dual_mov_b32 v38, 0 :: v_dual_mov_b32 v45, 0
	v_dual_mov_b32 v40, 0 :: v_dual_mov_b32 v47, 0
	v_lshl_or_b32 v33, v20, 16, v18
	v_dual_mov_b32 v44, 0 :: v_dual_mov_b32 v31, 0
	v_dual_mov_b32 v46, 0 :: v_dual_mov_b32 v29, 0
	v_mov_b32_e32 v48, 0
	v_mov_b32_e32 v32, 0
	s_mov_b32 s9, 0
	s_mov_b32 s7, exec_lo
                                        ; implicit-def: $sgpr10
                                        ; implicit-def: $vgpr30
	v_cmpx_gt_u32_e64 s25, v19
	s_cbranch_execz .LBB101_111
; %bb.76:
	v_cmp_ne_u32_e32 vcc_lo, v13, v14
	v_lshrrev_b32_e32 v18, 16, v22
	v_dual_mov_b32 v28, 0 :: v_dual_add_nc_u32 v19, 5, v51
	v_dual_mov_b32 v35, 0 :: v_dual_mov_b32 v38, 0
	v_cndmask_b32_e64 v20, 0, 1, vcc_lo
	v_cmp_eq_u32_e32 vcc_lo, v13, v14
	v_dual_mov_b32 v39, 0 :: v_dual_mov_b32 v44, 0
	v_dual_mov_b32 v34, 0 :: v_dual_mov_b32 v41, 0
	v_dual_mov_b32 v46, 0 :: v_dual_cndmask_b32 v13, s44, v18
	v_dual_mov_b32 v43, 0 :: v_dual_mov_b32 v48, 0
	v_dual_mov_b32 v40, 0 :: v_dual_mov_b32 v45, 0
	s_delay_alu instid0(VALU_DEP_3)
	v_dual_mov_b32 v32, 0 :: v_dual_and_b32 v13, 0xffff, v13
	v_mov_b32_e32 v47, 0
	v_mov_b32_e32 v31, 0
	;; [unrolled: 1-line block ×3, first 2 shown]
	s_mov_b32 s10, 0
	v_lshl_or_b32 v36, v20, 16, v13
	s_mov_b32 s8, exec_lo
                                        ; implicit-def: $sgpr11
                                        ; implicit-def: $vgpr30
	v_cmpx_gt_u32_e64 s25, v19
	s_cbranch_execz .LBB101_110
; %bb.77:
	v_cmp_eq_u32_e32 vcc_lo, v14, v15
	v_dual_mov_b32 v35, 0 :: v_dual_add_nc_u32 v18, 6, v51
	v_dual_mov_b32 v39, 0 :: v_dual_mov_b32 v40, 0
	v_dual_cndmask_b32 v13, s44, v23 :: v_dual_mov_b32 v34, 0
	v_cmp_ne_u32_e32 vcc_lo, v14, v15
	v_dual_mov_b32 v41, 0 :: v_dual_mov_b32 v44, 0
	s_delay_alu instid0(VALU_DEP_3) | instskip(SKIP_3) | instid1(VALU_DEP_3)
	v_dual_mov_b32 v38, 0 :: v_dual_and_b32 v13, 0xffff, v13
	v_cndmask_b32_e64 v14, 0, 1, vcc_lo
	v_dual_mov_b32 v43, 0 :: v_dual_mov_b32 v46, 0
	v_dual_mov_b32 v45, 0 :: v_dual_mov_b32 v48, 0
	v_lshl_or_b32 v28, v14, 16, v13
	v_dual_mov_b32 v47, 0 :: v_dual_mov_b32 v32, 0
	v_mov_b32_e32 v31, 0
	v_mov_b32_e32 v29, 0
	s_mov_b32 s11, 0
	s_mov_b32 s9, exec_lo
                                        ; implicit-def: $sgpr12
                                        ; implicit-def: $vgpr30
	v_cmpx_gt_u32_e64 s25, v18
	s_cbranch_execz .LBB101_109
; %bb.78:
	v_cmp_ne_u32_e32 vcc_lo, v15, v16
	v_lshrrev_b32_e32 v13, 16, v23
	v_dual_mov_b32 v34, 0 :: v_dual_mov_b32 v39, 0
	v_dual_mov_b32 v40, 0 :: v_dual_mov_b32 v41, 0
	v_cndmask_b32_e64 v18, 0, 1, vcc_lo
	v_cmp_eq_u32_e32 vcc_lo, v15, v16
	v_dual_mov_b32 v43, 0 :: v_dual_add_nc_u32 v14, 7, v51
	v_dual_mov_b32 v44, 0 :: v_dual_mov_b32 v45, 0
	v_dual_mov_b32 v46, 0 :: v_dual_cndmask_b32 v13, s44, v13
	v_dual_mov_b32 v38, 0 :: v_dual_mov_b32 v47, 0
	v_dual_mov_b32 v48, 0 :: v_dual_mov_b32 v31, 0
	s_delay_alu instid0(VALU_DEP_3) | instskip(SKIP_3) | instid1(VALU_DEP_2)
	v_dual_mov_b32 v32, 0 :: v_dual_and_b32 v13, 0xffff, v13
	v_mov_b32_e32 v29, 0
	s_mov_b32 s12, 0
	s_mov_b32 s10, exec_lo
                                        ; implicit-def: $sgpr13
                                        ; implicit-def: $vgpr30
	v_lshl_or_b32 v35, v18, 16, v13
	v_cmpx_gt_u32_e64 s25, v14
	s_cbranch_execz .LBB101_108
; %bb.79:
	v_cmp_eq_u32_e32 vcc_lo, v16, v9
	v_dual_mov_b32 v39, 0 :: v_dual_mov_b32 v40, 0
	v_dual_mov_b32 v41, 0 :: v_dual_mov_b32 v44, 0
	v_dual_cndmask_b32 v13, s44, v24 :: v_dual_add_nc_u32 v14, 8, v51
	v_cmp_ne_u32_e32 vcc_lo, v16, v9
	v_dual_mov_b32 v43, 0 :: v_dual_mov_b32 v46, 0
	s_delay_alu instid0(VALU_DEP_3) | instskip(SKIP_3) | instid1(VALU_DEP_3)
	v_dual_mov_b32 v38, 0 :: v_dual_and_b32 v13, 0xffff, v13
	v_cndmask_b32_e64 v15, 0, 1, vcc_lo
	v_dual_mov_b32 v45, 0 :: v_dual_mov_b32 v48, 0
	v_dual_mov_b32 v47, 0 :: v_dual_mov_b32 v32, 0
	v_lshl_or_b32 v34, v15, 16, v13
	v_mov_b32_e32 v31, 0
	v_mov_b32_e32 v29, 0
	s_mov_b32 s13, 0
	s_mov_b32 s11, exec_lo
                                        ; implicit-def: $sgpr14
                                        ; implicit-def: $vgpr30
	v_cmpx_gt_u32_e64 s25, v14
	s_cbranch_execz .LBB101_107
; %bb.80:
	v_cmp_ne_u32_e32 vcc_lo, v9, v10
	v_lshrrev_b32_e32 v13, 16, v24
	v_dual_mov_b32 v39, 0 :: v_dual_mov_b32 v40, 0
	v_dual_mov_b32 v41, 0 :: v_dual_mov_b32 v44, 0
	v_cndmask_b32_e64 v15, 0, 1, vcc_lo
	v_cmp_eq_u32_e32 vcc_lo, v9, v10
	v_dual_mov_b32 v43, 0 :: v_dual_add_nc_u32 v14, 9, v51
	v_dual_mov_b32 v46, 0 :: v_dual_mov_b32 v45, 0
	v_dual_mov_b32 v32, 0 :: v_dual_cndmask_b32 v9, s44, v13
	v_dual_mov_b32 v47, 0 :: v_dual_mov_b32 v48, 0
	v_mov_b32_e32 v31, 0
	v_mov_b32_e32 v29, 0
	s_delay_alu instid0(VALU_DEP_4) | instskip(SKIP_2) | instid1(VALU_DEP_1)
	v_and_b32_e32 v9, 0xffff, v9
	s_mov_b32 s14, 0
	s_mov_b32 s12, exec_lo
                                        ; implicit-def: $sgpr16
                                        ; implicit-def: $vgpr30
	v_lshl_or_b32 v38, v15, 16, v9
	v_cmpx_gt_u32_e64 s25, v14
	s_cbranch_execz .LBB101_106
; %bb.81:
	ds_load_b128 v[13:16], v17 offset:18
	v_cmp_ne_u32_e32 vcc_lo, v10, v11
	v_dual_mov_b32 v40, 0 :: v_dual_add_nc_u32 v9, 10, v51
	v_dual_mov_b32 v43, 0 :: v_dual_mov_b32 v44, 0
	v_cndmask_b32_e64 v18, 0, 1, vcc_lo
	v_cmp_eq_u32_e32 vcc_lo, v10, v11
	v_mov_b32_e32 v41, 0
	v_dual_mov_b32 v45, 0 :: v_dual_mov_b32 v46, 0
	v_dual_mov_b32 v48, 0 :: v_dual_mov_b32 v31, 0
	v_dual_mov_b32 v32, 0 :: v_dual_mov_b32 v29, 0
	s_mov_b32 s16, 0
	s_mov_b32 s13, exec_lo
                                        ; implicit-def: $sgpr17
                                        ; implicit-def: $vgpr30
	s_waitcnt lgkmcnt(0)
	v_dual_cndmask_b32 v10, s44, v13 :: v_dual_mov_b32 v47, 0
	s_delay_alu instid0(VALU_DEP_1) | instskip(NEXT) | instid1(VALU_DEP_1)
	v_and_b32_e32 v10, 0xffff, v10
	v_lshl_or_b32 v39, v18, 16, v10
	v_cmpx_gt_u32_e64 s25, v9
	s_cbranch_execz .LBB101_105
; %bb.82:
	v_cmp_ne_u32_e32 vcc_lo, v11, v12
	v_lshrrev_b32_e32 v9, 16, v13
	v_dual_mov_b32 v41, 0 :: v_dual_mov_b32 v44, 0
	v_dual_mov_b32 v43, 0 :: v_dual_mov_b32 v46, 0
	v_cndmask_b32_e64 v13, 0, 1, vcc_lo
	v_cmp_eq_u32_e32 vcc_lo, v11, v12
	v_dual_mov_b32 v45, 0 :: v_dual_add_nc_u32 v10, 11, v51
	v_dual_mov_b32 v48, 0 :: v_dual_mov_b32 v47, 0
	v_cndmask_b32_e32 v9, s44, v9, vcc_lo
	v_mov_b32_e32 v31, 0
	v_dual_mov_b32 v29, 0 :: v_dual_mov_b32 v32, 0
	s_mov_b32 s17, 0
	s_delay_alu instid0(VALU_DEP_3) | instskip(SKIP_1) | instid1(VALU_DEP_1)
	v_and_b32_e32 v9, 0xffff, v9
	s_mov_b32 s14, exec_lo
                                        ; implicit-def: $sgpr18
                                        ; implicit-def: $vgpr30
	v_lshl_or_b32 v40, v13, 16, v9
	v_cmpx_gt_u32_e64 s25, v10
	s_cbranch_execz .LBB101_104
; %bb.83:
	v_cmp_eq_u32_e32 vcc_lo, v12, v5
	v_dual_mov_b32 v43, 0 :: v_dual_mov_b32 v46, 0
	v_dual_mov_b32 v45, 0 :: v_dual_mov_b32 v48, 0
	v_dual_cndmask_b32 v9, s44, v14 :: v_dual_add_nc_u32 v10, 12, v51
	v_cmp_ne_u32_e32 vcc_lo, v12, v5
	v_dual_mov_b32 v47, 0 :: v_dual_mov_b32 v32, 0
	s_delay_alu instid0(VALU_DEP_3)
	v_dual_mov_b32 v44, 0 :: v_dual_and_b32 v9, 0xffff, v9
	v_cndmask_b32_e64 v11, 0, 1, vcc_lo
	v_mov_b32_e32 v31, 0
	v_mov_b32_e32 v29, 0
	s_mov_b32 s18, 0
	s_mov_b32 s16, exec_lo
	v_lshl_or_b32 v41, v11, 16, v9
                                        ; implicit-def: $sgpr19
                                        ; implicit-def: $vgpr30
	v_cmpx_gt_u32_e64 s25, v10
	s_cbranch_execz .LBB101_103
; %bb.84:
	v_cmp_ne_u32_e32 vcc_lo, v5, v6
	v_lshrrev_b32_e32 v9, 16, v14
	v_dual_mov_b32 v44, 0 :: v_dual_mov_b32 v45, 0
	v_dual_mov_b32 v46, 0 :: v_dual_mov_b32 v47, 0
	v_cndmask_b32_e64 v11, 0, 1, vcc_lo
	v_cmp_eq_u32_e32 vcc_lo, v5, v6
	v_dual_mov_b32 v31, 0 :: v_dual_add_nc_u32 v10, 13, v51
	v_dual_mov_b32 v32, 0 :: v_dual_mov_b32 v29, 0
	v_cndmask_b32_e32 v5, s44, v9, vcc_lo
	s_mov_b32 s19, 0
	s_mov_b32 s17, exec_lo
	v_mov_b32_e32 v48, 0
                                        ; implicit-def: $sgpr20
                                        ; implicit-def: $vgpr30
	s_delay_alu instid0(VALU_DEP_2) | instskip(NEXT) | instid1(VALU_DEP_1)
	v_and_b32_e32 v5, 0xffff, v5
	v_lshl_or_b32 v43, v11, 16, v5
	v_cmpx_gt_u32_e64 s25, v10
	s_cbranch_execz .LBB101_102
; %bb.85:
	v_cmp_eq_u32_e32 vcc_lo, v6, v7
	v_dual_mov_b32 v48, 0 :: v_dual_add_nc_u32 v9, 14, v51
	v_mov_b32_e32 v45, 0
	v_mov_b32_e32 v47, 0
	v_dual_cndmask_b32 v5, s44, v15 :: v_dual_mov_b32 v46, 0
	v_cmp_ne_u32_e32 vcc_lo, v6, v7
	v_mov_b32_e32 v31, 0
	v_mov_b32_e32 v29, 0
	s_delay_alu instid0(VALU_DEP_4) | instskip(SKIP_3) | instid1(VALU_DEP_1)
	v_dual_mov_b32 v32, 0 :: v_dual_and_b32 v5, 0xffff, v5
	v_cndmask_b32_e64 v6, 0, 1, vcc_lo
	s_mov_b32 s20, 0
	s_mov_b32 s18, exec_lo
                                        ; implicit-def: $sgpr21
                                        ; implicit-def: $vgpr30
	v_lshl_or_b32 v44, v6, 16, v5
	v_cmpx_gt_u32_e64 s25, v9
	s_cbranch_execz .LBB101_101
; %bb.86:
	v_lshrrev_b32_e32 v5, 16, v15
	v_cmp_eq_u32_e32 vcc_lo, v7, v8
	v_add_nc_u32_e32 v6, 15, v51
	v_dual_mov_b32 v46, 0 :: v_dual_mov_b32 v47, 0
	v_dual_mov_b32 v31, 0 :: v_dual_mov_b32 v32, 0
	v_cndmask_b32_e32 v5, s44, v5, vcc_lo
	v_cmp_ne_u32_e32 vcc_lo, v7, v8
	v_dual_mov_b32 v29, 0 :: v_dual_mov_b32 v48, 0
	s_mov_b32 s21, 0
	s_delay_alu instid0(VALU_DEP_3) | instskip(SKIP_2) | instid1(VALU_DEP_1)
	v_and_b32_e32 v5, 0xffff, v5
	v_cndmask_b32_e64 v7, 0, 1, vcc_lo
	s_mov_b32 s19, exec_lo
                                        ; implicit-def: $sgpr22
                                        ; implicit-def: $vgpr30
	v_lshl_or_b32 v45, v7, 16, v5
	v_cmpx_gt_u32_e64 s25, v6
	s_cbranch_execz .LBB101_100
; %bb.87:
	v_cmp_eq_u32_e32 vcc_lo, v8, v1
	v_dual_mov_b32 v47, 0 :: v_dual_mov_b32 v32, 0
	v_mov_b32_e32 v31, 0
	v_mov_b32_e32 v29, 0
	v_dual_cndmask_b32 v5, s44, v16 :: v_dual_add_nc_u32 v6, 16, v51
	v_cmp_ne_u32_e32 vcc_lo, v8, v1
	s_mov_b32 s22, 0
	s_mov_b32 s20, exec_lo
	s_delay_alu instid0(VALU_DEP_2) | instskip(SKIP_1) | instid1(VALU_DEP_1)
	v_dual_mov_b32 v48, 0 :: v_dual_and_b32 v5, 0xffff, v5
	v_cndmask_b32_e64 v7, 0, 1, vcc_lo
                                        ; implicit-def: $sgpr23
                                        ; implicit-def: $vgpr30
	v_lshl_or_b32 v46, v7, 16, v5
	v_cmpx_gt_u32_e64 s25, v6
	s_cbranch_execz .LBB101_99
; %bb.88:
	v_lshrrev_b32_e32 v5, 16, v16
	v_cmp_eq_u32_e32 vcc_lo, v1, v2
	v_dual_mov_b32 v31, 0 :: v_dual_mov_b32 v32, 0
	v_dual_mov_b32 v29, 0 :: v_dual_add_nc_u32 v6, 17, v51
	s_delay_alu instid0(VALU_DEP_4) | instskip(SKIP_3) | instid1(VALU_DEP_2)
	v_cndmask_b32_e32 v5, s44, v5, vcc_lo
	v_cmp_ne_u32_e32 vcc_lo, v1, v2
	s_mov_b32 s23, 0
	s_mov_b32 s21, exec_lo
	v_dual_mov_b32 v48, 0 :: v_dual_and_b32 v5, 0xffff, v5
	v_cndmask_b32_e64 v1, 0, 1, vcc_lo
                                        ; implicit-def: $sgpr24
                                        ; implicit-def: $vgpr30
	s_delay_alu instid0(VALU_DEP_1)
	v_lshl_or_b32 v47, v1, 16, v5
	v_cmpx_gt_u32_e64 s25, v6
	s_cbranch_execz .LBB101_98
; %bb.89:
	ds_load_b64 v[5:6], v17 offset:34
	v_cmp_eq_u32_e32 vcc_lo, v2, v3
	v_add_nc_u32_e32 v7, 18, v51
	v_mov_b32_e32 v31, 0
	v_mov_b32_e32 v29, 0
	s_mov_b32 s24, 0
	s_mov_b32 s22, exec_lo
                                        ; implicit-def: $sgpr40
                                        ; implicit-def: $vgpr30
	s_waitcnt lgkmcnt(0)
	v_dual_mov_b32 v32, 0 :: v_dual_cndmask_b32 v1, s44, v5
	v_cmp_ne_u32_e32 vcc_lo, v2, v3
	s_delay_alu instid0(VALU_DEP_2) | instskip(SKIP_1) | instid1(VALU_DEP_1)
	v_and_b32_e32 v1, 0xffff, v1
	v_cndmask_b32_e64 v2, 0, 1, vcc_lo
	v_lshl_or_b32 v48, v2, 16, v1
	v_cmpx_gt_u32_e64 s25, v7
	s_cbranch_execz .LBB101_97
; %bb.90:
	v_lshrrev_b32_e32 v1, 16, v5
	v_cmp_eq_u32_e32 vcc_lo, v3, v4
	v_mov_b32_e32 v29, 0
	s_mov_b32 s40, 0
	s_mov_b32 s23, exec_lo
	v_dual_cndmask_b32 v1, s44, v1 :: v_dual_add_nc_u32 v2, 19, v51
	v_cmp_ne_u32_e32 vcc_lo, v3, v4
                                        ; implicit-def: $sgpr41
                                        ; implicit-def: $vgpr30
	s_delay_alu instid0(VALU_DEP_2) | instskip(SKIP_1) | instid1(VALU_DEP_1)
	v_dual_mov_b32 v32, 0 :: v_dual_and_b32 v1, 0xffff, v1
	v_cndmask_b32_e64 v3, 0, 1, vcc_lo
	v_lshl_or_b32 v31, v3, 16, v1
	v_cmpx_gt_u32_e64 s25, v2
	s_cbranch_execz .LBB101_96
; %bb.91:
	v_cmp_eq_u32_e32 vcc_lo, v4, v26
	v_mov_b32_e32 v29, 0
	s_mov_b32 s24, exec_lo
                                        ; implicit-def: $sgpr41
                                        ; implicit-def: $vgpr30
	v_dual_cndmask_b32 v1, s44, v6 :: v_dual_add_nc_u32 v2, 20, v51
	v_cmp_ne_u32_e32 vcc_lo, v4, v26
	s_delay_alu instid0(VALU_DEP_2) | instskip(SKIP_1) | instid1(VALU_DEP_1)
	v_and_b32_e32 v1, 0xffff, v1
	v_cndmask_b32_e64 v3, 0, 1, vcc_lo
	v_lshl_or_b32 v32, v3, 16, v1
	v_cmpx_gt_u32_e64 s25, v2
	s_cbranch_execz .LBB101_95
; %bb.92:
	v_lshrrev_b32_e32 v1, 16, v6
	v_cmp_eq_u32_e32 vcc_lo, v26, v27
	v_add_nc_u32_e32 v3, 21, v51
                                        ; implicit-def: $sgpr40
                                        ; implicit-def: $vgpr30
	s_delay_alu instid0(VALU_DEP_3) | instskip(SKIP_1) | instid1(VALU_DEP_2)
	v_cndmask_b32_e32 v1, s44, v1, vcc_lo
	v_cmp_ne_u32_e32 vcc_lo, v26, v27
	v_and_b32_e32 v1, 0xffff, v1
	v_cndmask_b32_e64 v2, 0, 1, vcc_lo
	v_cmp_gt_u32_e32 vcc_lo, s25, v3
	s_mov_b32 s25, 0
	s_delay_alu instid0(VALU_DEP_2) | instskip(SKIP_1) | instid1(SALU_CYCLE_1)
	v_lshl_or_b32 v29, v2, 16, v1
	s_and_saveexec_b32 s41, vcc_lo
	s_xor_b32 s41, exec_lo, s41
	s_cbranch_execz .LBB101_94
; %bb.93:
	ds_load_u16 v1, v17 offset:42
	v_cmp_ne_u32_e32 vcc_lo, v27, v50
	s_mov_b32 s25, exec_lo
	s_and_b32 s40, vcc_lo, exec_lo
	s_waitcnt lgkmcnt(0)
	v_cndmask_b32_e64 v30, v1, s44, vcc_lo
.LBB101_94:
	s_or_b32 exec_lo, exec_lo, s41
	s_delay_alu instid0(SALU_CYCLE_1)
	s_and_b32 s41, s40, exec_lo
	s_and_b32 s40, s25, exec_lo
.LBB101_95:
	s_or_b32 exec_lo, exec_lo, s24
	s_delay_alu instid0(SALU_CYCLE_1)
	s_and_b32 s41, s41, exec_lo
	s_and_b32 s24, s40, exec_lo
.LBB101_96:
	s_or_b32 exec_lo, exec_lo, s23
	s_delay_alu instid0(SALU_CYCLE_1)
	s_and_b32 s40, s41, exec_lo
	s_and_b32 s23, s24, exec_lo
.LBB101_97:
	s_or_b32 exec_lo, exec_lo, s22
	s_delay_alu instid0(SALU_CYCLE_1)
	s_and_b32 s24, s40, exec_lo
	s_and_b32 s22, s23, exec_lo
.LBB101_98:
	s_or_b32 exec_lo, exec_lo, s21
	s_delay_alu instid0(SALU_CYCLE_1)
	s_and_b32 s23, s24, exec_lo
	s_and_b32 s21, s22, exec_lo
.LBB101_99:
	s_or_b32 exec_lo, exec_lo, s20
	s_delay_alu instid0(SALU_CYCLE_1)
	s_and_b32 s22, s23, exec_lo
	s_and_b32 s20, s21, exec_lo
.LBB101_100:
	s_or_b32 exec_lo, exec_lo, s19
	s_delay_alu instid0(SALU_CYCLE_1)
	s_and_b32 s21, s22, exec_lo
	s_and_b32 s19, s20, exec_lo
.LBB101_101:
	s_or_b32 exec_lo, exec_lo, s18
	s_delay_alu instid0(SALU_CYCLE_1)
	s_and_b32 s20, s21, exec_lo
	s_and_b32 s18, s19, exec_lo
.LBB101_102:
	s_or_b32 exec_lo, exec_lo, s17
	s_delay_alu instid0(SALU_CYCLE_1)
	s_and_b32 s19, s20, exec_lo
	s_and_b32 s17, s18, exec_lo
.LBB101_103:
	s_or_b32 exec_lo, exec_lo, s16
	s_delay_alu instid0(SALU_CYCLE_1)
	s_and_b32 s18, s19, exec_lo
	s_and_b32 s16, s17, exec_lo
.LBB101_104:
	s_or_b32 exec_lo, exec_lo, s14
	s_delay_alu instid0(SALU_CYCLE_1)
	s_and_b32 s17, s18, exec_lo
	s_and_b32 s14, s16, exec_lo
.LBB101_105:
	s_or_b32 exec_lo, exec_lo, s13
	s_delay_alu instid0(SALU_CYCLE_1)
	s_and_b32 s16, s17, exec_lo
	s_and_b32 s13, s14, exec_lo
.LBB101_106:
	s_or_b32 exec_lo, exec_lo, s12
	s_delay_alu instid0(SALU_CYCLE_1)
	s_and_b32 s14, s16, exec_lo
	s_and_b32 s12, s13, exec_lo
.LBB101_107:
	s_or_b32 exec_lo, exec_lo, s11
	s_delay_alu instid0(SALU_CYCLE_1)
	s_and_b32 s13, s14, exec_lo
	s_and_b32 s11, s12, exec_lo
.LBB101_108:
	s_or_b32 exec_lo, exec_lo, s10
	s_delay_alu instid0(SALU_CYCLE_1)
	s_and_b32 s12, s13, exec_lo
	s_and_b32 s10, s11, exec_lo
.LBB101_109:
	s_or_b32 exec_lo, exec_lo, s9
	s_delay_alu instid0(SALU_CYCLE_1)
	s_and_b32 s11, s12, exec_lo
	s_and_b32 s9, s10, exec_lo
.LBB101_110:
	s_or_b32 exec_lo, exec_lo, s8
	s_delay_alu instid0(SALU_CYCLE_1)
	s_and_b32 s10, s11, exec_lo
	s_and_b32 s8, s9, exec_lo
.LBB101_111:
	s_or_b32 exec_lo, exec_lo, s7
	s_delay_alu instid0(SALU_CYCLE_1)
	s_and_b32 s9, s10, exec_lo
	s_and_b32 s7, s8, exec_lo
.LBB101_112:
	s_or_b32 exec_lo, exec_lo, s6
	s_delay_alu instid0(SALU_CYCLE_1)
	s_and_b32 s8, s9, exec_lo
	s_and_b32 s6, s7, exec_lo
.LBB101_113:
	s_or_b32 exec_lo, exec_lo, s5
	s_delay_alu instid0(SALU_CYCLE_1)
	s_and_b32 s5, s8, exec_lo
	s_and_b32 s7, s6, exec_lo
.LBB101_114:
	s_or_b32 exec_lo, exec_lo, s3
	s_delay_alu instid0(SALU_CYCLE_1)
	s_and_b32 s5, s5, exec_lo
	s_and_b32 s3, s7, exec_lo
.LBB101_115:
	s_or_b32 exec_lo, exec_lo, s4
	s_mov_b32 s4, 0
	s_and_b32 vcc_lo, exec_lo, s2
	s_cbranch_vccnz .LBB101_117
	s_branch .LBB101_122
.LBB101_116:
                                        ; implicit-def: $sgpr5
                                        ; implicit-def: $vgpr25
                                        ; implicit-def: $vgpr42
                                        ; implicit-def: $vgpr37
                                        ; implicit-def: $vgpr33
                                        ; implicit-def: $vgpr36
                                        ; implicit-def: $vgpr28
                                        ; implicit-def: $vgpr35
                                        ; implicit-def: $vgpr34
                                        ; implicit-def: $vgpr38
                                        ; implicit-def: $vgpr39
                                        ; implicit-def: $vgpr40
                                        ; implicit-def: $vgpr41
                                        ; implicit-def: $vgpr43
                                        ; implicit-def: $vgpr44
                                        ; implicit-def: $vgpr45
                                        ; implicit-def: $vgpr46
                                        ; implicit-def: $vgpr47
                                        ; implicit-def: $vgpr48
                                        ; implicit-def: $vgpr31
                                        ; implicit-def: $vgpr32
                                        ; implicit-def: $vgpr29
                                        ; implicit-def: $vgpr30
                                        ; implicit-def: $sgpr4
	s_cbranch_execz .LBB101_122
.LBB101_117:
	v_add_co_u32 v1, s2, s34, v49
	s_delay_alu instid0(VALU_DEP_1)
	v_add_co_ci_u32_e64 v2, null, s35, 0, s2
	s_clause 0x9
	global_load_b32 v3, v49, s[34:35]
	global_load_b32 v4, v49, s[34:35] offset:256
	global_load_b32 v5, v49, s[34:35] offset:512
	;; [unrolled: 1-line block ×9, first 2 shown]
	v_add_co_u32 v1, vcc_lo, 0x1000, v1
	v_add_co_ci_u32_e32 v2, vcc_lo, 0, v2, vcc_lo
	s_clause 0xb
	global_load_b32 v13, v49, s[34:35] offset:2560
	global_load_b32 v14, v49, s[34:35] offset:2816
	;; [unrolled: 1-line block ×6, first 2 shown]
	global_load_b32 v19, v[1:2], off
	global_load_b32 v20, v[1:2], off offset:256
	global_load_b32 v21, v[1:2], off offset:512
	global_load_b32 v22, v[1:2], off offset:768
	global_load_b32 v23, v[1:2], off offset:1024
	global_load_b32 v1, v[1:2], off offset:1280
	v_mad_u32_u24 v24, 0x54, v0, v49
	s_waitcnt vmcnt(20)
	ds_store_2addr_stride64_b32 v49, v3, v4 offset1:1
	s_waitcnt vmcnt(18)
	ds_store_2addr_stride64_b32 v49, v5, v6 offset0:2 offset1:3
	s_waitcnt vmcnt(16)
	ds_store_2addr_stride64_b32 v49, v7, v8 offset0:4 offset1:5
	;; [unrolled: 2-line block ×10, first 2 shown]
	s_waitcnt lgkmcnt(0)
	s_barrier
	buffer_gl0_inv
	s_load_b32 s2, s[34:35], 0x1600
	ds_load_2addr_b64 v[17:20], v24 offset1:1
	ds_load_2addr_b64 v[13:16], v24 offset0:2 offset1:3
	ds_load_2addr_b64 v[9:12], v24 offset0:4 offset1:5
	;; [unrolled: 1-line block ×4, first 2 shown]
	ds_load_b64 v[29:30], v24 offset:80
	v_mad_i32_i24 v21, 0xffffffac, v0, v24
	s_waitcnt lgkmcnt(0)
	ds_store_b32 v21, v17 offset:5888
	s_waitcnt lgkmcnt(0)
	s_barrier
	buffer_gl0_inv
	v_mov_b32_e32 v50, s2
	s_mov_b32 s2, exec_lo
	v_cmpx_ne_u32_e32 63, v0
	s_cbranch_execz .LBB101_119
; %bb.118:
	ds_load_b32 v50, v49 offset:5892
.LBB101_119:
	s_or_b32 exec_lo, exec_lo, s2
	v_lshlrev_b32_e32 v22, 1, v0
	s_waitcnt lgkmcnt(0)
	s_barrier
	buffer_gl0_inv
	v_cmp_eq_u32_e32 vcc_lo, v17, v18
	v_mov_b32_e32 v17, 0x10000
	s_clause 0x15
	global_load_u16 v23, v22, s[30:31]
	global_load_u16 v24, v22, s[30:31] offset:128
	global_load_u16 v25, v22, s[30:31] offset:256
	;; [unrolled: 1-line block ×21, first 2 shown]
	v_sub_nc_u32_e32 v34, v21, v22
	s_waitcnt vmcnt(21)
	ds_store_b16 v34, v23
	s_waitcnt vmcnt(20)
	ds_store_b16 v34, v24 offset:128
	s_waitcnt vmcnt(19)
	ds_store_b16 v34, v25 offset:256
	;; [unrolled: 2-line block ×21, first 2 shown]
	v_mad_u32_u24 v48, v0, 42, v34
	s_waitcnt lgkmcnt(0)
	s_barrier
	buffer_gl0_inv
	ds_load_b128 v[25:28], v48 offset:2
	ds_load_b128 v[21:24], v48 offset:18
	ds_load_b64 v[31:32], v48 offset:34
	ds_load_u16 v49, v48 offset:42
	v_mov_b32_e32 v33, s44
	s_and_saveexec_b32 s2, vcc_lo
	s_cbranch_execz .LBB101_121
; %bb.120:
	v_mul_u32_u24_e32 v17, 42, v0
	s_delay_alu instid0(VALU_DEP_1)
	v_add_nc_u32_e32 v17, v34, v17
	ds_load_u16 v33, v17
	v_mov_b32_e32 v17, 0
.LBB101_121:
	s_or_b32 exec_lo, exec_lo, s2
	v_cmp_eq_u32_e32 vcc_lo, v18, v19
	s_waitcnt lgkmcnt(3)
	v_lshrrev_b32_e32 v34, 16, v25
	s_waitcnt lgkmcnt(0)
	v_and_b32_e32 v33, 0xffff, v33
	v_lshrrev_b32_e32 v35, 16, v26
	v_lshrrev_b32_e32 v36, 16, v27
	v_cndmask_b32_e32 v25, s44, v25, vcc_lo
	v_cmp_ne_u32_e32 vcc_lo, v18, v19
	v_lshrrev_b32_e32 v38, 16, v28
	v_lshrrev_b32_e32 v39, 16, v21
	;; [unrolled: 1-line block ×3, first 2 shown]
	v_and_b32_e32 v37, 0xffff, v25
	v_cndmask_b32_e64 v18, 0, 1, vcc_lo
	v_cmp_eq_u32_e32 vcc_lo, v19, v20
	v_or_b32_e32 v25, v17, v33
	v_lshrrev_b32_e32 v43, 16, v23
	v_lshrrev_b32_e32 v44, 16, v24
	v_lshl_or_b32 v42, v18, 16, v37
	v_cndmask_b32_e32 v34, s44, v34, vcc_lo
	v_cmp_eq_u32_e32 vcc_lo, v20, v13
	v_lshrrev_b32_e32 v47, 16, v31
	v_lshrrev_b32_e32 v48, 16, v32
	v_cmp_ne_u32_e64 s5, v30, v50
	v_and_b32_e32 v18, 0xffff, v34
	v_cndmask_b32_e32 v17, s44, v26, vcc_lo
	v_cmp_ne_u32_e32 vcc_lo, v19, v20
	s_mov_b32 s3, -1
                                        ; implicit-def: $sgpr4
	s_delay_alu instid0(VALU_DEP_2) | instskip(SKIP_2) | instid1(VALU_DEP_2)
	v_and_b32_e32 v17, 0xffff, v17
	v_cndmask_b32_e64 v19, 0, 1, vcc_lo
	v_cmp_ne_u32_e32 vcc_lo, v20, v13
	v_lshl_or_b32 v37, v19, 16, v18
	v_cndmask_b32_e64 v20, 0, 1, vcc_lo
	v_cmp_eq_u32_e32 vcc_lo, v13, v14
	s_delay_alu instid0(VALU_DEP_2) | instskip(SKIP_2) | instid1(VALU_DEP_2)
	v_lshl_or_b32 v33, v20, 16, v17
	v_cndmask_b32_e32 v26, s44, v35, vcc_lo
	v_cmp_eq_u32_e32 vcc_lo, v14, v15
	v_and_b32_e32 v17, 0xffff, v26
	v_cndmask_b32_e32 v18, s44, v27, vcc_lo
	v_cmp_ne_u32_e32 vcc_lo, v13, v14
	s_delay_alu instid0(VALU_DEP_2)
	v_and_b32_e32 v18, 0xffff, v18
	v_cndmask_b32_e64 v13, 0, 1, vcc_lo
	v_cmp_ne_u32_e32 vcc_lo, v14, v15
	v_cndmask_b32_e64 v14, 0, 1, vcc_lo
	v_cmp_eq_u32_e32 vcc_lo, v15, v16
	v_cndmask_b32_e32 v19, s44, v36, vcc_lo
	v_cmp_eq_u32_e32 vcc_lo, v16, v9
	v_lshl_or_b32 v36, v13, 16, v17
	v_cndmask_b32_e32 v13, s44, v28, vcc_lo
	v_cmp_ne_u32_e32 vcc_lo, v15, v16
	v_lshl_or_b32 v28, v14, 16, v18
	v_and_b32_e32 v14, 0xffff, v19
	s_delay_alu instid0(VALU_DEP_4) | instskip(SKIP_2) | instid1(VALU_DEP_2)
	v_and_b32_e32 v13, 0xffff, v13
	v_cndmask_b32_e64 v15, 0, 1, vcc_lo
	v_cmp_ne_u32_e32 vcc_lo, v16, v9
	v_lshl_or_b32 v35, v15, 16, v14
	v_cndmask_b32_e64 v16, 0, 1, vcc_lo
	v_cmp_eq_u32_e32 vcc_lo, v9, v10
	s_delay_alu instid0(VALU_DEP_2) | instskip(SKIP_2) | instid1(VALU_DEP_2)
	v_lshl_or_b32 v34, v16, 16, v13
	v_cndmask_b32_e32 v17, s44, v38, vcc_lo
	v_cmp_eq_u32_e32 vcc_lo, v10, v11
	v_and_b32_e32 v13, 0xffff, v17
	v_cndmask_b32_e32 v14, s44, v21, vcc_lo
	v_cmp_ne_u32_e32 vcc_lo, v9, v10
	s_delay_alu instid0(VALU_DEP_2) | instskip(SKIP_2) | instid1(VALU_DEP_2)
	v_and_b32_e32 v14, 0xffff, v14
	v_cndmask_b32_e64 v9, 0, 1, vcc_lo
	v_cmp_ne_u32_e32 vcc_lo, v10, v11
	v_lshl_or_b32 v38, v9, 16, v13
	v_cndmask_b32_e64 v10, 0, 1, vcc_lo
	v_cmp_eq_u32_e32 vcc_lo, v11, v12
	v_cndmask_b32_e32 v15, s44, v39, vcc_lo
	v_cmp_eq_u32_e32 vcc_lo, v12, v5
	s_delay_alu instid0(VALU_DEP_4) | instskip(NEXT) | instid1(VALU_DEP_3)
	v_lshl_or_b32 v39, v10, 16, v14
	v_and_b32_e32 v10, 0xffff, v15
	v_cndmask_b32_e32 v9, s44, v22, vcc_lo
	v_cmp_ne_u32_e32 vcc_lo, v11, v12
	s_delay_alu instid0(VALU_DEP_2) | instskip(SKIP_4) | instid1(VALU_DEP_2)
	v_and_b32_e32 v9, 0xffff, v9
	v_cndmask_b32_e64 v11, 0, 1, vcc_lo
	v_cmp_ne_u32_e32 vcc_lo, v12, v5
	v_cndmask_b32_e64 v12, 0, 1, vcc_lo
	v_cmp_eq_u32_e32 vcc_lo, v5, v6
	v_lshl_or_b32 v41, v12, 16, v9
	v_cndmask_b32_e32 v13, s44, v40, vcc_lo
	v_cmp_eq_u32_e32 vcc_lo, v6, v7
	v_lshl_or_b32 v40, v11, 16, v10
	s_delay_alu instid0(VALU_DEP_3) | instskip(SKIP_2) | instid1(VALU_DEP_2)
	v_and_b32_e32 v9, 0xffff, v13
	v_cndmask_b32_e32 v10, s44, v23, vcc_lo
	v_cmp_ne_u32_e32 vcc_lo, v5, v6
	v_and_b32_e32 v10, 0xffff, v10
	v_cndmask_b32_e64 v5, 0, 1, vcc_lo
	v_cmp_eq_u32_e32 vcc_lo, v7, v8
	v_cndmask_b32_e32 v11, s44, v43, vcc_lo
	v_cmp_eq_u32_e32 vcc_lo, v8, v1
	s_delay_alu instid0(VALU_DEP_4) | instskip(NEXT) | instid1(VALU_DEP_3)
	v_lshl_or_b32 v43, v5, 16, v9
	v_and_b32_e32 v11, 0xffff, v11
	v_cndmask_b32_e32 v12, s44, v24, vcc_lo
	v_cmp_ne_u32_e32 vcc_lo, v6, v7
	s_delay_alu instid0(VALU_DEP_2) | instskip(SKIP_4) | instid1(VALU_DEP_2)
	v_and_b32_e32 v12, 0xffff, v12
	v_cndmask_b32_e64 v6, 0, 1, vcc_lo
	v_cmp_ne_u32_e32 vcc_lo, v7, v8
	v_cndmask_b32_e64 v7, 0, 1, vcc_lo
	v_cmp_ne_u32_e32 vcc_lo, v8, v1
	v_lshl_or_b32 v45, v7, 16, v11
	v_cndmask_b32_e64 v8, 0, 1, vcc_lo
	v_cmp_eq_u32_e32 vcc_lo, v1, v2
	s_delay_alu instid0(VALU_DEP_2) | instskip(SKIP_3) | instid1(VALU_DEP_3)
	v_lshl_or_b32 v46, v8, 16, v12
	v_cndmask_b32_e32 v13, s44, v44, vcc_lo
	v_cmp_eq_u32_e32 vcc_lo, v2, v3
	v_lshl_or_b32 v44, v6, 16, v10
	v_and_b32_e32 v5, 0xffff, v13
	v_cndmask_b32_e32 v6, s44, v31, vcc_lo
	v_cmp_eq_u32_e32 vcc_lo, v3, v4
	s_delay_alu instid0(VALU_DEP_2) | instskip(SKIP_2) | instid1(VALU_DEP_2)
	v_and_b32_e32 v6, 0xffff, v6
	v_cndmask_b32_e32 v7, s44, v47, vcc_lo
	v_cmp_ne_u32_e32 vcc_lo, v1, v2
	v_and_b32_e32 v7, 0xffff, v7
	v_cndmask_b32_e64 v1, 0, 1, vcc_lo
	v_cmp_ne_u32_e32 vcc_lo, v2, v3
	s_delay_alu instid0(VALU_DEP_2) | instskip(SKIP_4) | instid1(VALU_DEP_2)
	v_lshl_or_b32 v47, v1, 16, v5
	v_cndmask_b32_e64 v2, 0, 1, vcc_lo
	v_cmp_eq_u32_e32 vcc_lo, v4, v29
	v_cndmask_b32_e32 v8, s44, v32, vcc_lo
	v_cmp_eq_u32_e32 vcc_lo, v29, v30
	v_and_b32_e32 v8, 0xffff, v8
	v_cndmask_b32_e32 v9, s44, v48, vcc_lo
	v_cmp_ne_u32_e32 vcc_lo, v3, v4
	v_lshl_or_b32 v48, v2, 16, v6
	s_delay_alu instid0(VALU_DEP_3) | instskip(SKIP_2) | instid1(VALU_DEP_2)
	v_and_b32_e32 v9, 0xffff, v9
	v_cndmask_b32_e64 v3, 0, 1, vcc_lo
	v_cmp_ne_u32_e32 vcc_lo, v4, v29
	v_lshl_or_b32 v31, v3, 16, v7
	v_cndmask_b32_e64 v4, 0, 1, vcc_lo
	v_cmp_ne_u32_e32 vcc_lo, v29, v30
	v_cndmask_b32_e64 v30, v49, s44, s5
	s_delay_alu instid0(VALU_DEP_3) | instskip(SKIP_1) | instid1(VALU_DEP_1)
	v_lshl_or_b32 v32, v4, 16, v8
	v_cndmask_b32_e64 v10, 0, 1, vcc_lo
	v_lshl_or_b32 v29, v10, 16, v9
.LBB101_122:
	v_mov_b32_e32 v22, s4
	s_and_saveexec_b32 s2, s3
; %bb.123:
	v_and_b32_e32 v1, 0xffff, v30
	v_cndmask_b32_e64 v2, 0, 0x10000, s5
	s_delay_alu instid0(VALU_DEP_1)
	v_or_b32_e32 v22, v2, v1
; %bb.124:
	s_or_b32 exec_lo, exec_lo, s2
	v_cmp_gt_u32_e64 s2, 0x10000, v42
	s_cmp_lg_u32 s15, 0
	s_barrier
	buffer_gl0_inv
	s_cbranch_scc0 .LBB101_577
; %bb.125:
	v_mov_b32_e32 v1, v42
	s_and_saveexec_b32 s3, s2
	s_cbranch_execz .LBB101_131
; %bb.126:
	v_lshlrev_b32_e32 v1, 16, v25
	v_lshlrev_b32_e32 v2, 16, v42
	s_delay_alu instid0(VALU_DEP_1) | instskip(NEXT) | instid1(VALU_DEP_1)
	v_add_f32_e32 v1, v2, v1
	v_and_b32_e32 v2, 0x7f800000, v1
	s_delay_alu instid0(VALU_DEP_1) | instskip(SKIP_1) | instid1(SALU_CYCLE_1)
	v_cmp_ne_u32_e32 vcc_lo, 0x7f800000, v2
                                        ; implicit-def: $vgpr2
	s_and_saveexec_b32 s4, vcc_lo
	s_xor_b32 s4, exec_lo, s4
; %bb.127:
	v_bfe_u32 v2, v1, 16, 1
	s_delay_alu instid0(VALU_DEP_1)
	v_add3_u32 v2, v1, v2, 0x7fff
                                        ; implicit-def: $vgpr1
; %bb.128:
	s_and_not1_saveexec_b32 s4, s4
; %bb.129:
	v_and_b32_e32 v2, 0xffff, v1
	v_or_b32_e32 v3, 0x10000, v1
	s_delay_alu instid0(VALU_DEP_2) | instskip(NEXT) | instid1(VALU_DEP_2)
	v_cmp_eq_u32_e32 vcc_lo, 0, v2
	v_cndmask_b32_e32 v2, v3, v1, vcc_lo
; %bb.130:
	s_or_b32 exec_lo, exec_lo, s4
	s_delay_alu instid0(VALU_DEP_1)
	v_lshrrev_b32_e32 v1, 16, v2
.LBB101_131:
	s_or_b32 exec_lo, exec_lo, s3
	v_cmp_gt_u32_e64 s3, 0x10000, v37
	v_mov_b32_e32 v2, v37
	s_delay_alu instid0(VALU_DEP_2)
	s_and_saveexec_b32 s4, s3
	s_cbranch_execz .LBB101_137
; %bb.132:
	v_lshlrev_b32_e32 v1, 16, v1
	v_lshlrev_b32_e32 v2, 16, v37
	s_delay_alu instid0(VALU_DEP_1) | instskip(NEXT) | instid1(VALU_DEP_1)
	v_add_f32_e32 v1, v2, v1
	v_and_b32_e32 v2, 0x7f800000, v1
	s_delay_alu instid0(VALU_DEP_1) | instskip(SKIP_1) | instid1(SALU_CYCLE_1)
	v_cmp_ne_u32_e32 vcc_lo, 0x7f800000, v2
                                        ; implicit-def: $vgpr2
	s_and_saveexec_b32 s5, vcc_lo
	s_xor_b32 s5, exec_lo, s5
; %bb.133:
	v_bfe_u32 v2, v1, 16, 1
	s_delay_alu instid0(VALU_DEP_1)
	v_add3_u32 v2, v1, v2, 0x7fff
                                        ; implicit-def: $vgpr1
; %bb.134:
	s_and_not1_saveexec_b32 s5, s5
; %bb.135:
	v_and_b32_e32 v2, 0xffff, v1
	v_or_b32_e32 v3, 0x10000, v1
	s_delay_alu instid0(VALU_DEP_2) | instskip(NEXT) | instid1(VALU_DEP_2)
	v_cmp_eq_u32_e32 vcc_lo, 0, v2
	v_cndmask_b32_e32 v2, v3, v1, vcc_lo
; %bb.136:
	s_or_b32 exec_lo, exec_lo, s5
	s_delay_alu instid0(VALU_DEP_1)
	v_lshrrev_b32_e32 v2, 16, v2
.LBB101_137:
	s_or_b32 exec_lo, exec_lo, s4
	v_cmp_gt_u32_e64 s4, 0x10000, v33
	v_mov_b32_e32 v1, v33
	s_delay_alu instid0(VALU_DEP_2)
	;; [unrolled: 35-line block ×19, first 2 shown]
	s_and_saveexec_b32 s23, s22
	s_cbranch_execz .LBB101_245
; %bb.240:
	v_lshlrev_b32_e32 v1, 16, v1
	v_lshlrev_b32_e32 v2, 16, v29
	s_delay_alu instid0(VALU_DEP_1) | instskip(NEXT) | instid1(VALU_DEP_1)
	v_add_f32_e32 v1, v2, v1
	v_and_b32_e32 v2, 0x7f800000, v1
	s_delay_alu instid0(VALU_DEP_1) | instskip(SKIP_1) | instid1(SALU_CYCLE_1)
	v_cmp_ne_u32_e32 vcc_lo, 0x7f800000, v2
                                        ; implicit-def: $vgpr2
	s_and_saveexec_b32 s24, vcc_lo
	s_xor_b32 s24, exec_lo, s24
; %bb.241:
	v_bfe_u32 v2, v1, 16, 1
	s_delay_alu instid0(VALU_DEP_1)
	v_add3_u32 v2, v1, v2, 0x7fff
                                        ; implicit-def: $vgpr1
; %bb.242:
	s_and_not1_saveexec_b32 s24, s24
; %bb.243:
	v_and_b32_e32 v2, 0xffff, v1
	v_or_b32_e32 v3, 0x10000, v1
	s_delay_alu instid0(VALU_DEP_2) | instskip(NEXT) | instid1(VALU_DEP_2)
	v_cmp_eq_u32_e32 vcc_lo, 0, v2
	v_cndmask_b32_e32 v2, v3, v1, vcc_lo
; %bb.244:
	s_or_b32 exec_lo, exec_lo, s24
	s_delay_alu instid0(VALU_DEP_1)
	v_lshrrev_b32_e32 v2, 16, v2
.LBB101_245:
	s_or_b32 exec_lo, exec_lo, s23
	v_mov_b32_e32 v9, v22
	s_mov_b32 s23, exec_lo
	v_cmpx_gt_u32_e32 0x10000, v22
	s_cbranch_execz .LBB101_251
; %bb.246:
	v_lshlrev_b32_e32 v1, 16, v2
	v_lshlrev_b32_e32 v2, 16, v22
	s_delay_alu instid0(VALU_DEP_1) | instskip(NEXT) | instid1(VALU_DEP_1)
	v_add_f32_e32 v1, v2, v1
	v_and_b32_e32 v2, 0x7f800000, v1
	s_delay_alu instid0(VALU_DEP_1) | instskip(SKIP_1) | instid1(SALU_CYCLE_1)
	v_cmp_ne_u32_e32 vcc_lo, 0x7f800000, v2
                                        ; implicit-def: $vgpr2
	s_and_saveexec_b32 s24, vcc_lo
	s_xor_b32 s24, exec_lo, s24
; %bb.247:
	v_bfe_u32 v2, v1, 16, 1
	s_delay_alu instid0(VALU_DEP_1)
	v_add3_u32 v2, v1, v2, 0x7fff
                                        ; implicit-def: $vgpr1
; %bb.248:
	s_and_not1_saveexec_b32 s24, s24
; %bb.249:
	v_and_b32_e32 v2, 0xffff, v1
	v_or_b32_e32 v3, 0x10000, v1
	s_delay_alu instid0(VALU_DEP_2) | instskip(NEXT) | instid1(VALU_DEP_2)
	v_cmp_eq_u32_e32 vcc_lo, 0, v2
	v_cndmask_b32_e32 v2, v3, v1, vcc_lo
; %bb.250:
	s_or_b32 exec_lo, exec_lo, s24
	s_delay_alu instid0(VALU_DEP_1)
	v_lshrrev_b32_e32 v9, 16, v2
.LBB101_251:
	s_or_b32 exec_lo, exec_lo, s23
	v_or3_b32 v1, v22, v29, v32
	v_lshrrev_b32_e32 v2, 5, v0
	v_lshrrev_b32_e32 v3, 16, v25
	s_delay_alu instid0(VALU_DEP_3) | instskip(NEXT) | instid1(VALU_DEP_3)
	v_or3_b32 v1, v1, v31, v48
	v_add_lshl_u32 v2, v2, v0, 2
	s_delay_alu instid0(VALU_DEP_2) | instskip(NEXT) | instid1(VALU_DEP_1)
	v_or3_b32 v1, v1, v47, v46
	v_or3_b32 v1, v1, v45, v44
	s_delay_alu instid0(VALU_DEP_1) | instskip(NEXT) | instid1(VALU_DEP_1)
	v_or3_b32 v1, v1, v43, v41
	v_or3_b32 v1, v1, v40, v39
	s_delay_alu instid0(VALU_DEP_1) | instskip(NEXT) | instid1(VALU_DEP_1)
	;; [unrolled: 3-line block ×4, first 2 shown]
	v_and_b32_e32 v1, 0x10000, v1
	v_cmp_ne_u32_e32 vcc_lo, 0, v1
	v_cndmask_b32_e64 v10, v3, 1, vcc_lo
	v_cmp_gt_u32_e32 vcc_lo, 32, v0
	ds_store_b16 v2, v9
	ds_store_b8 v2, v10 offset:2
	s_waitcnt lgkmcnt(0)
	s_barrier
	buffer_gl0_inv
	s_and_saveexec_b32 s23, vcc_lo
	s_delay_alu instid0(SALU_CYCLE_1)
	s_xor_b32 s30, exec_lo, s23
	s_cbranch_execz .LBB101_309
; %bb.252:
	v_lshrrev_b32_e32 v1, 2, v0
	s_delay_alu instid0(VALU_DEP_1) | instskip(NEXT) | instid1(VALU_DEP_1)
	v_and_b32_e32 v1, 12, v1
	v_lshl_or_b32 v1, v0, 3, v1
	ds_load_u8 v6, v1 offset:6
	ds_load_u16 v2, v1 offset:4
	ds_load_b32 v4, v1
	s_waitcnt lgkmcnt(2)
	v_cmp_eq_u16_e64 s23, 0, v6
	s_waitcnt lgkmcnt(1)
	v_dual_mov_b32 v8, v2 :: v_dual_lshlrev_b32 v3, 16, v2
	s_waitcnt lgkmcnt(0)
	v_lshlrev_b32_e32 v5, 16, v4
	s_and_saveexec_b32 s25, s23
	s_cbranch_execz .LBB101_258
; %bb.253:
	s_delay_alu instid0(VALU_DEP_1) | instskip(NEXT) | instid1(VALU_DEP_1)
	v_add_f32_e32 v7, v5, v3
	v_and_b32_e32 v8, 0x7f800000, v7
	s_delay_alu instid0(VALU_DEP_1) | instskip(NEXT) | instid1(VALU_DEP_1)
	v_cmp_ne_u32_e64 s24, 0x7f800000, v8
                                        ; implicit-def: $vgpr8
	s_and_saveexec_b32 s31, s24
	s_delay_alu instid0(SALU_CYCLE_1)
	s_xor_b32 s24, exec_lo, s31
; %bb.254:
	v_bfe_u32 v8, v7, 16, 1
	s_delay_alu instid0(VALU_DEP_1)
	v_add3_u32 v8, v7, v8, 0x7fff
                                        ; implicit-def: $vgpr7
; %bb.255:
	s_and_not1_saveexec_b32 s31, s24
; %bb.256:
	v_and_b32_e32 v8, 0xffff, v7
	v_or_b32_e32 v11, 0x10000, v7
	s_delay_alu instid0(VALU_DEP_2) | instskip(NEXT) | instid1(VALU_DEP_1)
	v_cmp_eq_u32_e64 s24, 0, v8
	v_cndmask_b32_e64 v8, v11, v7, s24
; %bb.257:
	s_or_b32 exec_lo, exec_lo, s31
	s_delay_alu instid0(VALU_DEP_1)
	v_lshrrev_b32_e32 v8, 16, v8
.LBB101_258:
	s_or_b32 exec_lo, exec_lo, s25
	v_and_b32_e32 v11, 1, v6
	s_delay_alu instid0(VALU_DEP_2) | instskip(SKIP_2) | instid1(VALU_DEP_4)
	v_dual_mov_b32 v17, v8 :: v_dual_and_b32 v6, 0x10000, v4
	v_and_b32_e32 v7, 0xff000000, v4
	v_and_b32_e32 v12, 0xffff, v8
	v_cmp_eq_u32_e64 s24, 1, v11
	s_mov_b32 s31, exec_lo
	s_delay_alu instid0(VALU_DEP_1) | instskip(NEXT) | instid1(VALU_DEP_1)
	v_cndmask_b32_e64 v11, v6, 0x10000, s24
	v_or_b32_e32 v14, v11, v7
	s_delay_alu instid0(VALU_DEP_1) | instskip(SKIP_1) | instid1(VALU_DEP_2)
	v_lshrrev_b32_e32 v11, 16, v14
	v_or_b32_e32 v13, v14, v12
	v_and_b32_e32 v15, 1, v11
	s_delay_alu instid0(VALU_DEP_2) | instskip(NEXT) | instid1(VALU_DEP_2)
	v_mov_b32_dpp v16, v13 row_shr:1 row_mask:0xf bank_mask:0xf
	v_cmpx_eq_u16_e32 0, v15
	s_cbranch_execz .LBB101_264
; %bb.259:
	s_delay_alu instid0(VALU_DEP_2) | instskip(SKIP_1) | instid1(VALU_DEP_1)
	v_lshlrev_b32_e32 v15, 16, v16
	v_lshlrev_b32_e32 v12, 16, v12
	v_add_f32_e32 v12, v12, v15
	s_delay_alu instid0(VALU_DEP_1) | instskip(NEXT) | instid1(VALU_DEP_1)
	v_and_b32_e32 v15, 0x7f800000, v12
	v_cmp_ne_u32_e64 s25, 0x7f800000, v15
                                        ; implicit-def: $vgpr15
	s_delay_alu instid0(VALU_DEP_1) | instskip(NEXT) | instid1(SALU_CYCLE_1)
	s_and_saveexec_b32 s34, s25
	s_xor_b32 s25, exec_lo, s34
; %bb.260:
	v_bfe_u32 v15, v12, 16, 1
	s_delay_alu instid0(VALU_DEP_1)
	v_add3_u32 v15, v12, v15, 0x7fff
                                        ; implicit-def: $vgpr12
; %bb.261:
	s_and_not1_saveexec_b32 s34, s25
; %bb.262:
	v_and_b32_e32 v15, 0xffff, v12
	v_or_b32_e32 v17, 0x10000, v12
	s_delay_alu instid0(VALU_DEP_2) | instskip(NEXT) | instid1(VALU_DEP_1)
	v_cmp_eq_u32_e64 s25, 0, v15
	v_cndmask_b32_e64 v15, v17, v12, s25
; %bb.263:
	s_or_b32 exec_lo, exec_lo, s34
	s_delay_alu instid0(VALU_DEP_1)
	v_lshrrev_b32_e32 v17, 16, v15
.LBB101_264:
	s_or_b32 exec_lo, exec_lo, s31
	v_mbcnt_lo_u32_b32 v12, -1, 0
	s_mov_b32 s31, exec_lo
	s_delay_alu instid0(VALU_DEP_1) | instskip(NEXT) | instid1(VALU_DEP_1)
	v_and_b32_e32 v15, 15, v12
	v_cmpx_ne_u32_e32 0, v15
; %bb.265:
	v_lshrrev_b32_e32 v8, 16, v16
	v_and_b32_e32 v11, 0x10000, v14
	s_delay_alu instid0(VALU_DEP_2) | instskip(NEXT) | instid1(VALU_DEP_2)
	v_and_b32_e32 v8, 1, v8
	v_cmp_ne_u32_e64 s25, 0, v11
	s_delay_alu instid0(VALU_DEP_1) | instskip(SKIP_1) | instid1(VALU_DEP_2)
	v_cndmask_b32_e64 v11, v8, 1, s25
	v_and_b32_e32 v8, 0xffff, v17
	v_lshlrev_b32_e32 v13, 16, v11
	s_delay_alu instid0(VALU_DEP_1)
	v_or3_b32 v13, v13, v8, v7
	v_mov_b32_e32 v8, v17
; %bb.266:
	s_or_b32 exec_lo, exec_lo, s31
	s_delay_alu instid0(VALU_DEP_2) | instskip(SKIP_3) | instid1(VALU_DEP_3)
	v_lshrrev_b32_e32 v14, 16, v13
	v_mov_b32_dpp v17, v13 row_shr:2 row_mask:0xf bank_mask:0xf
	v_mov_b32_e32 v18, v13
	s_mov_b32 s31, exec_lo
	v_and_b32_e32 v16, 0xff, v14
	s_delay_alu instid0(VALU_DEP_1)
	v_cmpx_eq_u16_e32 0, v16
	s_cbranch_execz .LBB101_272
; %bb.267:
	v_lshlrev_b32_e32 v16, 16, v17
	v_lshlrev_b32_e32 v18, 16, v13
	s_delay_alu instid0(VALU_DEP_1) | instskip(NEXT) | instid1(VALU_DEP_1)
	v_add_f32_e32 v16, v18, v16
	v_and_b32_e32 v18, 0x7f800000, v16
	s_delay_alu instid0(VALU_DEP_1) | instskip(NEXT) | instid1(VALU_DEP_1)
	v_cmp_ne_u32_e64 s25, 0x7f800000, v18
                                        ; implicit-def: $vgpr18
	s_and_saveexec_b32 s34, s25
	s_delay_alu instid0(SALU_CYCLE_1)
	s_xor_b32 s25, exec_lo, s34
; %bb.268:
	v_bfe_u32 v18, v16, 16, 1
	s_delay_alu instid0(VALU_DEP_1)
	v_add3_u32 v18, v16, v18, 0x7fff
                                        ; implicit-def: $vgpr16
; %bb.269:
	s_and_not1_saveexec_b32 s34, s25
; %bb.270:
	v_and_b32_e32 v18, 0xffff, v16
	v_or_b32_e32 v19, 0x10000, v16
	s_delay_alu instid0(VALU_DEP_2) | instskip(NEXT) | instid1(VALU_DEP_1)
	v_cmp_eq_u32_e64 s25, 0, v18
	v_cndmask_b32_e64 v18, v19, v16, s25
; %bb.271:
	s_or_b32 exec_lo, exec_lo, s34
	s_delay_alu instid0(VALU_DEP_1)
	v_lshrrev_b32_e32 v18, 16, v18
.LBB101_272:
	s_or_b32 exec_lo, exec_lo, s31
	v_mov_b32_e32 v16, v13
	s_mov_b32 s31, exec_lo
	v_cmpx_lt_u32_e32 1, v15
; %bb.273:
	v_lshrrev_b32_e32 v8, 16, v17
	v_and_b32_e32 v11, 0x10000, v13
	s_delay_alu instid0(VALU_DEP_2) | instskip(NEXT) | instid1(VALU_DEP_2)
	v_and_b32_e32 v8, 1, v8
	v_cmp_ne_u32_e64 s25, 0, v11
	s_delay_alu instid0(VALU_DEP_1) | instskip(SKIP_1) | instid1(VALU_DEP_2)
	v_cndmask_b32_e64 v11, v8, 1, s25
	v_dual_mov_b32 v8, v18 :: v_dual_and_b32 v13, 0xffff, v18
	v_mov_b32_e32 v14, v11
	v_lshlrev_b32_e32 v16, 16, v11
	s_delay_alu instid0(VALU_DEP_1)
	v_or3_b32 v16, v16, v13, v7
	v_mov_b32_e32 v13, v18
; %bb.274:
	s_or_b32 exec_lo, exec_lo, s31
	v_and_b32_e32 v18, 0xff, v14
	s_delay_alu instid0(VALU_DEP_3) | instskip(NEXT) | instid1(VALU_DEP_2)
	v_mov_b32_dpp v17, v16 row_shr:4 row_mask:0xf bank_mask:0xf
	v_cmp_eq_u16_e64 s25, 0, v18
	v_mov_b32_e32 v18, v13
	s_delay_alu instid0(VALU_DEP_2)
	s_and_saveexec_b32 s31, s25
	s_cbranch_execz .LBB101_280
; %bb.275:
	v_lshlrev_b32_e32 v18, 16, v17
	v_lshlrev_b32_e32 v19, 16, v13
	s_delay_alu instid0(VALU_DEP_1) | instskip(NEXT) | instid1(VALU_DEP_1)
	v_add_f32_e32 v18, v19, v18
	v_and_b32_e32 v19, 0x7f800000, v18
	s_delay_alu instid0(VALU_DEP_1) | instskip(NEXT) | instid1(VALU_DEP_1)
	v_cmp_ne_u32_e64 s25, 0x7f800000, v19
                                        ; implicit-def: $vgpr19
	s_and_saveexec_b32 s34, s25
	s_delay_alu instid0(SALU_CYCLE_1)
	s_xor_b32 s25, exec_lo, s34
; %bb.276:
	v_bfe_u32 v19, v18, 16, 1
	s_delay_alu instid0(VALU_DEP_1)
	v_add3_u32 v19, v18, v19, 0x7fff
                                        ; implicit-def: $vgpr18
; %bb.277:
	s_and_not1_saveexec_b32 s34, s25
; %bb.278:
	v_and_b32_e32 v19, 0xffff, v18
	v_or_b32_e32 v20, 0x10000, v18
	s_delay_alu instid0(VALU_DEP_2) | instskip(NEXT) | instid1(VALU_DEP_1)
	v_cmp_eq_u32_e64 s25, 0, v19
	v_cndmask_b32_e64 v19, v20, v18, s25
; %bb.279:
	s_or_b32 exec_lo, exec_lo, s34
	s_delay_alu instid0(VALU_DEP_1)
	v_lshrrev_b32_e32 v18, 16, v19
.LBB101_280:
	s_or_b32 exec_lo, exec_lo, s31
	s_delay_alu instid0(SALU_CYCLE_1)
	s_mov_b32 s31, exec_lo
	v_cmpx_lt_u32_e32 3, v15
; %bb.281:
	v_lshrrev_b32_e32 v8, 16, v17
	v_and_b32_e32 v11, 1, v14
	s_delay_alu instid0(VALU_DEP_2) | instskip(NEXT) | instid1(VALU_DEP_2)
	v_and_b32_e32 v8, 1, v8
	v_cmp_eq_u32_e64 s25, 1, v11
	s_delay_alu instid0(VALU_DEP_1) | instskip(SKIP_1) | instid1(VALU_DEP_2)
	v_cndmask_b32_e64 v11, v8, 1, s25
	v_dual_mov_b32 v8, v18 :: v_dual_and_b32 v13, 0xffff, v18
	v_mov_b32_e32 v14, v11
	v_lshlrev_b32_e32 v16, 16, v11
	s_delay_alu instid0(VALU_DEP_1)
	v_or3_b32 v16, v16, v13, v7
	v_mov_b32_e32 v13, v18
; %bb.282:
	s_or_b32 exec_lo, exec_lo, s31
	v_and_b32_e32 v18, 0xff, v14
	s_delay_alu instid0(VALU_DEP_3) | instskip(NEXT) | instid1(VALU_DEP_2)
	v_mov_b32_dpp v17, v16 row_shr:8 row_mask:0xf bank_mask:0xf
	v_cmp_eq_u16_e64 s25, 0, v18
	v_mov_b32_e32 v18, v13
	s_delay_alu instid0(VALU_DEP_2)
	s_and_saveexec_b32 s31, s25
	s_cbranch_execz .LBB101_288
; %bb.283:
	v_lshlrev_b32_e32 v18, 16, v17
	v_lshlrev_b32_e32 v19, 16, v13
	s_delay_alu instid0(VALU_DEP_1) | instskip(NEXT) | instid1(VALU_DEP_1)
	v_add_f32_e32 v18, v19, v18
	v_and_b32_e32 v19, 0x7f800000, v18
	s_delay_alu instid0(VALU_DEP_1) | instskip(NEXT) | instid1(VALU_DEP_1)
	v_cmp_ne_u32_e64 s25, 0x7f800000, v19
                                        ; implicit-def: $vgpr19
	s_and_saveexec_b32 s34, s25
	s_delay_alu instid0(SALU_CYCLE_1)
	s_xor_b32 s25, exec_lo, s34
; %bb.284:
	v_bfe_u32 v19, v18, 16, 1
	s_delay_alu instid0(VALU_DEP_1)
	v_add3_u32 v19, v18, v19, 0x7fff
                                        ; implicit-def: $vgpr18
; %bb.285:
	s_and_not1_saveexec_b32 s34, s25
; %bb.286:
	v_and_b32_e32 v19, 0xffff, v18
	v_or_b32_e32 v20, 0x10000, v18
	s_delay_alu instid0(VALU_DEP_2) | instskip(NEXT) | instid1(VALU_DEP_1)
	v_cmp_eq_u32_e64 s25, 0, v19
	v_cndmask_b32_e64 v19, v20, v18, s25
; %bb.287:
	s_or_b32 exec_lo, exec_lo, s34
	s_delay_alu instid0(VALU_DEP_1)
	v_lshrrev_b32_e32 v18, 16, v19
.LBB101_288:
	s_or_b32 exec_lo, exec_lo, s31
	s_delay_alu instid0(SALU_CYCLE_1)
	s_mov_b32 s31, exec_lo
	v_cmpx_lt_u32_e32 7, v15
; %bb.289:
	v_lshrrev_b32_e32 v8, 16, v17
	v_and_b32_e32 v11, 1, v14
	s_delay_alu instid0(VALU_DEP_2) | instskip(NEXT) | instid1(VALU_DEP_2)
	v_and_b32_e32 v8, 1, v8
	v_cmp_eq_u32_e64 s25, 1, v11
	s_delay_alu instid0(VALU_DEP_1) | instskip(SKIP_1) | instid1(VALU_DEP_2)
	v_cndmask_b32_e64 v11, v8, 1, s25
	v_dual_mov_b32 v8, v18 :: v_dual_and_b32 v13, 0xffff, v18
	v_dual_mov_b32 v14, v11 :: v_dual_lshlrev_b32 v15, 16, v11
	s_delay_alu instid0(VALU_DEP_1)
	v_or3_b32 v16, v15, v13, v7
	v_mov_b32_e32 v13, v18
; %bb.290:
	s_or_b32 exec_lo, exec_lo, s31
	ds_swizzle_b32 v15, v16 offset:swizzle(BROADCAST,32,15)
	v_and_b32_e32 v16, 0xff, v14
	s_mov_b32 s31, exec_lo
	s_delay_alu instid0(VALU_DEP_1)
	v_cmpx_eq_u16_e32 0, v16
	s_cbranch_execz .LBB101_296
; %bb.291:
	s_waitcnt lgkmcnt(0)
	v_lshlrev_b32_e32 v16, 16, v15
	v_lshlrev_b32_e32 v13, 16, v13
	s_delay_alu instid0(VALU_DEP_1) | instskip(NEXT) | instid1(VALU_DEP_1)
	v_add_f32_e32 v13, v13, v16
	v_and_b32_e32 v16, 0x7f800000, v13
	s_delay_alu instid0(VALU_DEP_1) | instskip(NEXT) | instid1(VALU_DEP_1)
	v_cmp_ne_u32_e64 s25, 0x7f800000, v16
                                        ; implicit-def: $vgpr16
	s_and_saveexec_b32 s34, s25
	s_delay_alu instid0(SALU_CYCLE_1)
	s_xor_b32 s25, exec_lo, s34
; %bb.292:
	v_bfe_u32 v16, v13, 16, 1
	s_delay_alu instid0(VALU_DEP_1)
	v_add3_u32 v16, v13, v16, 0x7fff
                                        ; implicit-def: $vgpr13
; %bb.293:
	s_and_not1_saveexec_b32 s34, s25
; %bb.294:
	v_and_b32_e32 v16, 0xffff, v13
	v_or_b32_e32 v17, 0x10000, v13
	s_delay_alu instid0(VALU_DEP_2) | instskip(NEXT) | instid1(VALU_DEP_1)
	v_cmp_eq_u32_e64 s25, 0, v16
	v_cndmask_b32_e64 v16, v17, v13, s25
; %bb.295:
	s_or_b32 exec_lo, exec_lo, s34
	s_delay_alu instid0(VALU_DEP_1)
	v_lshrrev_b32_e32 v13, 16, v16
.LBB101_296:
	s_or_b32 exec_lo, exec_lo, s31
	s_waitcnt lgkmcnt(0)
	v_lshrrev_b32_e32 v15, 16, v15
	v_and_b32_e32 v14, 1, v14
	v_and_b32_e32 v16, 16, v12
	s_mov_b32 s31, exec_lo
	s_delay_alu instid0(VALU_DEP_3) | instskip(NEXT) | instid1(VALU_DEP_3)
	v_and_b32_e32 v15, 1, v15
	v_cmp_eq_u32_e64 s25, 1, v14
	s_delay_alu instid0(VALU_DEP_1) | instskip(SKIP_1) | instid1(VALU_DEP_1)
	v_cndmask_b32_e64 v14, v15, 1, s25
	v_cmp_eq_u32_e64 s25, 0, v16
	v_cndmask_b32_e64 v8, v13, v8, s25
	s_delay_alu instid0(VALU_DEP_3) | instskip(SKIP_1) | instid1(VALU_DEP_3)
	v_cndmask_b32_e64 v11, v14, v11, s25
	v_add_nc_u32_e32 v13, -1, v12
	v_and_b32_e32 v8, 0xffff, v8
	s_delay_alu instid0(VALU_DEP_3) | instskip(NEXT) | instid1(VALU_DEP_3)
	v_and_b32_e32 v11, 0xff, v11
	v_cmp_gt_i32_e64 s25, 0, v13
	s_delay_alu instid0(VALU_DEP_2) | instskip(NEXT) | instid1(VALU_DEP_2)
	v_lshlrev_b32_e32 v11, 16, v11
	v_cndmask_b32_e64 v12, v13, v12, s25
	s_delay_alu instid0(VALU_DEP_2) | instskip(NEXT) | instid1(VALU_DEP_2)
	v_or3_b32 v7, v11, v8, v7
	v_lshlrev_b32_e32 v8, 2, v12
	ds_bpermute_b32 v7, v8, v7
	v_and_b32_e32 v8, 0xff0000, v4
	s_delay_alu instid0(VALU_DEP_1)
	v_cmpx_eq_u32_e32 0, v8
	s_cbranch_execz .LBB101_302
; %bb.297:
	s_waitcnt lgkmcnt(0)
	v_lshlrev_b32_e32 v4, 16, v7
	s_delay_alu instid0(VALU_DEP_1) | instskip(NEXT) | instid1(VALU_DEP_1)
	v_add_f32_e32 v4, v5, v4
	v_and_b32_e32 v5, 0x7f800000, v4
	s_delay_alu instid0(VALU_DEP_1) | instskip(NEXT) | instid1(VALU_DEP_1)
	v_cmp_ne_u32_e64 s25, 0x7f800000, v5
                                        ; implicit-def: $vgpr5
	s_and_saveexec_b32 s34, s25
	s_delay_alu instid0(SALU_CYCLE_1)
	s_xor_b32 s25, exec_lo, s34
; %bb.298:
	v_bfe_u32 v5, v4, 16, 1
	s_delay_alu instid0(VALU_DEP_1)
	v_add3_u32 v5, v4, v5, 0x7fff
                                        ; implicit-def: $vgpr4
; %bb.299:
	s_and_not1_saveexec_b32 s34, s25
; %bb.300:
	v_and_b32_e32 v5, 0xffff, v4
	v_or_b32_e32 v8, 0x10000, v4
	s_delay_alu instid0(VALU_DEP_2) | instskip(NEXT) | instid1(VALU_DEP_1)
	v_cmp_eq_u32_e64 s25, 0, v5
	v_cndmask_b32_e64 v5, v8, v4, s25
; %bb.301:
	s_or_b32 exec_lo, exec_lo, s34
	s_delay_alu instid0(VALU_DEP_1)
	v_lshrrev_b32_e32 v4, 16, v5
.LBB101_302:
	s_or_b32 exec_lo, exec_lo, s31
	s_waitcnt lgkmcnt(0)
	v_lshrrev_b32_e32 v5, 16, v7
	v_cmp_eq_u32_e64 s25, 0, v6
	s_delay_alu instid0(VALU_DEP_2) | instskip(NEXT) | instid1(VALU_DEP_1)
	v_and_b32_e32 v5, 1, v5
	v_cndmask_b32_e64 v6, 1, v5, s25
	v_cmp_eq_u32_e64 s25, 0, v0
	s_delay_alu instid0(VALU_DEP_1) | instskip(NEXT) | instid1(VALU_DEP_3)
	v_cndmask_b32_e64 v5, v4, v9, s25
	v_cndmask_b32_e64 v4, v6, v10, s25
	ds_store_b16 v1, v5
	ds_store_b8 v1, v4 offset:2
	s_and_saveexec_b32 s25, s23
	s_cbranch_execz .LBB101_308
; %bb.303:
	v_lshlrev_b32_e32 v2, 16, v5
	s_delay_alu instid0(VALU_DEP_1) | instskip(NEXT) | instid1(VALU_DEP_1)
	v_add_f32_e32 v2, v3, v2
	v_and_b32_e32 v3, 0x7f800000, v2
	s_delay_alu instid0(VALU_DEP_1) | instskip(NEXT) | instid1(VALU_DEP_1)
	v_cmp_ne_u32_e64 s23, 0x7f800000, v3
                                        ; implicit-def: $vgpr3
	s_and_saveexec_b32 s31, s23
	s_delay_alu instid0(SALU_CYCLE_1)
	s_xor_b32 s23, exec_lo, s31
; %bb.304:
	v_bfe_u32 v3, v2, 16, 1
	s_delay_alu instid0(VALU_DEP_1)
	v_add3_u32 v3, v2, v3, 0x7fff
                                        ; implicit-def: $vgpr2
; %bb.305:
	s_and_not1_saveexec_b32 s31, s23
; %bb.306:
	v_and_b32_e32 v3, 0xffff, v2
	v_or_b32_e32 v5, 0x10000, v2
	s_delay_alu instid0(VALU_DEP_2) | instskip(NEXT) | instid1(VALU_DEP_1)
	v_cmp_eq_u32_e64 s23, 0, v3
	v_cndmask_b32_e64 v3, v5, v2, s23
; %bb.307:
	s_or_b32 exec_lo, exec_lo, s31
	s_delay_alu instid0(VALU_DEP_1)
	v_lshrrev_b32_e32 v2, 16, v3
.LBB101_308:
	s_or_b32 exec_lo, exec_lo, s25
	v_cndmask_b32_e64 v3, v4, 1, s24
	ds_store_b16 v1, v2 offset:4
	ds_store_b8 v1, v3 offset:6
.LBB101_309:
	s_or_b32 exec_lo, exec_lo, s30
	v_cmp_eq_u32_e64 s24, 0, v0
	v_cmp_ne_u32_e64 s23, 0, v0
	s_waitcnt lgkmcnt(0)
	s_barrier
	buffer_gl0_inv
	s_and_saveexec_b32 s25, s23
	s_cbranch_execz .LBB101_311
; %bb.310:
	v_add_nc_u32_e32 v1, -1, v0
	s_delay_alu instid0(VALU_DEP_1) | instskip(NEXT) | instid1(VALU_DEP_1)
	v_lshrrev_b32_e32 v2, 5, v1
	v_add_lshl_u32 v1, v2, v1, 2
	ds_load_u16 v9, v1
	ds_load_u8 v10, v1 offset:2
.LBB101_311:
	s_or_b32 exec_lo, exec_lo, s25
	s_and_saveexec_b32 s34, vcc_lo
	s_cbranch_execz .LBB101_422
; %bb.312:
	v_mov_b32_e32 v3, 0
	v_mbcnt_lo_u32_b32 v18, -1, 0
	s_mov_b32 s31, 0
	ds_load_b32 v1, v3 offset:256
	v_cmp_eq_u32_e64 s25, 0, v18
	s_waitcnt lgkmcnt(0)
	v_readfirstlane_b32 s35, v1
	s_delay_alu instid0(VALU_DEP_2)
	s_and_saveexec_b32 s40, s25
	s_cbranch_execz .LBB101_314
; %bb.313:
	s_add_i32 s30, s15, 32
	s_delay_alu instid0(VALU_DEP_1) | instskip(SKIP_1) | instid1(SALU_CYCLE_1)
	v_dual_mov_b32 v1, s35 :: v_dual_mov_b32 v2, 1
	s_lshl_b64 s[30:31], s[30:31], 3
	s_add_u32 s30, s36, s30
	s_addc_u32 s31, s37, s31
	global_store_b64 v3, v[1:2], s[30:31]
.LBB101_314:
	s_or_b32 exec_lo, exec_lo, s40
	v_xad_u32 v1, v18, -1, s15
	s_mov_b32 s30, exec_lo
	s_delay_alu instid0(VALU_DEP_1) | instskip(NEXT) | instid1(VALU_DEP_1)
	v_add_nc_u32_e32 v2, 32, v1
	v_lshlrev_b64 v[2:3], 3, v[2:3]
	s_delay_alu instid0(VALU_DEP_1) | instskip(NEXT) | instid1(VALU_DEP_2)
	v_add_co_u32 v7, vcc_lo, s36, v2
	v_add_co_ci_u32_e32 v8, vcc_lo, s37, v3, vcc_lo
	global_load_b64 v[3:4], v[7:8], off glc
	s_waitcnt vmcnt(0)
	v_dual_mov_b32 v6, v4 :: v_dual_mov_b32 v5, v3
	v_and_b32_e32 v2, 0xff, v4
	s_delay_alu instid0(VALU_DEP_1)
	v_cmpx_eq_u16_e32 0, v2
	s_cbranch_execz .LBB101_318
; %bb.315:
	s_mov_b32 s31, 0
.LBB101_316:                            ; =>This Inner Loop Header: Depth=1
	global_load_b64 v[3:4], v[7:8], off glc
	s_waitcnt vmcnt(0)
	v_and_b32_e32 v2, 0xff, v4
	s_delay_alu instid0(VALU_DEP_1) | instskip(SKIP_1) | instid1(SALU_CYCLE_1)
	v_cmp_ne_u16_e32 vcc_lo, 0, v2
	s_or_b32 s31, vcc_lo, s31
	s_and_not1_b32 exec_lo, exec_lo, s31
	s_cbranch_execnz .LBB101_316
; %bb.317:
	s_or_b32 exec_lo, exec_lo, s31
	v_dual_mov_b32 v6, v4 :: v_dual_mov_b32 v5, v3
.LBB101_318:
	s_or_b32 exec_lo, exec_lo, s30
	v_cmp_ne_u32_e32 vcc_lo, 31, v18
	s_delay_alu instid0(VALU_DEP_2) | instskip(SKIP_4) | instid1(VALU_DEP_4)
	v_and_b32_e32 v20, 0xffffff, v5
	v_and_b32_e32 v3, 0xff, v4
	v_lshlrev_b32_e64 v8, v18, -1
	v_add_nc_u32_e32 v11, 1, v18
	v_add_co_ci_u32_e32 v2, vcc_lo, 0, v18, vcc_lo
	v_cmp_eq_u16_e32 vcc_lo, 2, v3
	v_lshrrev_b32_e32 v6, 16, v5
	v_bfe_u32 v3, v5, 16, 8
	s_delay_alu instid0(VALU_DEP_4) | instskip(SKIP_4) | instid1(VALU_DEP_1)
	v_lshlrev_b32_e32 v7, 2, v2
	s_mov_b32 s30, exec_lo
	v_and_or_b32 v2, vcc_lo, v8, 0x80000000
	ds_bpermute_b32 v12, v7, v20
	v_ctz_i32_b32_e32 v2, v2
	v_cmpx_le_u32_e64 v11, v2
	s_cbranch_execz .LBB101_326
; %bb.319:
	v_and_b32_e32 v3, 0xff0000, v5
	s_mov_b32 s31, exec_lo
	s_delay_alu instid0(VALU_DEP_1)
	v_cmpx_eq_u32_e32 0, v3
	s_cbranch_execz .LBB101_325
; %bb.320:
	s_waitcnt lgkmcnt(0)
	v_lshlrev_b32_e32 v6, 16, v12
	v_lshlrev_b32_e32 v5, 16, v5
	s_delay_alu instid0(VALU_DEP_1) | instskip(NEXT) | instid1(VALU_DEP_1)
	v_add_f32_e32 v5, v5, v6
	v_and_b32_e32 v6, 0x7f800000, v5
	s_delay_alu instid0(VALU_DEP_1) | instskip(SKIP_1) | instid1(SALU_CYCLE_1)
	v_cmp_ne_u32_e32 vcc_lo, 0x7f800000, v6
                                        ; implicit-def: $vgpr6
	s_and_saveexec_b32 s40, vcc_lo
	s_xor_b32 s40, exec_lo, s40
; %bb.321:
	v_bfe_u32 v6, v5, 16, 1
	s_delay_alu instid0(VALU_DEP_1)
	v_add3_u32 v6, v5, v6, 0x7fff
                                        ; implicit-def: $vgpr5
; %bb.322:
	s_and_not1_saveexec_b32 s40, s40
; %bb.323:
	v_and_b32_e32 v6, 0xffff, v5
	v_or_b32_e32 v13, 0x10000, v5
	s_delay_alu instid0(VALU_DEP_2) | instskip(NEXT) | instid1(VALU_DEP_2)
	v_cmp_eq_u32_e32 vcc_lo, 0, v6
	v_cndmask_b32_e32 v6, v13, v5, vcc_lo
; %bb.324:
	s_or_b32 exec_lo, exec_lo, s40
	s_delay_alu instid0(VALU_DEP_1)
	v_lshrrev_b32_e32 v5, 16, v6
.LBB101_325:
	s_or_b32 exec_lo, exec_lo, s31
	s_waitcnt lgkmcnt(0)
	v_lshrrev_b32_e32 v6, 16, v12
	v_and_b32_e32 v3, 0x10000, v3
	s_delay_alu instid0(VALU_DEP_2) | instskip(NEXT) | instid1(VALU_DEP_2)
	v_and_b32_e32 v6, 1, v6
	v_cmp_ne_u32_e32 vcc_lo, 0, v3
	s_delay_alu instid0(VALU_DEP_2) | instskip(SKIP_1) | instid1(VALU_DEP_2)
	v_cndmask_b32_e64 v3, v6, 1, vcc_lo
	v_and_b32_e32 v6, 0xffff, v5
	v_lshlrev_b32_e32 v12, 16, v3
	s_delay_alu instid0(VALU_DEP_1)
	v_or_b32_e32 v20, v12, v6
	v_mov_b32_e32 v6, v3
.LBB101_326:
	s_or_b32 exec_lo, exec_lo, s30
	v_cmp_gt_u32_e32 vcc_lo, 30, v18
	v_add_nc_u32_e32 v13, 2, v18
	s_mov_b32 s30, exec_lo
	s_waitcnt lgkmcnt(0)
	v_cndmask_b32_e64 v12, 0, 1, vcc_lo
	s_delay_alu instid0(VALU_DEP_1) | instskip(NEXT) | instid1(VALU_DEP_1)
	v_lshlrev_b32_e32 v12, 1, v12
	v_add_lshl_u32 v12, v12, v18, 2
	ds_bpermute_b32 v14, v12, v20
	v_cmpx_le_u32_e64 v13, v2
	s_cbranch_execz .LBB101_334
; %bb.327:
	s_mov_b32 s31, exec_lo
	v_cmpx_eq_u16_e32 0, v3
	s_cbranch_execz .LBB101_333
; %bb.328:
	s_waitcnt lgkmcnt(0)
	v_lshlrev_b32_e32 v6, 16, v14
	v_lshlrev_b32_e32 v5, 16, v5
	s_delay_alu instid0(VALU_DEP_1) | instskip(NEXT) | instid1(VALU_DEP_1)
	v_add_f32_e32 v5, v5, v6
	v_and_b32_e32 v6, 0x7f800000, v5
	s_delay_alu instid0(VALU_DEP_1) | instskip(SKIP_1) | instid1(SALU_CYCLE_1)
	v_cmp_ne_u32_e32 vcc_lo, 0x7f800000, v6
                                        ; implicit-def: $vgpr6
	s_and_saveexec_b32 s40, vcc_lo
	s_xor_b32 s40, exec_lo, s40
; %bb.329:
	v_bfe_u32 v6, v5, 16, 1
	s_delay_alu instid0(VALU_DEP_1)
	v_add3_u32 v6, v5, v6, 0x7fff
                                        ; implicit-def: $vgpr5
; %bb.330:
	s_and_not1_saveexec_b32 s40, s40
; %bb.331:
	v_and_b32_e32 v6, 0xffff, v5
	v_or_b32_e32 v15, 0x10000, v5
	s_delay_alu instid0(VALU_DEP_2) | instskip(NEXT) | instid1(VALU_DEP_2)
	v_cmp_eq_u32_e32 vcc_lo, 0, v6
	v_cndmask_b32_e32 v6, v15, v5, vcc_lo
; %bb.332:
	s_or_b32 exec_lo, exec_lo, s40
	s_delay_alu instid0(VALU_DEP_1)
	v_lshrrev_b32_e32 v5, 16, v6
.LBB101_333:
	s_or_b32 exec_lo, exec_lo, s31
	s_waitcnt lgkmcnt(0)
	v_lshrrev_b32_e32 v6, 16, v14
	v_and_b32_e32 v3, 1, v3
	s_delay_alu instid0(VALU_DEP_2) | instskip(NEXT) | instid1(VALU_DEP_2)
	v_and_b32_e32 v6, 1, v6
	v_cmp_eq_u32_e32 vcc_lo, 1, v3
	s_delay_alu instid0(VALU_DEP_2) | instskip(SKIP_1) | instid1(VALU_DEP_2)
	v_cndmask_b32_e64 v3, v6, 1, vcc_lo
	v_and_b32_e32 v6, 0xffff, v5
	v_lshlrev_b32_e32 v14, 16, v3
	s_delay_alu instid0(VALU_DEP_1)
	v_or_b32_e32 v20, v14, v6
	v_mov_b32_e32 v6, v3
.LBB101_334:
	s_or_b32 exec_lo, exec_lo, s30
	v_cmp_gt_u32_e32 vcc_lo, 28, v18
	v_add_nc_u32_e32 v15, 4, v18
	s_mov_b32 s30, exec_lo
	s_waitcnt lgkmcnt(0)
	v_cndmask_b32_e64 v14, 0, 1, vcc_lo
	s_delay_alu instid0(VALU_DEP_1) | instskip(NEXT) | instid1(VALU_DEP_1)
	v_lshlrev_b32_e32 v14, 2, v14
	v_add_lshl_u32 v14, v14, v18, 2
	ds_bpermute_b32 v16, v14, v20
	v_cmpx_le_u32_e64 v15, v2
	s_cbranch_execz .LBB101_342
; %bb.335:
	s_mov_b32 s31, exec_lo
	v_cmpx_eq_u16_e32 0, v3
	s_cbranch_execz .LBB101_341
; %bb.336:
	s_waitcnt lgkmcnt(0)
	v_lshlrev_b32_e32 v6, 16, v16
	v_lshlrev_b32_e32 v5, 16, v5
	s_delay_alu instid0(VALU_DEP_1) | instskip(NEXT) | instid1(VALU_DEP_1)
	v_add_f32_e32 v5, v5, v6
	v_and_b32_e32 v6, 0x7f800000, v5
	s_delay_alu instid0(VALU_DEP_1) | instskip(SKIP_1) | instid1(SALU_CYCLE_1)
	v_cmp_ne_u32_e32 vcc_lo, 0x7f800000, v6
                                        ; implicit-def: $vgpr6
	s_and_saveexec_b32 s40, vcc_lo
	s_xor_b32 s40, exec_lo, s40
; %bb.337:
	v_bfe_u32 v6, v5, 16, 1
	s_delay_alu instid0(VALU_DEP_1)
	v_add3_u32 v6, v5, v6, 0x7fff
                                        ; implicit-def: $vgpr5
; %bb.338:
	s_and_not1_saveexec_b32 s40, s40
; %bb.339:
	v_and_b32_e32 v6, 0xffff, v5
	v_or_b32_e32 v17, 0x10000, v5
	s_delay_alu instid0(VALU_DEP_2) | instskip(NEXT) | instid1(VALU_DEP_2)
	v_cmp_eq_u32_e32 vcc_lo, 0, v6
	v_cndmask_b32_e32 v6, v17, v5, vcc_lo
; %bb.340:
	s_or_b32 exec_lo, exec_lo, s40
	s_delay_alu instid0(VALU_DEP_1)
	v_lshrrev_b32_e32 v5, 16, v6
.LBB101_341:
	s_or_b32 exec_lo, exec_lo, s31
	s_waitcnt lgkmcnt(0)
	v_lshrrev_b32_e32 v6, 16, v16
	v_and_b32_e32 v3, 1, v3
	s_delay_alu instid0(VALU_DEP_2) | instskip(NEXT) | instid1(VALU_DEP_2)
	v_and_b32_e32 v6, 1, v6
	v_cmp_eq_u32_e32 vcc_lo, 1, v3
	s_delay_alu instid0(VALU_DEP_2) | instskip(SKIP_1) | instid1(VALU_DEP_2)
	v_cndmask_b32_e64 v3, v6, 1, vcc_lo
	v_and_b32_e32 v6, 0xffff, v5
	v_lshlrev_b32_e32 v16, 16, v3
	s_delay_alu instid0(VALU_DEP_1)
	v_or_b32_e32 v20, v16, v6
	v_mov_b32_e32 v6, v3
.LBB101_342:
	;; [unrolled: 61-line block ×3, first 2 shown]
	s_or_b32 exec_lo, exec_lo, s30
	v_cmp_gt_u32_e32 vcc_lo, 16, v18
	v_add_nc_u32_e32 v21, 16, v18
	s_mov_b32 s30, exec_lo
	s_waitcnt lgkmcnt(0)
	v_cndmask_b32_e64 v19, 0, 1, vcc_lo
	s_delay_alu instid0(VALU_DEP_1) | instskip(NEXT) | instid1(VALU_DEP_1)
	v_lshlrev_b32_e32 v19, 4, v19
	v_add_lshl_u32 v19, v19, v18, 2
	ds_bpermute_b32 v20, v19, v20
	v_cmpx_le_u32_e64 v21, v2
	s_cbranch_execz .LBB101_358
; %bb.351:
	s_mov_b32 s31, exec_lo
	v_cmpx_eq_u16_e32 0, v3
	s_cbranch_execz .LBB101_357
; %bb.352:
	s_waitcnt lgkmcnt(0)
	v_lshlrev_b32_e32 v2, 16, v20
	v_lshlrev_b32_e32 v5, 16, v5
	s_delay_alu instid0(VALU_DEP_1) | instskip(NEXT) | instid1(VALU_DEP_1)
	v_add_f32_e32 v2, v5, v2
	v_and_b32_e32 v5, 0x7f800000, v2
	s_delay_alu instid0(VALU_DEP_1) | instskip(SKIP_1) | instid1(SALU_CYCLE_1)
	v_cmp_ne_u32_e32 vcc_lo, 0x7f800000, v5
                                        ; implicit-def: $vgpr5
	s_and_saveexec_b32 s40, vcc_lo
	s_xor_b32 s40, exec_lo, s40
; %bb.353:
	v_bfe_u32 v5, v2, 16, 1
	s_delay_alu instid0(VALU_DEP_1)
	v_add3_u32 v5, v2, v5, 0x7fff
                                        ; implicit-def: $vgpr2
; %bb.354:
	s_and_not1_saveexec_b32 s40, s40
; %bb.355:
	v_and_b32_e32 v5, 0xffff, v2
	v_or_b32_e32 v6, 0x10000, v2
	s_delay_alu instid0(VALU_DEP_2) | instskip(NEXT) | instid1(VALU_DEP_2)
	v_cmp_eq_u32_e32 vcc_lo, 0, v5
	v_cndmask_b32_e32 v5, v6, v2, vcc_lo
; %bb.356:
	s_or_b32 exec_lo, exec_lo, s40
	s_delay_alu instid0(VALU_DEP_1)
	v_lshrrev_b32_e32 v5, 16, v5
.LBB101_357:
	s_or_b32 exec_lo, exec_lo, s31
	s_waitcnt lgkmcnt(0)
	v_lshrrev_b32_e32 v2, 16, v20
	v_and_b32_e32 v3, 1, v3
	s_delay_alu instid0(VALU_DEP_2) | instskip(NEXT) | instid1(VALU_DEP_2)
	v_and_b32_e32 v2, 1, v2
	v_cmp_eq_u32_e32 vcc_lo, 1, v3
	s_delay_alu instid0(VALU_DEP_2)
	v_cndmask_b32_e64 v6, v2, 1, vcc_lo
.LBB101_358:
	s_or_b32 exec_lo, exec_lo, s30
	v_mov_b32_e32 v2, 0
	s_branch .LBB101_360
.LBB101_359:                            ;   in Loop: Header=BB101_360 Depth=1
                                        ; implicit-def: $vgpr6
                                        ; implicit-def: $vgpr5
                                        ; implicit-def: $vgpr4
	s_cbranch_execnz .LBB101_412
.LBB101_360:                            ; =>This Loop Header: Depth=1
                                        ;     Child Loop BB101_363 Depth 2
	s_delay_alu instid0(VALU_DEP_1) | instskip(SKIP_2) | instid1(VALU_DEP_2)
	v_dual_mov_b32 v18, v6 :: v_dual_and_b32 v3, 0xff, v4
	s_waitcnt lgkmcnt(0)
	v_mov_b32_e32 v20, v5
	v_cmp_ne_u16_e32 vcc_lo, 2, v3
	v_cndmask_b32_e64 v3, 0, 1, vcc_lo
	;;#ASMSTART
	;;#ASMEND
	s_delay_alu instid0(VALU_DEP_1)
	v_cmp_ne_u32_e32 vcc_lo, 0, v3
	s_cmp_lg_u32 vcc_lo, exec_lo
	s_cbranch_scc1 .LBB101_359
; %bb.361:                              ;   in Loop: Header=BB101_360 Depth=1
	v_lshlrev_b64 v[3:4], 3, v[1:2]
	s_mov_b32 s30, exec_lo
	s_delay_alu instid0(VALU_DEP_1) | instskip(NEXT) | instid1(VALU_DEP_2)
	v_add_co_u32 v5, vcc_lo, s36, v3
	v_add_co_ci_u32_e32 v6, vcc_lo, s37, v4, vcc_lo
	global_load_b64 v[3:4], v[5:6], off glc
	s_waitcnt vmcnt(0)
	v_and_b32_e32 v23, 0xff, v4
	s_delay_alu instid0(VALU_DEP_1)
	v_cmpx_eq_u16_e32 0, v23
	s_cbranch_execz .LBB101_365
; %bb.362:                              ;   in Loop: Header=BB101_360 Depth=1
	s_mov_b32 s31, 0
.LBB101_363:                            ;   Parent Loop BB101_360 Depth=1
                                        ; =>  This Inner Loop Header: Depth=2
	global_load_b64 v[3:4], v[5:6], off glc
	s_waitcnt vmcnt(0)
	v_and_b32_e32 v23, 0xff, v4
	s_delay_alu instid0(VALU_DEP_1) | instskip(SKIP_1) | instid1(SALU_CYCLE_1)
	v_cmp_ne_u16_e32 vcc_lo, 0, v23
	s_or_b32 s31, vcc_lo, s31
	s_and_not1_b32 exec_lo, exec_lo, s31
	s_cbranch_execnz .LBB101_363
; %bb.364:                              ;   in Loop: Header=BB101_360 Depth=1
	s_or_b32 exec_lo, exec_lo, s31
.LBB101_365:                            ;   in Loop: Header=BB101_360 Depth=1
	s_delay_alu instid0(SALU_CYCLE_1)
	s_or_b32 exec_lo, exec_lo, s30
	v_and_b32_e32 v24, 0xffffff, v3
	v_and_b32_e32 v5, 0xff, v4
	v_lshrrev_b32_e32 v23, 16, v3
	v_bfe_u32 v6, v3, 16, 8
	s_mov_b32 s30, exec_lo
	ds_bpermute_b32 v26, v7, v24
	v_cmp_eq_u16_e32 vcc_lo, 2, v5
	v_and_or_b32 v5, vcc_lo, v8, 0x80000000
	s_delay_alu instid0(VALU_DEP_1) | instskip(NEXT) | instid1(VALU_DEP_1)
	v_ctz_i32_b32_e32 v5, v5
	v_cmpx_le_u32_e64 v11, v5
	s_cbranch_execz .LBB101_373
; %bb.366:                              ;   in Loop: Header=BB101_360 Depth=1
	v_and_b32_e32 v6, 0xff0000, v3
	s_mov_b32 s31, exec_lo
	s_delay_alu instid0(VALU_DEP_1)
	v_cmpx_eq_u32_e32 0, v6
	s_cbranch_execz .LBB101_372
; %bb.367:                              ;   in Loop: Header=BB101_360 Depth=1
	s_waitcnt lgkmcnt(0)
	v_lshlrev_b32_e32 v23, 16, v26
	v_lshlrev_b32_e32 v3, 16, v3
	s_delay_alu instid0(VALU_DEP_1) | instskip(NEXT) | instid1(VALU_DEP_1)
	v_add_f32_e32 v3, v3, v23
	v_and_b32_e32 v23, 0x7f800000, v3
	s_delay_alu instid0(VALU_DEP_1) | instskip(SKIP_1) | instid1(SALU_CYCLE_1)
	v_cmp_ne_u32_e32 vcc_lo, 0x7f800000, v23
                                        ; implicit-def: $vgpr23
	s_and_saveexec_b32 s40, vcc_lo
	s_xor_b32 s40, exec_lo, s40
; %bb.368:                              ;   in Loop: Header=BB101_360 Depth=1
	v_bfe_u32 v23, v3, 16, 1
	s_delay_alu instid0(VALU_DEP_1)
	v_add3_u32 v23, v3, v23, 0x7fff
                                        ; implicit-def: $vgpr3
; %bb.369:                              ;   in Loop: Header=BB101_360 Depth=1
	s_and_not1_saveexec_b32 s40, s40
; %bb.370:                              ;   in Loop: Header=BB101_360 Depth=1
	v_and_b32_e32 v23, 0xffff, v3
	v_or_b32_e32 v24, 0x10000, v3
	s_delay_alu instid0(VALU_DEP_2) | instskip(NEXT) | instid1(VALU_DEP_2)
	v_cmp_eq_u32_e32 vcc_lo, 0, v23
	v_cndmask_b32_e32 v23, v24, v3, vcc_lo
; %bb.371:                              ;   in Loop: Header=BB101_360 Depth=1
	s_or_b32 exec_lo, exec_lo, s40
	s_delay_alu instid0(VALU_DEP_1)
	v_lshrrev_b32_e32 v3, 16, v23
.LBB101_372:                            ;   in Loop: Header=BB101_360 Depth=1
	s_or_b32 exec_lo, exec_lo, s31
	s_waitcnt lgkmcnt(0)
	v_lshrrev_b32_e32 v23, 16, v26
	v_and_b32_e32 v6, 0x10000, v6
	s_delay_alu instid0(VALU_DEP_2) | instskip(NEXT) | instid1(VALU_DEP_2)
	v_and_b32_e32 v23, 1, v23
	v_cmp_ne_u32_e32 vcc_lo, 0, v6
	s_delay_alu instid0(VALU_DEP_2) | instskip(SKIP_1) | instid1(VALU_DEP_2)
	v_cndmask_b32_e64 v6, v23, 1, vcc_lo
	v_and_b32_e32 v23, 0xffff, v3
	v_lshlrev_b32_e32 v24, 16, v6
	s_delay_alu instid0(VALU_DEP_1)
	v_or_b32_e32 v24, v24, v23
	v_mov_b32_e32 v23, v6
.LBB101_373:                            ;   in Loop: Header=BB101_360 Depth=1
	s_or_b32 exec_lo, exec_lo, s30
	s_waitcnt lgkmcnt(0)
	ds_bpermute_b32 v26, v12, v24
	s_mov_b32 s30, exec_lo
	v_cmpx_le_u32_e64 v13, v5
	s_cbranch_execz .LBB101_381
; %bb.374:                              ;   in Loop: Header=BB101_360 Depth=1
	s_mov_b32 s31, exec_lo
	v_cmpx_eq_u16_e32 0, v6
	s_cbranch_execz .LBB101_380
; %bb.375:                              ;   in Loop: Header=BB101_360 Depth=1
	s_waitcnt lgkmcnt(0)
	v_lshlrev_b32_e32 v23, 16, v26
	v_lshlrev_b32_e32 v3, 16, v3
	s_delay_alu instid0(VALU_DEP_1) | instskip(NEXT) | instid1(VALU_DEP_1)
	v_add_f32_e32 v3, v3, v23
	v_and_b32_e32 v23, 0x7f800000, v3
	s_delay_alu instid0(VALU_DEP_1) | instskip(SKIP_1) | instid1(SALU_CYCLE_1)
	v_cmp_ne_u32_e32 vcc_lo, 0x7f800000, v23
                                        ; implicit-def: $vgpr23
	s_and_saveexec_b32 s40, vcc_lo
	s_xor_b32 s40, exec_lo, s40
; %bb.376:                              ;   in Loop: Header=BB101_360 Depth=1
	v_bfe_u32 v23, v3, 16, 1
	s_delay_alu instid0(VALU_DEP_1)
	v_add3_u32 v23, v3, v23, 0x7fff
                                        ; implicit-def: $vgpr3
; %bb.377:                              ;   in Loop: Header=BB101_360 Depth=1
	s_and_not1_saveexec_b32 s40, s40
; %bb.378:                              ;   in Loop: Header=BB101_360 Depth=1
	v_and_b32_e32 v23, 0xffff, v3
	v_or_b32_e32 v24, 0x10000, v3
	s_delay_alu instid0(VALU_DEP_2) | instskip(NEXT) | instid1(VALU_DEP_2)
	v_cmp_eq_u32_e32 vcc_lo, 0, v23
	v_cndmask_b32_e32 v23, v24, v3, vcc_lo
; %bb.379:                              ;   in Loop: Header=BB101_360 Depth=1
	s_or_b32 exec_lo, exec_lo, s40
	s_delay_alu instid0(VALU_DEP_1)
	v_lshrrev_b32_e32 v3, 16, v23
.LBB101_380:                            ;   in Loop: Header=BB101_360 Depth=1
	s_or_b32 exec_lo, exec_lo, s31
	s_waitcnt lgkmcnt(0)
	v_lshrrev_b32_e32 v23, 16, v26
	v_and_b32_e32 v6, 1, v6
	s_delay_alu instid0(VALU_DEP_2) | instskip(NEXT) | instid1(VALU_DEP_2)
	v_and_b32_e32 v23, 1, v23
	v_cmp_eq_u32_e32 vcc_lo, 1, v6
	s_delay_alu instid0(VALU_DEP_2) | instskip(SKIP_1) | instid1(VALU_DEP_2)
	v_cndmask_b32_e64 v6, v23, 1, vcc_lo
	v_and_b32_e32 v23, 0xffff, v3
	v_lshlrev_b32_e32 v24, 16, v6
	s_delay_alu instid0(VALU_DEP_1)
	v_or_b32_e32 v24, v24, v23
	v_mov_b32_e32 v23, v6
.LBB101_381:                            ;   in Loop: Header=BB101_360 Depth=1
	s_or_b32 exec_lo, exec_lo, s30
	s_waitcnt lgkmcnt(0)
	ds_bpermute_b32 v26, v14, v24
	s_mov_b32 s30, exec_lo
	v_cmpx_le_u32_e64 v15, v5
	s_cbranch_execz .LBB101_389
; %bb.382:                              ;   in Loop: Header=BB101_360 Depth=1
	s_mov_b32 s31, exec_lo
	v_cmpx_eq_u16_e32 0, v6
	s_cbranch_execz .LBB101_388
; %bb.383:                              ;   in Loop: Header=BB101_360 Depth=1
	s_waitcnt lgkmcnt(0)
	v_lshlrev_b32_e32 v23, 16, v26
	v_lshlrev_b32_e32 v3, 16, v3
	s_delay_alu instid0(VALU_DEP_1) | instskip(NEXT) | instid1(VALU_DEP_1)
	v_add_f32_e32 v3, v3, v23
	v_and_b32_e32 v23, 0x7f800000, v3
	s_delay_alu instid0(VALU_DEP_1) | instskip(SKIP_1) | instid1(SALU_CYCLE_1)
	v_cmp_ne_u32_e32 vcc_lo, 0x7f800000, v23
                                        ; implicit-def: $vgpr23
	s_and_saveexec_b32 s40, vcc_lo
	s_xor_b32 s40, exec_lo, s40
; %bb.384:                              ;   in Loop: Header=BB101_360 Depth=1
	v_bfe_u32 v23, v3, 16, 1
	s_delay_alu instid0(VALU_DEP_1)
	v_add3_u32 v23, v3, v23, 0x7fff
                                        ; implicit-def: $vgpr3
; %bb.385:                              ;   in Loop: Header=BB101_360 Depth=1
	s_and_not1_saveexec_b32 s40, s40
; %bb.386:                              ;   in Loop: Header=BB101_360 Depth=1
	v_and_b32_e32 v23, 0xffff, v3
	v_or_b32_e32 v24, 0x10000, v3
	s_delay_alu instid0(VALU_DEP_2) | instskip(NEXT) | instid1(VALU_DEP_2)
	v_cmp_eq_u32_e32 vcc_lo, 0, v23
	v_cndmask_b32_e32 v23, v24, v3, vcc_lo
; %bb.387:                              ;   in Loop: Header=BB101_360 Depth=1
	s_or_b32 exec_lo, exec_lo, s40
	s_delay_alu instid0(VALU_DEP_1)
	v_lshrrev_b32_e32 v3, 16, v23
.LBB101_388:                            ;   in Loop: Header=BB101_360 Depth=1
	s_or_b32 exec_lo, exec_lo, s31
	s_waitcnt lgkmcnt(0)
	v_lshrrev_b32_e32 v23, 16, v26
	v_and_b32_e32 v6, 1, v6
	s_delay_alu instid0(VALU_DEP_2) | instskip(NEXT) | instid1(VALU_DEP_2)
	v_and_b32_e32 v23, 1, v23
	v_cmp_eq_u32_e32 vcc_lo, 1, v6
	s_delay_alu instid0(VALU_DEP_2) | instskip(SKIP_1) | instid1(VALU_DEP_2)
	v_cndmask_b32_e64 v6, v23, 1, vcc_lo
	v_and_b32_e32 v23, 0xffff, v3
	v_lshlrev_b32_e32 v24, 16, v6
	s_delay_alu instid0(VALU_DEP_1)
	v_or_b32_e32 v24, v24, v23
	v_mov_b32_e32 v23, v6
.LBB101_389:                            ;   in Loop: Header=BB101_360 Depth=1
	;; [unrolled: 55-line block ×3, first 2 shown]
	s_or_b32 exec_lo, exec_lo, s30
	ds_bpermute_b32 v24, v19, v24
	s_mov_b32 s30, exec_lo
	v_cmpx_le_u32_e64 v21, v5
	s_cbranch_execz .LBB101_405
; %bb.398:                              ;   in Loop: Header=BB101_360 Depth=1
	s_mov_b32 s31, exec_lo
	v_cmpx_eq_u16_e32 0, v6
	s_cbranch_execz .LBB101_404
; %bb.399:                              ;   in Loop: Header=BB101_360 Depth=1
	s_waitcnt lgkmcnt(0)
	v_lshlrev_b32_e32 v5, 16, v24
	v_lshlrev_b32_e32 v3, 16, v3
	s_delay_alu instid0(VALU_DEP_1) | instskip(NEXT) | instid1(VALU_DEP_1)
	v_add_f32_e32 v3, v3, v5
	v_and_b32_e32 v5, 0x7f800000, v3
	s_delay_alu instid0(VALU_DEP_1) | instskip(SKIP_1) | instid1(SALU_CYCLE_1)
	v_cmp_ne_u32_e32 vcc_lo, 0x7f800000, v5
                                        ; implicit-def: $vgpr5
	s_and_saveexec_b32 s40, vcc_lo
	s_xor_b32 s40, exec_lo, s40
; %bb.400:                              ;   in Loop: Header=BB101_360 Depth=1
	v_bfe_u32 v5, v3, 16, 1
	s_delay_alu instid0(VALU_DEP_1)
	v_add3_u32 v5, v3, v5, 0x7fff
                                        ; implicit-def: $vgpr3
; %bb.401:                              ;   in Loop: Header=BB101_360 Depth=1
	s_and_not1_saveexec_b32 s40, s40
; %bb.402:                              ;   in Loop: Header=BB101_360 Depth=1
	v_and_b32_e32 v5, 0xffff, v3
	v_or_b32_e32 v23, 0x10000, v3
	s_delay_alu instid0(VALU_DEP_2) | instskip(NEXT) | instid1(VALU_DEP_2)
	v_cmp_eq_u32_e32 vcc_lo, 0, v5
	v_cndmask_b32_e32 v5, v23, v3, vcc_lo
; %bb.403:                              ;   in Loop: Header=BB101_360 Depth=1
	s_or_b32 exec_lo, exec_lo, s40
	s_delay_alu instid0(VALU_DEP_1)
	v_lshrrev_b32_e32 v3, 16, v5
.LBB101_404:                            ;   in Loop: Header=BB101_360 Depth=1
	s_or_b32 exec_lo, exec_lo, s31
	v_and_b32_e32 v5, 1, v6
	s_waitcnt lgkmcnt(0)
	v_lshrrev_b32_e32 v6, 16, v24
	s_delay_alu instid0(VALU_DEP_2) | instskip(NEXT) | instid1(VALU_DEP_2)
	v_cmp_eq_u32_e32 vcc_lo, 1, v5
	v_cndmask_b32_e64 v23, v6, 1, vcc_lo
.LBB101_405:                            ;   in Loop: Header=BB101_360 Depth=1
	s_or_b32 exec_lo, exec_lo, s30
	v_and_b32_e32 v5, 0xff, v18
	s_delay_alu instid0(VALU_DEP_1)
	v_cmp_eq_u16_e32 vcc_lo, 0, v5
	v_mov_b32_e32 v5, v20
	s_and_saveexec_b32 s30, vcc_lo
	s_cbranch_execz .LBB101_411
; %bb.406:                              ;   in Loop: Header=BB101_360 Depth=1
	v_lshlrev_b32_e32 v3, 16, v3
	v_lshlrev_b32_e32 v5, 16, v20
	s_delay_alu instid0(VALU_DEP_1) | instskip(NEXT) | instid1(VALU_DEP_1)
	v_add_f32_e32 v3, v5, v3
	v_and_b32_e32 v5, 0x7f800000, v3
	s_delay_alu instid0(VALU_DEP_1) | instskip(SKIP_1) | instid1(SALU_CYCLE_1)
	v_cmp_ne_u32_e32 vcc_lo, 0x7f800000, v5
                                        ; implicit-def: $vgpr5
	s_and_saveexec_b32 s31, vcc_lo
	s_xor_b32 s31, exec_lo, s31
; %bb.407:                              ;   in Loop: Header=BB101_360 Depth=1
	v_bfe_u32 v5, v3, 16, 1
	s_delay_alu instid0(VALU_DEP_1)
	v_add3_u32 v5, v3, v5, 0x7fff
                                        ; implicit-def: $vgpr3
; %bb.408:                              ;   in Loop: Header=BB101_360 Depth=1
	s_and_not1_saveexec_b32 s31, s31
; %bb.409:                              ;   in Loop: Header=BB101_360 Depth=1
	v_and_b32_e32 v5, 0xffff, v3
	v_or_b32_e32 v6, 0x10000, v3
	s_delay_alu instid0(VALU_DEP_2) | instskip(NEXT) | instid1(VALU_DEP_2)
	v_cmp_eq_u32_e32 vcc_lo, 0, v5
	v_cndmask_b32_e32 v5, v6, v3, vcc_lo
; %bb.410:                              ;   in Loop: Header=BB101_360 Depth=1
	s_or_b32 exec_lo, exec_lo, s31
	s_delay_alu instid0(VALU_DEP_1)
	v_lshrrev_b32_e32 v5, 16, v5
.LBB101_411:                            ;   in Loop: Header=BB101_360 Depth=1
	s_or_b32 exec_lo, exec_lo, s30
	v_and_b32_e32 v3, 1, v18
	v_and_b32_e32 v6, 1, v23
	v_subrev_nc_u32_e32 v1, 32, v1
	s_delay_alu instid0(VALU_DEP_3) | instskip(NEXT) | instid1(VALU_DEP_3)
	v_cmp_eq_u32_e32 vcc_lo, 1, v3
	v_cndmask_b32_e64 v6, v6, 1, vcc_lo
	s_branch .LBB101_360
.LBB101_412:
	s_and_saveexec_b32 s30, s25
	s_cbranch_execz .LBB101_420
; %bb.413:
	v_mov_b32_e32 v1, s35
	s_and_b32 s25, s35, 0xff0000
	s_delay_alu instid0(SALU_CYCLE_1)
	s_cmp_lg_u32 s25, 0
	s_cbranch_scc1 .LBB101_419
; %bb.414:
	v_lshlrev_b32_e32 v1, 16, v20
	s_lshl_b32 s25, s35, 16
	s_delay_alu instid0(VALU_DEP_1) | instid1(SALU_CYCLE_1)
	v_add_f32_e32 v1, s25, v1
	s_delay_alu instid0(VALU_DEP_1) | instskip(NEXT) | instid1(VALU_DEP_1)
	v_and_b32_e32 v2, 0x7f800000, v1
	v_cmp_ne_u32_e32 vcc_lo, 0x7f800000, v2
                                        ; implicit-def: $vgpr2
	s_and_saveexec_b32 s25, vcc_lo
	s_delay_alu instid0(SALU_CYCLE_1)
	s_xor_b32 s25, exec_lo, s25
; %bb.415:
	v_bfe_u32 v2, v1, 16, 1
	s_delay_alu instid0(VALU_DEP_1)
	v_add3_u32 v2, v1, v2, 0x7fff
                                        ; implicit-def: $vgpr1
; %bb.416:
	s_and_not1_saveexec_b32 s25, s25
; %bb.417:
	v_and_b32_e32 v2, 0xffff, v1
	v_or_b32_e32 v3, 0x10000, v1
	s_delay_alu instid0(VALU_DEP_2) | instskip(NEXT) | instid1(VALU_DEP_2)
	v_cmp_eq_u32_e32 vcc_lo, 0, v2
	v_cndmask_b32_e32 v2, v3, v1, vcc_lo
; %bb.418:
	s_or_b32 exec_lo, exec_lo, s25
	s_delay_alu instid0(VALU_DEP_1)
	v_lshrrev_b32_e32 v1, 16, v2
.LBB101_419:
	v_dual_mov_b32 v3, 0 :: v_dual_and_b32 v2, 1, v18
	s_bitcmp0_b32 s35, 16
	s_mov_b32 s41, 0
	s_cselect_b32 vcc_lo, -1, 0
	s_delay_alu instid0(VALU_DEP_1) | instskip(SKIP_1) | instid1(SALU_CYCLE_1)
	v_lshlrev_b32_e32 v2, 16, v2
	s_add_i32 s40, s15, 32
	s_lshl_b64 s[40:41], s[40:41], 3
	s_delay_alu instid0(SALU_CYCLE_1) | instskip(NEXT) | instid1(VALU_DEP_1)
	s_add_u32 s40, s36, s40
	v_cndmask_b32_e32 v2, 0x10000, v2, vcc_lo
	s_addc_u32 s41, s37, s41
	s_delay_alu instid0(VALU_DEP_1)
	v_and_or_b32 v1, 0xffff, v1, v2
	v_mov_b32_e32 v2, 2
	global_store_b64 v3, v[1:2], s[40:41]
.LBB101_420:
	s_or_b32 exec_lo, exec_lo, s30
	s_delay_alu instid0(SALU_CYCLE_1)
	s_and_b32 exec_lo, exec_lo, s24
	s_cbranch_execz .LBB101_422
; %bb.421:
	v_mov_b32_e32 v1, 0
	ds_store_b16 v1, v20
	ds_store_b8 v1, v18 offset:2
.LBB101_422:
	s_or_b32 exec_lo, exec_lo, s34
	v_mov_b32_e32 v1, 0
	s_waitcnt lgkmcnt(0)
	s_waitcnt_vscnt null, 0x0
	s_barrier
	buffer_gl0_inv
	ds_load_b32 v24, v1
	s_and_saveexec_b32 s15, s23
	s_cbranch_execz .LBB101_430
; %bb.423:
	v_and_b32_e32 v1, 0xff, v10
	s_mov_b32 s23, exec_lo
	s_delay_alu instid0(VALU_DEP_1)
	v_cmpx_eq_u16_e32 0, v1
	s_cbranch_execz .LBB101_429
; %bb.424:
	s_waitcnt lgkmcnt(0)
	v_lshlrev_b32_e32 v1, 16, v24
	v_lshlrev_b32_e32 v2, 16, v9
	s_delay_alu instid0(VALU_DEP_1) | instskip(NEXT) | instid1(VALU_DEP_1)
	v_add_f32_e32 v1, v2, v1
	v_and_b32_e32 v2, 0x7f800000, v1
	s_delay_alu instid0(VALU_DEP_1) | instskip(SKIP_1) | instid1(SALU_CYCLE_1)
	v_cmp_ne_u32_e32 vcc_lo, 0x7f800000, v2
                                        ; implicit-def: $vgpr2
	s_and_saveexec_b32 s24, vcc_lo
	s_xor_b32 s24, exec_lo, s24
; %bb.425:
	v_bfe_u32 v2, v1, 16, 1
	s_delay_alu instid0(VALU_DEP_1)
	v_add3_u32 v2, v1, v2, 0x7fff
                                        ; implicit-def: $vgpr1
; %bb.426:
	s_and_not1_saveexec_b32 s24, s24
; %bb.427:
	v_and_b32_e32 v2, 0xffff, v1
	v_or_b32_e32 v3, 0x10000, v1
	s_delay_alu instid0(VALU_DEP_2) | instskip(NEXT) | instid1(VALU_DEP_2)
	v_cmp_eq_u32_e32 vcc_lo, 0, v2
	v_cndmask_b32_e32 v2, v3, v1, vcc_lo
; %bb.428:
	s_or_b32 exec_lo, exec_lo, s24
	s_delay_alu instid0(VALU_DEP_1)
	v_lshrrev_b32_e32 v9, 16, v2
.LBB101_429:
	s_or_b32 exec_lo, exec_lo, s23
	s_waitcnt lgkmcnt(0)
	s_delay_alu instid0(VALU_DEP_1)
	v_mov_b32_e32 v24, v9
.LBB101_430:
	s_or_b32 exec_lo, exec_lo, s15
	v_dual_mov_b32 v12, v25 :: v_dual_and_b32 v1, 0xff0000, v25
	s_mov_b32 s15, exec_lo
	s_delay_alu instid0(VALU_DEP_1)
	v_cmpx_eq_u32_e32 0, v1
	s_cbranch_execz .LBB101_436
; %bb.431:
	s_waitcnt lgkmcnt(0)
	v_lshlrev_b32_e32 v1, 16, v24
	v_lshlrev_b32_e32 v2, 16, v25
	s_delay_alu instid0(VALU_DEP_1) | instskip(NEXT) | instid1(VALU_DEP_1)
	v_add_f32_e32 v1, v2, v1
	v_and_b32_e32 v2, 0x7f800000, v1
	s_delay_alu instid0(VALU_DEP_1) | instskip(SKIP_1) | instid1(SALU_CYCLE_1)
	v_cmp_ne_u32_e32 vcc_lo, 0x7f800000, v2
                                        ; implicit-def: $vgpr2
	s_and_saveexec_b32 s23, vcc_lo
	s_xor_b32 s23, exec_lo, s23
; %bb.432:
	v_bfe_u32 v2, v1, 16, 1
	s_delay_alu instid0(VALU_DEP_1)
	v_add3_u32 v2, v1, v2, 0x7fff
                                        ; implicit-def: $vgpr1
; %bb.433:
	s_and_not1_saveexec_b32 s23, s23
; %bb.434:
	v_and_b32_e32 v2, 0xffff, v1
	v_or_b32_e32 v3, 0x10000, v1
	s_delay_alu instid0(VALU_DEP_2) | instskip(NEXT) | instid1(VALU_DEP_2)
	v_cmp_eq_u32_e32 vcc_lo, 0, v2
	v_cndmask_b32_e32 v2, v3, v1, vcc_lo
; %bb.435:
	s_or_b32 exec_lo, exec_lo, s23
	s_delay_alu instid0(VALU_DEP_1)
	v_lshrrev_b32_e32 v12, 16, v2
.LBB101_436:
	s_or_b32 exec_lo, exec_lo, s15
	v_mov_b32_e32 v1, v42
	s_and_saveexec_b32 s15, s2
	s_cbranch_execz .LBB101_442
; %bb.437:
	v_lshlrev_b32_e32 v1, 16, v12
	v_lshlrev_b32_e32 v2, 16, v42
	s_delay_alu instid0(VALU_DEP_1) | instskip(NEXT) | instid1(VALU_DEP_1)
	v_add_f32_e32 v1, v2, v1
	v_and_b32_e32 v2, 0x7f800000, v1
	s_delay_alu instid0(VALU_DEP_1) | instskip(SKIP_1) | instid1(SALU_CYCLE_1)
	v_cmp_ne_u32_e32 vcc_lo, 0x7f800000, v2
                                        ; implicit-def: $vgpr2
	s_and_saveexec_b32 s2, vcc_lo
	s_xor_b32 s2, exec_lo, s2
; %bb.438:
	v_bfe_u32 v2, v1, 16, 1
	s_delay_alu instid0(VALU_DEP_1)
	v_add3_u32 v2, v1, v2, 0x7fff
                                        ; implicit-def: $vgpr1
; %bb.439:
	s_and_not1_saveexec_b32 s2, s2
; %bb.440:
	v_and_b32_e32 v2, 0xffff, v1
	v_or_b32_e32 v3, 0x10000, v1
	s_delay_alu instid0(VALU_DEP_2) | instskip(NEXT) | instid1(VALU_DEP_2)
	v_cmp_eq_u32_e32 vcc_lo, 0, v2
	v_cndmask_b32_e32 v2, v3, v1, vcc_lo
; %bb.441:
	s_or_b32 exec_lo, exec_lo, s2
	s_delay_alu instid0(VALU_DEP_1)
	v_lshrrev_b32_e32 v1, 16, v2
.LBB101_442:
	s_or_b32 exec_lo, exec_lo, s15
	s_delay_alu instid0(VALU_DEP_1)
	v_and_b32_e32 v13, 0xffff, v1
	v_mov_b32_e32 v1, v37
	s_and_saveexec_b32 s2, s3
	s_cbranch_execz .LBB101_448
; %bb.443:
	s_delay_alu instid0(VALU_DEP_2) | instskip(SKIP_1) | instid1(VALU_DEP_1)
	v_lshlrev_b32_e32 v1, 16, v13
	v_lshlrev_b32_e32 v2, 16, v37
	v_add_f32_e32 v1, v2, v1
	s_delay_alu instid0(VALU_DEP_1) | instskip(NEXT) | instid1(VALU_DEP_1)
	v_and_b32_e32 v2, 0x7f800000, v1
	v_cmp_ne_u32_e32 vcc_lo, 0x7f800000, v2
                                        ; implicit-def: $vgpr2
	s_and_saveexec_b32 s3, vcc_lo
	s_delay_alu instid0(SALU_CYCLE_1)
	s_xor_b32 s3, exec_lo, s3
; %bb.444:
	v_bfe_u32 v2, v1, 16, 1
	s_delay_alu instid0(VALU_DEP_1)
	v_add3_u32 v2, v1, v2, 0x7fff
                                        ; implicit-def: $vgpr1
; %bb.445:
	s_and_not1_saveexec_b32 s3, s3
; %bb.446:
	v_and_b32_e32 v2, 0xffff, v1
	v_or_b32_e32 v3, 0x10000, v1
	s_delay_alu instid0(VALU_DEP_2) | instskip(NEXT) | instid1(VALU_DEP_2)
	v_cmp_eq_u32_e32 vcc_lo, 0, v2
	v_cndmask_b32_e32 v2, v3, v1, vcc_lo
; %bb.447:
	s_or_b32 exec_lo, exec_lo, s3
	s_delay_alu instid0(VALU_DEP_1)
	v_lshrrev_b32_e32 v1, 16, v2
.LBB101_448:
	s_or_b32 exec_lo, exec_lo, s2
	s_delay_alu instid0(VALU_DEP_1)
	v_dual_mov_b32 v1, v33 :: v_dual_and_b32 v2, 0xffff, v1
	s_and_saveexec_b32 s2, s4
	s_cbranch_execz .LBB101_454
; %bb.449:
	s_delay_alu instid0(VALU_DEP_1) | instskip(SKIP_1) | instid1(VALU_DEP_1)
	v_lshlrev_b32_e32 v1, 16, v2
	v_lshlrev_b32_e32 v3, 16, v33
	v_add_f32_e32 v1, v3, v1
	s_delay_alu instid0(VALU_DEP_1) | instskip(NEXT) | instid1(VALU_DEP_1)
	v_and_b32_e32 v3, 0x7f800000, v1
	v_cmp_ne_u32_e32 vcc_lo, 0x7f800000, v3
                                        ; implicit-def: $vgpr3
	s_and_saveexec_b32 s3, vcc_lo
	s_delay_alu instid0(SALU_CYCLE_1)
	s_xor_b32 s3, exec_lo, s3
; %bb.450:
	v_bfe_u32 v3, v1, 16, 1
	s_delay_alu instid0(VALU_DEP_1)
	v_add3_u32 v3, v1, v3, 0x7fff
                                        ; implicit-def: $vgpr1
; %bb.451:
	s_and_not1_saveexec_b32 s3, s3
; %bb.452:
	v_and_b32_e32 v3, 0xffff, v1
	v_or_b32_e32 v4, 0x10000, v1
	s_delay_alu instid0(VALU_DEP_2) | instskip(NEXT) | instid1(VALU_DEP_2)
	v_cmp_eq_u32_e32 vcc_lo, 0, v3
	v_cndmask_b32_e32 v3, v4, v1, vcc_lo
; %bb.453:
	s_or_b32 exec_lo, exec_lo, s3
	s_delay_alu instid0(VALU_DEP_1)
	v_lshrrev_b32_e32 v1, 16, v3
.LBB101_454:
	s_or_b32 exec_lo, exec_lo, s2
	s_delay_alu instid0(VALU_DEP_1)
	v_and_b32_e32 v3, 0xffff, v1
	v_mov_b32_e32 v1, v36
	s_and_saveexec_b32 s2, s5
	s_cbranch_execz .LBB101_460
; %bb.455:
	s_delay_alu instid0(VALU_DEP_2) | instskip(SKIP_1) | instid1(VALU_DEP_1)
	v_lshlrev_b32_e32 v1, 16, v3
	v_lshlrev_b32_e32 v4, 16, v36
	v_add_f32_e32 v1, v4, v1
	s_delay_alu instid0(VALU_DEP_1) | instskip(NEXT) | instid1(VALU_DEP_1)
	v_and_b32_e32 v4, 0x7f800000, v1
	v_cmp_ne_u32_e32 vcc_lo, 0x7f800000, v4
                                        ; implicit-def: $vgpr4
	s_and_saveexec_b32 s3, vcc_lo
	s_delay_alu instid0(SALU_CYCLE_1)
	s_xor_b32 s3, exec_lo, s3
; %bb.456:
	v_bfe_u32 v4, v1, 16, 1
	s_delay_alu instid0(VALU_DEP_1)
	v_add3_u32 v4, v1, v4, 0x7fff
                                        ; implicit-def: $vgpr1
; %bb.457:
	s_and_not1_saveexec_b32 s3, s3
; %bb.458:
	v_and_b32_e32 v4, 0xffff, v1
	v_or_b32_e32 v5, 0x10000, v1
	s_delay_alu instid0(VALU_DEP_2) | instskip(NEXT) | instid1(VALU_DEP_2)
	v_cmp_eq_u32_e32 vcc_lo, 0, v4
	v_cndmask_b32_e32 v4, v5, v1, vcc_lo
; %bb.459:
	s_or_b32 exec_lo, exec_lo, s3
	s_delay_alu instid0(VALU_DEP_1)
	v_lshrrev_b32_e32 v1, 16, v4
.LBB101_460:
	s_or_b32 exec_lo, exec_lo, s2
	s_delay_alu instid0(VALU_DEP_1)
	v_dual_mov_b32 v1, v28 :: v_dual_and_b32 v4, 0xffff, v1
	s_and_saveexec_b32 s2, s6
	s_cbranch_execz .LBB101_466
; %bb.461:
	s_delay_alu instid0(VALU_DEP_1) | instskip(SKIP_1) | instid1(VALU_DEP_1)
	v_lshlrev_b32_e32 v1, 16, v4
	v_lshlrev_b32_e32 v5, 16, v28
	v_add_f32_e32 v1, v5, v1
	s_delay_alu instid0(VALU_DEP_1) | instskip(NEXT) | instid1(VALU_DEP_1)
	v_and_b32_e32 v5, 0x7f800000, v1
	v_cmp_ne_u32_e32 vcc_lo, 0x7f800000, v5
                                        ; implicit-def: $vgpr5
	s_and_saveexec_b32 s3, vcc_lo
	s_delay_alu instid0(SALU_CYCLE_1)
	s_xor_b32 s3, exec_lo, s3
; %bb.462:
	v_bfe_u32 v5, v1, 16, 1
	s_delay_alu instid0(VALU_DEP_1)
	v_add3_u32 v5, v1, v5, 0x7fff
                                        ; implicit-def: $vgpr1
; %bb.463:
	s_and_not1_saveexec_b32 s3, s3
; %bb.464:
	v_and_b32_e32 v5, 0xffff, v1
	v_or_b32_e32 v6, 0x10000, v1
	s_delay_alu instid0(VALU_DEP_2) | instskip(NEXT) | instid1(VALU_DEP_2)
	v_cmp_eq_u32_e32 vcc_lo, 0, v5
	v_cndmask_b32_e32 v5, v6, v1, vcc_lo
; %bb.465:
	s_or_b32 exec_lo, exec_lo, s3
	s_delay_alu instid0(VALU_DEP_1)
	v_lshrrev_b32_e32 v1, 16, v5
.LBB101_466:
	s_or_b32 exec_lo, exec_lo, s2
	s_delay_alu instid0(VALU_DEP_1)
	v_and_b32_e32 v5, 0xffff, v1
	v_mov_b32_e32 v1, v35
	s_and_saveexec_b32 s2, s7
	s_cbranch_execz .LBB101_472
; %bb.467:
	s_delay_alu instid0(VALU_DEP_2) | instskip(SKIP_1) | instid1(VALU_DEP_1)
	v_lshlrev_b32_e32 v1, 16, v5
	v_lshlrev_b32_e32 v6, 16, v35
	v_add_f32_e32 v1, v6, v1
	s_delay_alu instid0(VALU_DEP_1) | instskip(NEXT) | instid1(VALU_DEP_1)
	v_and_b32_e32 v6, 0x7f800000, v1
	v_cmp_ne_u32_e32 vcc_lo, 0x7f800000, v6
                                        ; implicit-def: $vgpr6
	s_and_saveexec_b32 s3, vcc_lo
	s_delay_alu instid0(SALU_CYCLE_1)
	s_xor_b32 s3, exec_lo, s3
; %bb.468:
	v_bfe_u32 v6, v1, 16, 1
	s_delay_alu instid0(VALU_DEP_1)
	v_add3_u32 v6, v1, v6, 0x7fff
                                        ; implicit-def: $vgpr1
; %bb.469:
	s_and_not1_saveexec_b32 s3, s3
; %bb.470:
	v_and_b32_e32 v6, 0xffff, v1
	v_or_b32_e32 v7, 0x10000, v1
	s_delay_alu instid0(VALU_DEP_2) | instskip(NEXT) | instid1(VALU_DEP_2)
	v_cmp_eq_u32_e32 vcc_lo, 0, v6
	v_cndmask_b32_e32 v6, v7, v1, vcc_lo
; %bb.471:
	s_or_b32 exec_lo, exec_lo, s3
	s_delay_alu instid0(VALU_DEP_1)
	v_lshrrev_b32_e32 v1, 16, v6
.LBB101_472:
	s_or_b32 exec_lo, exec_lo, s2
	s_delay_alu instid0(VALU_DEP_1)
	v_dual_mov_b32 v1, v34 :: v_dual_and_b32 v6, 0xffff, v1
	s_and_saveexec_b32 s2, s8
	s_cbranch_execz .LBB101_478
; %bb.473:
	s_delay_alu instid0(VALU_DEP_1) | instskip(SKIP_1) | instid1(VALU_DEP_1)
	v_lshlrev_b32_e32 v1, 16, v6
	v_lshlrev_b32_e32 v7, 16, v34
	v_add_f32_e32 v1, v7, v1
	s_delay_alu instid0(VALU_DEP_1) | instskip(NEXT) | instid1(VALU_DEP_1)
	v_and_b32_e32 v7, 0x7f800000, v1
	v_cmp_ne_u32_e32 vcc_lo, 0x7f800000, v7
                                        ; implicit-def: $vgpr7
	s_and_saveexec_b32 s3, vcc_lo
	s_delay_alu instid0(SALU_CYCLE_1)
	s_xor_b32 s3, exec_lo, s3
; %bb.474:
	v_bfe_u32 v7, v1, 16, 1
	s_delay_alu instid0(VALU_DEP_1)
	v_add3_u32 v7, v1, v7, 0x7fff
                                        ; implicit-def: $vgpr1
; %bb.475:
	s_and_not1_saveexec_b32 s3, s3
; %bb.476:
	v_and_b32_e32 v7, 0xffff, v1
	v_or_b32_e32 v8, 0x10000, v1
	s_delay_alu instid0(VALU_DEP_2) | instskip(NEXT) | instid1(VALU_DEP_2)
	v_cmp_eq_u32_e32 vcc_lo, 0, v7
	v_cndmask_b32_e32 v7, v8, v1, vcc_lo
; %bb.477:
	s_or_b32 exec_lo, exec_lo, s3
	s_delay_alu instid0(VALU_DEP_1)
	v_lshrrev_b32_e32 v1, 16, v7
.LBB101_478:
	s_or_b32 exec_lo, exec_lo, s2
	s_delay_alu instid0(VALU_DEP_1)
	v_and_b32_e32 v7, 0xffff, v1
	v_mov_b32_e32 v1, v38
	s_and_saveexec_b32 s2, s9
	s_cbranch_execz .LBB101_484
; %bb.479:
	s_delay_alu instid0(VALU_DEP_2) | instskip(SKIP_1) | instid1(VALU_DEP_1)
	v_lshlrev_b32_e32 v1, 16, v7
	v_lshlrev_b32_e32 v8, 16, v38
	v_add_f32_e32 v1, v8, v1
	s_delay_alu instid0(VALU_DEP_1) | instskip(NEXT) | instid1(VALU_DEP_1)
	v_and_b32_e32 v8, 0x7f800000, v1
	v_cmp_ne_u32_e32 vcc_lo, 0x7f800000, v8
                                        ; implicit-def: $vgpr8
	s_and_saveexec_b32 s3, vcc_lo
	s_delay_alu instid0(SALU_CYCLE_1)
	s_xor_b32 s3, exec_lo, s3
; %bb.480:
	v_bfe_u32 v8, v1, 16, 1
	s_delay_alu instid0(VALU_DEP_1)
	v_add3_u32 v8, v1, v8, 0x7fff
                                        ; implicit-def: $vgpr1
; %bb.481:
	s_and_not1_saveexec_b32 s3, s3
; %bb.482:
	v_and_b32_e32 v8, 0xffff, v1
	v_or_b32_e32 v9, 0x10000, v1
	s_delay_alu instid0(VALU_DEP_2) | instskip(NEXT) | instid1(VALU_DEP_2)
	v_cmp_eq_u32_e32 vcc_lo, 0, v8
	v_cndmask_b32_e32 v8, v9, v1, vcc_lo
; %bb.483:
	s_or_b32 exec_lo, exec_lo, s3
	s_delay_alu instid0(VALU_DEP_1)
	v_lshrrev_b32_e32 v1, 16, v8
.LBB101_484:
	s_or_b32 exec_lo, exec_lo, s2
	s_delay_alu instid0(VALU_DEP_1)
	v_dual_mov_b32 v1, v39 :: v_dual_and_b32 v8, 0xffff, v1
	s_and_saveexec_b32 s2, s10
	s_cbranch_execz .LBB101_490
; %bb.485:
	s_delay_alu instid0(VALU_DEP_1) | instskip(SKIP_1) | instid1(VALU_DEP_1)
	v_lshlrev_b32_e32 v1, 16, v8
	v_lshlrev_b32_e32 v9, 16, v39
	v_add_f32_e32 v1, v9, v1
	s_delay_alu instid0(VALU_DEP_1) | instskip(NEXT) | instid1(VALU_DEP_1)
	v_and_b32_e32 v9, 0x7f800000, v1
	v_cmp_ne_u32_e32 vcc_lo, 0x7f800000, v9
                                        ; implicit-def: $vgpr9
	s_and_saveexec_b32 s3, vcc_lo
	s_delay_alu instid0(SALU_CYCLE_1)
	s_xor_b32 s3, exec_lo, s3
; %bb.486:
	v_bfe_u32 v9, v1, 16, 1
	s_delay_alu instid0(VALU_DEP_1)
	v_add3_u32 v9, v1, v9, 0x7fff
                                        ; implicit-def: $vgpr1
; %bb.487:
	s_and_not1_saveexec_b32 s3, s3
; %bb.488:
	v_and_b32_e32 v9, 0xffff, v1
	v_or_b32_e32 v10, 0x10000, v1
	s_delay_alu instid0(VALU_DEP_2) | instskip(NEXT) | instid1(VALU_DEP_2)
	v_cmp_eq_u32_e32 vcc_lo, 0, v9
	v_cndmask_b32_e32 v9, v10, v1, vcc_lo
; %bb.489:
	s_or_b32 exec_lo, exec_lo, s3
	s_delay_alu instid0(VALU_DEP_1)
	v_lshrrev_b32_e32 v1, 16, v9
.LBB101_490:
	s_or_b32 exec_lo, exec_lo, s2
	s_delay_alu instid0(VALU_DEP_1)
	v_and_b32_e32 v9, 0xffff, v1
	v_mov_b32_e32 v1, v40
	s_and_saveexec_b32 s2, s11
	s_cbranch_execz .LBB101_496
; %bb.491:
	s_delay_alu instid0(VALU_DEP_2) | instskip(SKIP_1) | instid1(VALU_DEP_1)
	v_lshlrev_b32_e32 v1, 16, v9
	v_lshlrev_b32_e32 v10, 16, v40
	v_add_f32_e32 v1, v10, v1
	s_delay_alu instid0(VALU_DEP_1) | instskip(NEXT) | instid1(VALU_DEP_1)
	v_and_b32_e32 v10, 0x7f800000, v1
	v_cmp_ne_u32_e32 vcc_lo, 0x7f800000, v10
                                        ; implicit-def: $vgpr10
	s_and_saveexec_b32 s3, vcc_lo
	s_delay_alu instid0(SALU_CYCLE_1)
	s_xor_b32 s3, exec_lo, s3
; %bb.492:
	v_bfe_u32 v10, v1, 16, 1
	s_delay_alu instid0(VALU_DEP_1)
	v_add3_u32 v10, v1, v10, 0x7fff
                                        ; implicit-def: $vgpr1
; %bb.493:
	s_and_not1_saveexec_b32 s3, s3
; %bb.494:
	v_and_b32_e32 v10, 0xffff, v1
	v_or_b32_e32 v11, 0x10000, v1
	s_delay_alu instid0(VALU_DEP_2) | instskip(NEXT) | instid1(VALU_DEP_2)
	v_cmp_eq_u32_e32 vcc_lo, 0, v10
	v_cndmask_b32_e32 v10, v11, v1, vcc_lo
; %bb.495:
	s_or_b32 exec_lo, exec_lo, s3
	s_delay_alu instid0(VALU_DEP_1)
	v_lshrrev_b32_e32 v1, 16, v10
.LBB101_496:
	s_or_b32 exec_lo, exec_lo, s2
	s_delay_alu instid0(VALU_DEP_1)
	v_dual_mov_b32 v1, v41 :: v_dual_and_b32 v10, 0xffff, v1
	s_and_saveexec_b32 s2, s12
	s_cbranch_execz .LBB101_502
; %bb.497:
	s_delay_alu instid0(VALU_DEP_1) | instskip(SKIP_1) | instid1(VALU_DEP_1)
	v_lshlrev_b32_e32 v1, 16, v10
	v_lshlrev_b32_e32 v11, 16, v41
	v_add_f32_e32 v1, v11, v1
	s_delay_alu instid0(VALU_DEP_1) | instskip(NEXT) | instid1(VALU_DEP_1)
	v_and_b32_e32 v11, 0x7f800000, v1
	v_cmp_ne_u32_e32 vcc_lo, 0x7f800000, v11
                                        ; implicit-def: $vgpr11
	s_and_saveexec_b32 s3, vcc_lo
	s_delay_alu instid0(SALU_CYCLE_1)
	s_xor_b32 s3, exec_lo, s3
; %bb.498:
	v_bfe_u32 v11, v1, 16, 1
	s_delay_alu instid0(VALU_DEP_1)
	v_add3_u32 v11, v1, v11, 0x7fff
                                        ; implicit-def: $vgpr1
; %bb.499:
	s_and_not1_saveexec_b32 s3, s3
; %bb.500:
	v_and_b32_e32 v11, 0xffff, v1
	v_or_b32_e32 v14, 0x10000, v1
	s_delay_alu instid0(VALU_DEP_2) | instskip(NEXT) | instid1(VALU_DEP_2)
	v_cmp_eq_u32_e32 vcc_lo, 0, v11
	v_cndmask_b32_e32 v11, v14, v1, vcc_lo
; %bb.501:
	s_or_b32 exec_lo, exec_lo, s3
	s_delay_alu instid0(VALU_DEP_1)
	v_lshrrev_b32_e32 v1, 16, v11
.LBB101_502:
	s_or_b32 exec_lo, exec_lo, s2
	s_delay_alu instid0(VALU_DEP_1)
	v_and_b32_e32 v11, 0xffff, v1
	v_mov_b32_e32 v1, v43
	s_and_saveexec_b32 s2, s13
	s_cbranch_execz .LBB101_508
; %bb.503:
	s_delay_alu instid0(VALU_DEP_2) | instskip(SKIP_1) | instid1(VALU_DEP_1)
	v_lshlrev_b32_e32 v1, 16, v11
	v_lshlrev_b32_e32 v14, 16, v43
	v_add_f32_e32 v1, v14, v1
	s_delay_alu instid0(VALU_DEP_1) | instskip(NEXT) | instid1(VALU_DEP_1)
	v_and_b32_e32 v14, 0x7f800000, v1
	v_cmp_ne_u32_e32 vcc_lo, 0x7f800000, v14
                                        ; implicit-def: $vgpr14
	s_and_saveexec_b32 s3, vcc_lo
	s_delay_alu instid0(SALU_CYCLE_1)
	s_xor_b32 s3, exec_lo, s3
; %bb.504:
	v_bfe_u32 v14, v1, 16, 1
	s_delay_alu instid0(VALU_DEP_1)
	v_add3_u32 v14, v1, v14, 0x7fff
                                        ; implicit-def: $vgpr1
; %bb.505:
	s_and_not1_saveexec_b32 s3, s3
; %bb.506:
	v_and_b32_e32 v14, 0xffff, v1
	v_or_b32_e32 v15, 0x10000, v1
	s_delay_alu instid0(VALU_DEP_2) | instskip(NEXT) | instid1(VALU_DEP_2)
	v_cmp_eq_u32_e32 vcc_lo, 0, v14
	v_cndmask_b32_e32 v14, v15, v1, vcc_lo
; %bb.507:
	s_or_b32 exec_lo, exec_lo, s3
	s_delay_alu instid0(VALU_DEP_1)
	v_lshrrev_b32_e32 v1, 16, v14
.LBB101_508:
	s_or_b32 exec_lo, exec_lo, s2
	s_delay_alu instid0(VALU_DEP_1)
	v_dual_mov_b32 v1, v44 :: v_dual_and_b32 v14, 0xffff, v1
	s_and_saveexec_b32 s2, s14
	s_cbranch_execz .LBB101_514
; %bb.509:
	s_delay_alu instid0(VALU_DEP_1) | instskip(SKIP_1) | instid1(VALU_DEP_1)
	v_lshlrev_b32_e32 v1, 16, v14
	v_lshlrev_b32_e32 v15, 16, v44
	v_add_f32_e32 v1, v15, v1
	s_delay_alu instid0(VALU_DEP_1) | instskip(NEXT) | instid1(VALU_DEP_1)
	v_and_b32_e32 v15, 0x7f800000, v1
	v_cmp_ne_u32_e32 vcc_lo, 0x7f800000, v15
                                        ; implicit-def: $vgpr15
	s_and_saveexec_b32 s3, vcc_lo
	s_delay_alu instid0(SALU_CYCLE_1)
	s_xor_b32 s3, exec_lo, s3
; %bb.510:
	v_bfe_u32 v15, v1, 16, 1
	s_delay_alu instid0(VALU_DEP_1)
	v_add3_u32 v15, v1, v15, 0x7fff
                                        ; implicit-def: $vgpr1
; %bb.511:
	s_and_not1_saveexec_b32 s3, s3
; %bb.512:
	v_and_b32_e32 v15, 0xffff, v1
	v_or_b32_e32 v16, 0x10000, v1
	s_delay_alu instid0(VALU_DEP_2) | instskip(NEXT) | instid1(VALU_DEP_2)
	v_cmp_eq_u32_e32 vcc_lo, 0, v15
	v_cndmask_b32_e32 v15, v16, v1, vcc_lo
; %bb.513:
	s_or_b32 exec_lo, exec_lo, s3
	s_delay_alu instid0(VALU_DEP_1)
	v_lshrrev_b32_e32 v1, 16, v15
.LBB101_514:
	s_or_b32 exec_lo, exec_lo, s2
	s_delay_alu instid0(VALU_DEP_1)
	v_and_b32_e32 v15, 0xffff, v1
	v_mov_b32_e32 v1, v45
	s_and_saveexec_b32 s2, s16
	s_cbranch_execz .LBB101_520
; %bb.515:
	s_delay_alu instid0(VALU_DEP_2) | instskip(SKIP_1) | instid1(VALU_DEP_1)
	v_lshlrev_b32_e32 v1, 16, v15
	v_lshlrev_b32_e32 v16, 16, v45
	v_add_f32_e32 v1, v16, v1
	s_delay_alu instid0(VALU_DEP_1) | instskip(NEXT) | instid1(VALU_DEP_1)
	v_and_b32_e32 v16, 0x7f800000, v1
	v_cmp_ne_u32_e32 vcc_lo, 0x7f800000, v16
                                        ; implicit-def: $vgpr16
	s_and_saveexec_b32 s3, vcc_lo
	s_delay_alu instid0(SALU_CYCLE_1)
	s_xor_b32 s3, exec_lo, s3
; %bb.516:
	v_bfe_u32 v16, v1, 16, 1
	s_delay_alu instid0(VALU_DEP_1)
	v_add3_u32 v16, v1, v16, 0x7fff
                                        ; implicit-def: $vgpr1
; %bb.517:
	s_and_not1_saveexec_b32 s3, s3
; %bb.518:
	v_and_b32_e32 v16, 0xffff, v1
	v_or_b32_e32 v17, 0x10000, v1
	s_delay_alu instid0(VALU_DEP_2) | instskip(NEXT) | instid1(VALU_DEP_2)
	v_cmp_eq_u32_e32 vcc_lo, 0, v16
	v_cndmask_b32_e32 v16, v17, v1, vcc_lo
; %bb.519:
	s_or_b32 exec_lo, exec_lo, s3
	s_delay_alu instid0(VALU_DEP_1)
	v_lshrrev_b32_e32 v1, 16, v16
.LBB101_520:
	s_or_b32 exec_lo, exec_lo, s2
	s_delay_alu instid0(VALU_DEP_1)
	v_dual_mov_b32 v1, v46 :: v_dual_and_b32 v16, 0xffff, v1
	s_and_saveexec_b32 s2, s17
	s_cbranch_execz .LBB101_526
; %bb.521:
	s_delay_alu instid0(VALU_DEP_1) | instskip(SKIP_1) | instid1(VALU_DEP_1)
	v_lshlrev_b32_e32 v1, 16, v16
	v_lshlrev_b32_e32 v17, 16, v46
	v_add_f32_e32 v1, v17, v1
	s_delay_alu instid0(VALU_DEP_1) | instskip(NEXT) | instid1(VALU_DEP_1)
	v_and_b32_e32 v17, 0x7f800000, v1
	v_cmp_ne_u32_e32 vcc_lo, 0x7f800000, v17
                                        ; implicit-def: $vgpr17
	s_and_saveexec_b32 s3, vcc_lo
	s_delay_alu instid0(SALU_CYCLE_1)
	s_xor_b32 s3, exec_lo, s3
; %bb.522:
	v_bfe_u32 v17, v1, 16, 1
	s_delay_alu instid0(VALU_DEP_1)
	v_add3_u32 v17, v1, v17, 0x7fff
                                        ; implicit-def: $vgpr1
; %bb.523:
	s_and_not1_saveexec_b32 s3, s3
; %bb.524:
	v_and_b32_e32 v17, 0xffff, v1
	v_or_b32_e32 v18, 0x10000, v1
	s_delay_alu instid0(VALU_DEP_2) | instskip(NEXT) | instid1(VALU_DEP_2)
	v_cmp_eq_u32_e32 vcc_lo, 0, v17
	v_cndmask_b32_e32 v17, v18, v1, vcc_lo
; %bb.525:
	s_or_b32 exec_lo, exec_lo, s3
	s_delay_alu instid0(VALU_DEP_1)
	v_lshrrev_b32_e32 v1, 16, v17
.LBB101_526:
	s_or_b32 exec_lo, exec_lo, s2
	s_delay_alu instid0(VALU_DEP_1)
	v_and_b32_e32 v17, 0xffff, v1
	v_mov_b32_e32 v1, v47
	s_and_saveexec_b32 s2, s18
	s_cbranch_execz .LBB101_532
; %bb.527:
	s_delay_alu instid0(VALU_DEP_2) | instskip(SKIP_1) | instid1(VALU_DEP_1)
	v_lshlrev_b32_e32 v1, 16, v17
	v_lshlrev_b32_e32 v18, 16, v47
	v_add_f32_e32 v1, v18, v1
	s_delay_alu instid0(VALU_DEP_1) | instskip(NEXT) | instid1(VALU_DEP_1)
	v_and_b32_e32 v18, 0x7f800000, v1
	v_cmp_ne_u32_e32 vcc_lo, 0x7f800000, v18
                                        ; implicit-def: $vgpr18
	s_and_saveexec_b32 s3, vcc_lo
	s_delay_alu instid0(SALU_CYCLE_1)
	s_xor_b32 s3, exec_lo, s3
; %bb.528:
	v_bfe_u32 v18, v1, 16, 1
	s_delay_alu instid0(VALU_DEP_1)
	v_add3_u32 v18, v1, v18, 0x7fff
                                        ; implicit-def: $vgpr1
; %bb.529:
	s_and_not1_saveexec_b32 s3, s3
; %bb.530:
	v_and_b32_e32 v18, 0xffff, v1
	v_or_b32_e32 v19, 0x10000, v1
	s_delay_alu instid0(VALU_DEP_2) | instskip(NEXT) | instid1(VALU_DEP_2)
	v_cmp_eq_u32_e32 vcc_lo, 0, v18
	v_cndmask_b32_e32 v18, v19, v1, vcc_lo
; %bb.531:
	s_or_b32 exec_lo, exec_lo, s3
	s_delay_alu instid0(VALU_DEP_1)
	v_lshrrev_b32_e32 v1, 16, v18
.LBB101_532:
	s_or_b32 exec_lo, exec_lo, s2
	s_delay_alu instid0(VALU_DEP_1)
	v_dual_mov_b32 v1, v48 :: v_dual_and_b32 v18, 0xffff, v1
	s_and_saveexec_b32 s2, s19
	s_cbranch_execz .LBB101_538
; %bb.533:
	s_delay_alu instid0(VALU_DEP_1) | instskip(SKIP_1) | instid1(VALU_DEP_1)
	v_lshlrev_b32_e32 v1, 16, v18
	v_lshlrev_b32_e32 v19, 16, v48
	v_add_f32_e32 v1, v19, v1
	s_delay_alu instid0(VALU_DEP_1) | instskip(NEXT) | instid1(VALU_DEP_1)
	v_and_b32_e32 v19, 0x7f800000, v1
	v_cmp_ne_u32_e32 vcc_lo, 0x7f800000, v19
                                        ; implicit-def: $vgpr19
	s_and_saveexec_b32 s3, vcc_lo
	s_delay_alu instid0(SALU_CYCLE_1)
	s_xor_b32 s3, exec_lo, s3
; %bb.534:
	v_bfe_u32 v19, v1, 16, 1
	s_delay_alu instid0(VALU_DEP_1)
	v_add3_u32 v19, v1, v19, 0x7fff
                                        ; implicit-def: $vgpr1
; %bb.535:
	s_and_not1_saveexec_b32 s3, s3
; %bb.536:
	v_and_b32_e32 v19, 0xffff, v1
	v_or_b32_e32 v20, 0x10000, v1
	s_delay_alu instid0(VALU_DEP_2) | instskip(NEXT) | instid1(VALU_DEP_2)
	v_cmp_eq_u32_e32 vcc_lo, 0, v19
	v_cndmask_b32_e32 v19, v20, v1, vcc_lo
; %bb.537:
	s_or_b32 exec_lo, exec_lo, s3
	s_delay_alu instid0(VALU_DEP_1)
	v_lshrrev_b32_e32 v1, 16, v19
.LBB101_538:
	s_or_b32 exec_lo, exec_lo, s2
	s_delay_alu instid0(VALU_DEP_1)
	v_and_b32_e32 v19, 0xffff, v1
	v_mov_b32_e32 v1, v31
	s_and_saveexec_b32 s2, s20
	s_cbranch_execz .LBB101_544
; %bb.539:
	s_delay_alu instid0(VALU_DEP_2) | instskip(SKIP_1) | instid1(VALU_DEP_1)
	v_lshlrev_b32_e32 v1, 16, v19
	v_lshlrev_b32_e32 v20, 16, v31
	v_add_f32_e32 v1, v20, v1
	s_delay_alu instid0(VALU_DEP_1) | instskip(NEXT) | instid1(VALU_DEP_1)
	v_and_b32_e32 v20, 0x7f800000, v1
	v_cmp_ne_u32_e32 vcc_lo, 0x7f800000, v20
                                        ; implicit-def: $vgpr20
	s_and_saveexec_b32 s3, vcc_lo
	s_delay_alu instid0(SALU_CYCLE_1)
	s_xor_b32 s3, exec_lo, s3
; %bb.540:
	v_bfe_u32 v20, v1, 16, 1
	s_delay_alu instid0(VALU_DEP_1)
	v_add3_u32 v20, v1, v20, 0x7fff
                                        ; implicit-def: $vgpr1
; %bb.541:
	s_and_not1_saveexec_b32 s3, s3
; %bb.542:
	v_and_b32_e32 v20, 0xffff, v1
	v_or_b32_e32 v21, 0x10000, v1
	s_delay_alu instid0(VALU_DEP_2) | instskip(NEXT) | instid1(VALU_DEP_2)
	v_cmp_eq_u32_e32 vcc_lo, 0, v20
	v_cndmask_b32_e32 v20, v21, v1, vcc_lo
; %bb.543:
	s_or_b32 exec_lo, exec_lo, s3
	s_delay_alu instid0(VALU_DEP_1)
	v_lshrrev_b32_e32 v1, 16, v20
.LBB101_544:
	s_or_b32 exec_lo, exec_lo, s2
	s_delay_alu instid0(VALU_DEP_1)
	v_dual_mov_b32 v1, v32 :: v_dual_and_b32 v20, 0xffff, v1
	s_and_saveexec_b32 s2, s21
	s_cbranch_execz .LBB101_550
; %bb.545:
	s_delay_alu instid0(VALU_DEP_1) | instskip(SKIP_1) | instid1(VALU_DEP_1)
	v_lshlrev_b32_e32 v1, 16, v20
	v_lshlrev_b32_e32 v21, 16, v32
	v_add_f32_e32 v1, v21, v1
	s_delay_alu instid0(VALU_DEP_1) | instskip(NEXT) | instid1(VALU_DEP_1)
	v_and_b32_e32 v21, 0x7f800000, v1
	v_cmp_ne_u32_e32 vcc_lo, 0x7f800000, v21
                                        ; implicit-def: $vgpr21
	s_and_saveexec_b32 s3, vcc_lo
	s_delay_alu instid0(SALU_CYCLE_1)
	s_xor_b32 s3, exec_lo, s3
; %bb.546:
	v_bfe_u32 v21, v1, 16, 1
	s_delay_alu instid0(VALU_DEP_1)
	v_add3_u32 v21, v1, v21, 0x7fff
                                        ; implicit-def: $vgpr1
; %bb.547:
	s_and_not1_saveexec_b32 s3, s3
; %bb.548:
	v_and_b32_e32 v21, 0xffff, v1
	v_or_b32_e32 v23, 0x10000, v1
	s_delay_alu instid0(VALU_DEP_2) | instskip(NEXT) | instid1(VALU_DEP_2)
	v_cmp_eq_u32_e32 vcc_lo, 0, v21
	v_cndmask_b32_e32 v21, v23, v1, vcc_lo
; %bb.549:
	s_or_b32 exec_lo, exec_lo, s3
	s_delay_alu instid0(VALU_DEP_1)
	v_lshrrev_b32_e32 v1, 16, v21
.LBB101_550:
	s_or_b32 exec_lo, exec_lo, s2
	s_delay_alu instid0(VALU_DEP_1)
	v_and_b32_e32 v21, 0xffff, v1
	v_mov_b32_e32 v27, v29
	s_and_saveexec_b32 s2, s22
	s_cbranch_execz .LBB101_556
; %bb.551:
	s_delay_alu instid0(VALU_DEP_2) | instskip(SKIP_1) | instid1(VALU_DEP_1)
	v_lshlrev_b32_e32 v1, 16, v21
	v_lshlrev_b32_e32 v23, 16, v29
	v_add_f32_e32 v1, v23, v1
	s_delay_alu instid0(VALU_DEP_1) | instskip(NEXT) | instid1(VALU_DEP_1)
	v_and_b32_e32 v23, 0x7f800000, v1
	v_cmp_ne_u32_e32 vcc_lo, 0x7f800000, v23
                                        ; implicit-def: $vgpr23
	s_and_saveexec_b32 s3, vcc_lo
	s_delay_alu instid0(SALU_CYCLE_1)
	s_xor_b32 s3, exec_lo, s3
; %bb.552:
	v_bfe_u32 v23, v1, 16, 1
	s_delay_alu instid0(VALU_DEP_1)
	v_add3_u32 v23, v1, v23, 0x7fff
                                        ; implicit-def: $vgpr1
; %bb.553:
	s_and_not1_saveexec_b32 s3, s3
; %bb.554:
	v_and_b32_e32 v23, 0xffff, v1
	v_or_b32_e32 v26, 0x10000, v1
	s_delay_alu instid0(VALU_DEP_2) | instskip(NEXT) | instid1(VALU_DEP_2)
	v_cmp_eq_u32_e32 vcc_lo, 0, v23
	v_cndmask_b32_e32 v23, v26, v1, vcc_lo
; %bb.555:
	s_or_b32 exec_lo, exec_lo, s3
	s_delay_alu instid0(VALU_DEP_1)
	v_lshrrev_b32_e32 v27, 16, v23
.LBB101_556:
	s_or_b32 exec_lo, exec_lo, s2
	s_branch .LBB101_902
.LBB101_557:
	s_or_b32 exec_lo, exec_lo, s24
                                        ; implicit-def: $vgpr28
	s_and_saveexec_b32 s24, s2
	s_cbranch_execz .LBB101_49
.LBB101_558:
	global_load_u16 v28, v[21:22], off offset:128
	s_or_b32 exec_lo, exec_lo, s24
                                        ; implicit-def: $vgpr29
	s_and_saveexec_b32 s2, s3
	s_cbranch_execnz .LBB101_50
.LBB101_559:
	s_or_b32 exec_lo, exec_lo, s2
                                        ; implicit-def: $vgpr30
	s_and_saveexec_b32 s2, s4
	s_cbranch_execz .LBB101_51
.LBB101_560:
	global_load_u16 v30, v[21:22], off offset:384
	s_or_b32 exec_lo, exec_lo, s2
                                        ; implicit-def: $vgpr31
	s_and_saveexec_b32 s2, s5
	s_cbranch_execnz .LBB101_52
.LBB101_561:
	s_or_b32 exec_lo, exec_lo, s2
                                        ; implicit-def: $vgpr32
	s_and_saveexec_b32 s2, s6
	s_cbranch_execz .LBB101_53
.LBB101_562:
	global_load_u16 v32, v[21:22], off offset:640
	s_or_b32 exec_lo, exec_lo, s2
                                        ; implicit-def: $vgpr33
	s_and_saveexec_b32 s2, s7
	s_cbranch_execnz .LBB101_54
.LBB101_563:
	s_or_b32 exec_lo, exec_lo, s2
                                        ; implicit-def: $vgpr34
	s_and_saveexec_b32 s2, s8
	s_cbranch_execz .LBB101_55
.LBB101_564:
	global_load_u16 v34, v[21:22], off offset:896
	s_or_b32 exec_lo, exec_lo, s2
                                        ; implicit-def: $vgpr35
	s_and_saveexec_b32 s2, s9
	s_cbranch_execnz .LBB101_56
.LBB101_565:
	s_or_b32 exec_lo, exec_lo, s2
                                        ; implicit-def: $vgpr36
	s_and_saveexec_b32 s2, s10
	s_cbranch_execz .LBB101_57
.LBB101_566:
	global_load_u16 v36, v[21:22], off offset:1152
	s_or_b32 exec_lo, exec_lo, s2
                                        ; implicit-def: $vgpr37
	s_and_saveexec_b32 s2, s11
	s_cbranch_execnz .LBB101_58
.LBB101_567:
	s_or_b32 exec_lo, exec_lo, s2
                                        ; implicit-def: $vgpr38
	s_and_saveexec_b32 s2, s12
	s_cbranch_execz .LBB101_59
.LBB101_568:
	global_load_u16 v38, v[21:22], off offset:1408
	s_or_b32 exec_lo, exec_lo, s2
                                        ; implicit-def: $vgpr39
	s_and_saveexec_b32 s2, s13
	s_cbranch_execnz .LBB101_60
.LBB101_569:
	s_or_b32 exec_lo, exec_lo, s2
                                        ; implicit-def: $vgpr40
	s_and_saveexec_b32 s2, s14
	s_cbranch_execz .LBB101_61
.LBB101_570:
	global_load_u16 v40, v[21:22], off offset:1664
	s_or_b32 exec_lo, exec_lo, s2
                                        ; implicit-def: $vgpr41
	s_and_saveexec_b32 s2, s16
	s_cbranch_execnz .LBB101_62
.LBB101_571:
	s_or_b32 exec_lo, exec_lo, s2
                                        ; implicit-def: $vgpr42
	s_and_saveexec_b32 s2, s17
	s_cbranch_execz .LBB101_63
.LBB101_572:
	global_load_u16 v42, v[21:22], off offset:1920
	s_or_b32 exec_lo, exec_lo, s2
                                        ; implicit-def: $vgpr43
	s_and_saveexec_b32 s2, s18
	s_cbranch_execnz .LBB101_64
.LBB101_573:
	s_or_b32 exec_lo, exec_lo, s2
                                        ; implicit-def: $vgpr44
	s_and_saveexec_b32 s2, s19
	s_cbranch_execz .LBB101_65
.LBB101_574:
	global_load_u16 v44, v[21:22], off offset:2176
	s_or_b32 exec_lo, exec_lo, s2
                                        ; implicit-def: $vgpr45
	s_and_saveexec_b32 s2, s20
	s_cbranch_execnz .LBB101_66
.LBB101_575:
	s_or_b32 exec_lo, exec_lo, s2
                                        ; implicit-def: $vgpr46
	s_and_saveexec_b32 s2, s21
	s_cbranch_execz .LBB101_67
.LBB101_576:
	global_load_u16 v46, v[21:22], off offset:2432
	s_or_b32 exec_lo, exec_lo, s2
                                        ; implicit-def: $vgpr47
	s_and_saveexec_b32 s2, s22
	s_cbranch_execz .LBB101_69
	s_branch .LBB101_68
.LBB101_577:
                                        ; implicit-def: $vgpr24
                                        ; implicit-def: $vgpr27
                                        ; implicit-def: $vgpr20_vgpr21
                                        ; implicit-def: $vgpr18_vgpr19
                                        ; implicit-def: $vgpr16_vgpr17
                                        ; implicit-def: $vgpr14_vgpr15
                                        ; implicit-def: $vgpr10_vgpr11
                                        ; implicit-def: $vgpr8_vgpr9
                                        ; implicit-def: $vgpr6_vgpr7
                                        ; implicit-def: $vgpr4_vgpr5
                                        ; implicit-def: $vgpr2_vgpr3
                                        ; implicit-def: $vgpr12_vgpr13
	s_cbranch_execz .LBB101_902
; %bb.578:
	s_waitcnt lgkmcnt(0)
	v_mov_b32_e32 v24, s44
	s_cmp_eq_u64 s[28:29], 0
	s_cbranch_scc1 .LBB101_580
; %bb.579:
	v_mov_b32_e32 v1, 0
	global_load_u16 v24, v1, s[28:29]
.LBB101_580:
	v_cmp_gt_u32_e32 vcc_lo, 0x10000, v42
	v_dual_mov_b32 v3, v42 :: v_dual_lshlrev_b32 v14, 16, v25
	v_lshlrev_b32_e32 v2, 16, v42
	s_and_saveexec_b32 s3, vcc_lo
	s_cbranch_execz .LBB101_586
; %bb.581:
	s_delay_alu instid0(VALU_DEP_1) | instskip(NEXT) | instid1(VALU_DEP_1)
	v_add_f32_e32 v1, v2, v14
	v_and_b32_e32 v3, 0x7f800000, v1
	s_delay_alu instid0(VALU_DEP_1) | instskip(NEXT) | instid1(VALU_DEP_1)
	v_cmp_ne_u32_e64 s2, 0x7f800000, v3
                                        ; implicit-def: $vgpr3
	s_and_saveexec_b32 s4, s2
	s_delay_alu instid0(SALU_CYCLE_1)
	s_xor_b32 s2, exec_lo, s4
; %bb.582:
	v_bfe_u32 v3, v1, 16, 1
	s_delay_alu instid0(VALU_DEP_1)
	v_add3_u32 v3, v1, v3, 0x7fff
                                        ; implicit-def: $vgpr1
; %bb.583:
	s_and_not1_saveexec_b32 s4, s2
; %bb.584:
	v_and_b32_e32 v3, 0xffff, v1
	v_or_b32_e32 v4, 0x10000, v1
	s_delay_alu instid0(VALU_DEP_2) | instskip(NEXT) | instid1(VALU_DEP_1)
	v_cmp_eq_u32_e64 s2, 0, v3
	v_cndmask_b32_e64 v3, v4, v1, s2
; %bb.585:
	s_or_b32 exec_lo, exec_lo, s4
	s_delay_alu instid0(VALU_DEP_1)
	v_lshrrev_b32_e32 v3, 16, v3
.LBB101_586:
	s_or_b32 exec_lo, exec_lo, s3
	v_cmp_gt_u32_e64 s2, 0x10000, v37
	v_dual_mov_b32 v4, v37 :: v_dual_lshlrev_b32 v1, 16, v37
	s_delay_alu instid0(VALU_DEP_2)
	s_and_saveexec_b32 s4, s2
	s_cbranch_execz .LBB101_592
; %bb.587:
	v_lshlrev_b32_e32 v3, 16, v3
	s_delay_alu instid0(VALU_DEP_1) | instskip(NEXT) | instid1(VALU_DEP_1)
	v_add_f32_e32 v3, v1, v3
	v_and_b32_e32 v4, 0x7f800000, v3
	s_delay_alu instid0(VALU_DEP_1) | instskip(NEXT) | instid1(VALU_DEP_1)
	v_cmp_ne_u32_e64 s3, 0x7f800000, v4
                                        ; implicit-def: $vgpr4
	s_and_saveexec_b32 s5, s3
	s_delay_alu instid0(SALU_CYCLE_1)
	s_xor_b32 s3, exec_lo, s5
; %bb.588:
	v_bfe_u32 v4, v3, 16, 1
	s_delay_alu instid0(VALU_DEP_1)
	v_add3_u32 v4, v3, v4, 0x7fff
                                        ; implicit-def: $vgpr3
; %bb.589:
	s_and_not1_saveexec_b32 s5, s3
; %bb.590:
	v_and_b32_e32 v4, 0xffff, v3
	v_or_b32_e32 v5, 0x10000, v3
	s_delay_alu instid0(VALU_DEP_2) | instskip(NEXT) | instid1(VALU_DEP_1)
	v_cmp_eq_u32_e64 s3, 0, v4
	v_cndmask_b32_e64 v4, v5, v3, s3
; %bb.591:
	s_or_b32 exec_lo, exec_lo, s5
	s_delay_alu instid0(VALU_DEP_1)
	v_lshrrev_b32_e32 v4, 16, v4
.LBB101_592:
	s_or_b32 exec_lo, exec_lo, s4
	v_cmp_gt_u32_e64 s3, 0x10000, v33
	v_lshlrev_b32_e32 v3, 16, v33
	v_mov_b32_e32 v5, v33
	s_delay_alu instid0(VALU_DEP_3)
	s_and_saveexec_b32 s5, s3
	s_cbranch_execz .LBB101_598
; %bb.593:
	v_lshlrev_b32_e32 v4, 16, v4
	s_delay_alu instid0(VALU_DEP_1) | instskip(NEXT) | instid1(VALU_DEP_1)
	v_add_f32_e32 v4, v3, v4
	v_and_b32_e32 v5, 0x7f800000, v4
	s_delay_alu instid0(VALU_DEP_1) | instskip(NEXT) | instid1(VALU_DEP_1)
	v_cmp_ne_u32_e64 s4, 0x7f800000, v5
                                        ; implicit-def: $vgpr5
	s_and_saveexec_b32 s6, s4
	s_delay_alu instid0(SALU_CYCLE_1)
	s_xor_b32 s4, exec_lo, s6
; %bb.594:
	v_bfe_u32 v5, v4, 16, 1
	s_delay_alu instid0(VALU_DEP_1)
	v_add3_u32 v5, v4, v5, 0x7fff
                                        ; implicit-def: $vgpr4
; %bb.595:
	s_and_not1_saveexec_b32 s6, s4
; %bb.596:
	v_and_b32_e32 v5, 0xffff, v4
	v_or_b32_e32 v6, 0x10000, v4
	s_delay_alu instid0(VALU_DEP_2) | instskip(NEXT) | instid1(VALU_DEP_1)
	v_cmp_eq_u32_e64 s4, 0, v5
	v_cndmask_b32_e64 v5, v6, v4, s4
; %bb.597:
	s_or_b32 exec_lo, exec_lo, s6
	s_delay_alu instid0(VALU_DEP_1)
	v_lshrrev_b32_e32 v5, 16, v5
.LBB101_598:
	s_or_b32 exec_lo, exec_lo, s5
	v_cmp_gt_u32_e64 s4, 0x10000, v36
	v_lshlrev_b32_e32 v4, 16, v36
	v_mov_b32_e32 v6, v36
	s_delay_alu instid0(VALU_DEP_3)
	s_and_saveexec_b32 s6, s4
	s_cbranch_execz .LBB101_604
; %bb.599:
	v_lshlrev_b32_e32 v5, 16, v5
	s_delay_alu instid0(VALU_DEP_1) | instskip(NEXT) | instid1(VALU_DEP_1)
	v_add_f32_e32 v5, v4, v5
	v_and_b32_e32 v6, 0x7f800000, v5
	s_delay_alu instid0(VALU_DEP_1) | instskip(NEXT) | instid1(VALU_DEP_1)
	v_cmp_ne_u32_e64 s5, 0x7f800000, v6
                                        ; implicit-def: $vgpr6
	s_and_saveexec_b32 s7, s5
	s_delay_alu instid0(SALU_CYCLE_1)
	s_xor_b32 s5, exec_lo, s7
; %bb.600:
	v_bfe_u32 v6, v5, 16, 1
	s_delay_alu instid0(VALU_DEP_1)
	v_add3_u32 v6, v5, v6, 0x7fff
                                        ; implicit-def: $vgpr5
; %bb.601:
	s_and_not1_saveexec_b32 s7, s5
; %bb.602:
	v_and_b32_e32 v6, 0xffff, v5
	v_or_b32_e32 v7, 0x10000, v5
	s_delay_alu instid0(VALU_DEP_2) | instskip(NEXT) | instid1(VALU_DEP_1)
	v_cmp_eq_u32_e64 s5, 0, v6
	v_cndmask_b32_e64 v6, v7, v5, s5
; %bb.603:
	s_or_b32 exec_lo, exec_lo, s7
	s_delay_alu instid0(VALU_DEP_1)
	v_lshrrev_b32_e32 v6, 16, v6
.LBB101_604:
	s_or_b32 exec_lo, exec_lo, s6
	v_cmp_gt_u32_e64 s5, 0x10000, v28
	v_lshlrev_b32_e32 v5, 16, v28
	v_mov_b32_e32 v7, v28
	s_delay_alu instid0(VALU_DEP_3)
	s_and_saveexec_b32 s7, s5
	s_cbranch_execz .LBB101_610
; %bb.605:
	v_lshlrev_b32_e32 v6, 16, v6
	s_delay_alu instid0(VALU_DEP_1) | instskip(NEXT) | instid1(VALU_DEP_1)
	v_add_f32_e32 v6, v5, v6
	v_and_b32_e32 v7, 0x7f800000, v6
	s_delay_alu instid0(VALU_DEP_1) | instskip(NEXT) | instid1(VALU_DEP_1)
	v_cmp_ne_u32_e64 s6, 0x7f800000, v7
                                        ; implicit-def: $vgpr7
	s_and_saveexec_b32 s8, s6
	s_delay_alu instid0(SALU_CYCLE_1)
	s_xor_b32 s6, exec_lo, s8
; %bb.606:
	v_bfe_u32 v7, v6, 16, 1
	s_delay_alu instid0(VALU_DEP_1)
	v_add3_u32 v7, v6, v7, 0x7fff
                                        ; implicit-def: $vgpr6
; %bb.607:
	s_and_not1_saveexec_b32 s8, s6
; %bb.608:
	v_and_b32_e32 v7, 0xffff, v6
	v_or_b32_e32 v8, 0x10000, v6
	s_delay_alu instid0(VALU_DEP_2) | instskip(NEXT) | instid1(VALU_DEP_1)
	v_cmp_eq_u32_e64 s6, 0, v7
	v_cndmask_b32_e64 v7, v8, v6, s6
; %bb.609:
	s_or_b32 exec_lo, exec_lo, s8
	s_delay_alu instid0(VALU_DEP_1)
	v_lshrrev_b32_e32 v7, 16, v7
.LBB101_610:
	s_or_b32 exec_lo, exec_lo, s7
	v_cmp_gt_u32_e64 s6, 0x10000, v35
	v_lshlrev_b32_e32 v6, 16, v35
	v_mov_b32_e32 v8, v35
	s_delay_alu instid0(VALU_DEP_3)
	s_and_saveexec_b32 s8, s6
	s_cbranch_execz .LBB101_616
; %bb.611:
	v_lshlrev_b32_e32 v7, 16, v7
	s_delay_alu instid0(VALU_DEP_1) | instskip(NEXT) | instid1(VALU_DEP_1)
	v_add_f32_e32 v7, v6, v7
	v_and_b32_e32 v8, 0x7f800000, v7
	s_delay_alu instid0(VALU_DEP_1) | instskip(NEXT) | instid1(VALU_DEP_1)
	v_cmp_ne_u32_e64 s7, 0x7f800000, v8
                                        ; implicit-def: $vgpr8
	s_and_saveexec_b32 s9, s7
	s_delay_alu instid0(SALU_CYCLE_1)
	s_xor_b32 s7, exec_lo, s9
; %bb.612:
	v_bfe_u32 v8, v7, 16, 1
	s_delay_alu instid0(VALU_DEP_1)
	v_add3_u32 v8, v7, v8, 0x7fff
                                        ; implicit-def: $vgpr7
; %bb.613:
	s_and_not1_saveexec_b32 s9, s7
; %bb.614:
	v_and_b32_e32 v8, 0xffff, v7
	v_or_b32_e32 v9, 0x10000, v7
	s_delay_alu instid0(VALU_DEP_2) | instskip(NEXT) | instid1(VALU_DEP_1)
	v_cmp_eq_u32_e64 s7, 0, v8
	v_cndmask_b32_e64 v8, v9, v7, s7
; %bb.615:
	s_or_b32 exec_lo, exec_lo, s9
	s_delay_alu instid0(VALU_DEP_1)
	v_lshrrev_b32_e32 v8, 16, v8
.LBB101_616:
	s_or_b32 exec_lo, exec_lo, s8
	v_cmp_gt_u32_e64 s7, 0x10000, v34
	v_lshlrev_b32_e32 v7, 16, v34
	v_mov_b32_e32 v9, v34
	s_delay_alu instid0(VALU_DEP_3)
	s_and_saveexec_b32 s9, s7
	s_cbranch_execz .LBB101_622
; %bb.617:
	v_lshlrev_b32_e32 v8, 16, v8
	s_delay_alu instid0(VALU_DEP_1) | instskip(NEXT) | instid1(VALU_DEP_1)
	v_add_f32_e32 v8, v7, v8
	v_and_b32_e32 v9, 0x7f800000, v8
	s_delay_alu instid0(VALU_DEP_1) | instskip(NEXT) | instid1(VALU_DEP_1)
	v_cmp_ne_u32_e64 s8, 0x7f800000, v9
                                        ; implicit-def: $vgpr9
	s_and_saveexec_b32 s10, s8
	s_delay_alu instid0(SALU_CYCLE_1)
	s_xor_b32 s8, exec_lo, s10
; %bb.618:
	v_bfe_u32 v9, v8, 16, 1
	s_delay_alu instid0(VALU_DEP_1)
	v_add3_u32 v9, v8, v9, 0x7fff
                                        ; implicit-def: $vgpr8
; %bb.619:
	s_and_not1_saveexec_b32 s10, s8
; %bb.620:
	v_and_b32_e32 v9, 0xffff, v8
	v_or_b32_e32 v10, 0x10000, v8
	s_delay_alu instid0(VALU_DEP_2) | instskip(NEXT) | instid1(VALU_DEP_1)
	v_cmp_eq_u32_e64 s8, 0, v9
	v_cndmask_b32_e64 v9, v10, v8, s8
; %bb.621:
	s_or_b32 exec_lo, exec_lo, s10
	s_delay_alu instid0(VALU_DEP_1)
	v_lshrrev_b32_e32 v9, 16, v9
.LBB101_622:
	s_or_b32 exec_lo, exec_lo, s9
	v_cmp_gt_u32_e64 s8, 0x10000, v38
	v_lshlrev_b32_e32 v8, 16, v38
	v_mov_b32_e32 v10, v38
	s_delay_alu instid0(VALU_DEP_3)
	s_and_saveexec_b32 s10, s8
	s_cbranch_execz .LBB101_628
; %bb.623:
	v_lshlrev_b32_e32 v9, 16, v9
	s_delay_alu instid0(VALU_DEP_1) | instskip(NEXT) | instid1(VALU_DEP_1)
	v_add_f32_e32 v9, v8, v9
	v_and_b32_e32 v10, 0x7f800000, v9
	s_delay_alu instid0(VALU_DEP_1) | instskip(NEXT) | instid1(VALU_DEP_1)
	v_cmp_ne_u32_e64 s9, 0x7f800000, v10
                                        ; implicit-def: $vgpr10
	s_and_saveexec_b32 s11, s9
	s_delay_alu instid0(SALU_CYCLE_1)
	s_xor_b32 s9, exec_lo, s11
; %bb.624:
	v_bfe_u32 v10, v9, 16, 1
	s_delay_alu instid0(VALU_DEP_1)
	v_add3_u32 v10, v9, v10, 0x7fff
                                        ; implicit-def: $vgpr9
; %bb.625:
	s_and_not1_saveexec_b32 s11, s9
; %bb.626:
	v_and_b32_e32 v10, 0xffff, v9
	v_or_b32_e32 v11, 0x10000, v9
	s_delay_alu instid0(VALU_DEP_2) | instskip(NEXT) | instid1(VALU_DEP_1)
	v_cmp_eq_u32_e64 s9, 0, v10
	v_cndmask_b32_e64 v10, v11, v9, s9
; %bb.627:
	s_or_b32 exec_lo, exec_lo, s11
	s_delay_alu instid0(VALU_DEP_1)
	v_lshrrev_b32_e32 v10, 16, v10
.LBB101_628:
	s_or_b32 exec_lo, exec_lo, s10
	v_cmp_gt_u32_e64 s9, 0x10000, v39
	v_lshlrev_b32_e32 v9, 16, v39
	v_mov_b32_e32 v11, v39
	s_delay_alu instid0(VALU_DEP_3)
	s_and_saveexec_b32 s11, s9
	s_cbranch_execz .LBB101_634
; %bb.629:
	v_lshlrev_b32_e32 v10, 16, v10
	s_delay_alu instid0(VALU_DEP_1) | instskip(NEXT) | instid1(VALU_DEP_1)
	v_add_f32_e32 v10, v9, v10
	v_and_b32_e32 v11, 0x7f800000, v10
	s_delay_alu instid0(VALU_DEP_1) | instskip(NEXT) | instid1(VALU_DEP_1)
	v_cmp_ne_u32_e64 s10, 0x7f800000, v11
                                        ; implicit-def: $vgpr11
	s_and_saveexec_b32 s12, s10
	s_delay_alu instid0(SALU_CYCLE_1)
	s_xor_b32 s10, exec_lo, s12
; %bb.630:
	v_bfe_u32 v11, v10, 16, 1
	s_delay_alu instid0(VALU_DEP_1)
	v_add3_u32 v11, v10, v11, 0x7fff
                                        ; implicit-def: $vgpr10
; %bb.631:
	s_and_not1_saveexec_b32 s12, s10
; %bb.632:
	v_and_b32_e32 v11, 0xffff, v10
	v_or_b32_e32 v12, 0x10000, v10
	s_delay_alu instid0(VALU_DEP_2) | instskip(NEXT) | instid1(VALU_DEP_1)
	v_cmp_eq_u32_e64 s10, 0, v11
	v_cndmask_b32_e64 v11, v12, v10, s10
; %bb.633:
	s_or_b32 exec_lo, exec_lo, s12
	s_delay_alu instid0(VALU_DEP_1)
	v_lshrrev_b32_e32 v11, 16, v11
.LBB101_634:
	s_or_b32 exec_lo, exec_lo, s11
	v_cmp_gt_u32_e64 s10, 0x10000, v40
	v_lshlrev_b32_e32 v10, 16, v40
	v_mov_b32_e32 v12, v40
	s_delay_alu instid0(VALU_DEP_3)
	s_and_saveexec_b32 s12, s10
	s_cbranch_execz .LBB101_640
; %bb.635:
	v_lshlrev_b32_e32 v11, 16, v11
	s_delay_alu instid0(VALU_DEP_1) | instskip(NEXT) | instid1(VALU_DEP_1)
	v_add_f32_e32 v11, v10, v11
	v_and_b32_e32 v12, 0x7f800000, v11
	s_delay_alu instid0(VALU_DEP_1) | instskip(NEXT) | instid1(VALU_DEP_1)
	v_cmp_ne_u32_e64 s11, 0x7f800000, v12
                                        ; implicit-def: $vgpr12
	s_and_saveexec_b32 s13, s11
	s_delay_alu instid0(SALU_CYCLE_1)
	s_xor_b32 s11, exec_lo, s13
; %bb.636:
	v_bfe_u32 v12, v11, 16, 1
	s_delay_alu instid0(VALU_DEP_1)
	v_add3_u32 v12, v11, v12, 0x7fff
                                        ; implicit-def: $vgpr11
; %bb.637:
	s_and_not1_saveexec_b32 s13, s11
; %bb.638:
	v_and_b32_e32 v12, 0xffff, v11
	v_or_b32_e32 v13, 0x10000, v11
	s_delay_alu instid0(VALU_DEP_2) | instskip(NEXT) | instid1(VALU_DEP_1)
	v_cmp_eq_u32_e64 s11, 0, v12
	v_cndmask_b32_e64 v12, v13, v11, s11
; %bb.639:
	s_or_b32 exec_lo, exec_lo, s13
	s_delay_alu instid0(VALU_DEP_1)
	v_lshrrev_b32_e32 v12, 16, v12
.LBB101_640:
	s_or_b32 exec_lo, exec_lo, s12
	v_cmp_gt_u32_e64 s11, 0x10000, v41
	v_lshlrev_b32_e32 v11, 16, v41
	v_mov_b32_e32 v13, v41
	s_delay_alu instid0(VALU_DEP_3)
	s_and_saveexec_b32 s13, s11
	s_cbranch_execz .LBB101_646
; %bb.641:
	v_lshlrev_b32_e32 v12, 16, v12
	s_delay_alu instid0(VALU_DEP_1) | instskip(NEXT) | instid1(VALU_DEP_1)
	v_add_f32_e32 v12, v11, v12
	v_and_b32_e32 v13, 0x7f800000, v12
	s_delay_alu instid0(VALU_DEP_1) | instskip(NEXT) | instid1(VALU_DEP_1)
	v_cmp_ne_u32_e64 s12, 0x7f800000, v13
                                        ; implicit-def: $vgpr13
	s_and_saveexec_b32 s14, s12
	s_delay_alu instid0(SALU_CYCLE_1)
	s_xor_b32 s12, exec_lo, s14
; %bb.642:
	v_bfe_u32 v13, v12, 16, 1
	s_delay_alu instid0(VALU_DEP_1)
	v_add3_u32 v13, v12, v13, 0x7fff
                                        ; implicit-def: $vgpr12
; %bb.643:
	s_and_not1_saveexec_b32 s14, s12
; %bb.644:
	v_and_b32_e32 v13, 0xffff, v12
	v_or_b32_e32 v15, 0x10000, v12
	s_delay_alu instid0(VALU_DEP_2) | instskip(NEXT) | instid1(VALU_DEP_1)
	v_cmp_eq_u32_e64 s12, 0, v13
	v_cndmask_b32_e64 v13, v15, v12, s12
; %bb.645:
	s_or_b32 exec_lo, exec_lo, s14
	s_delay_alu instid0(VALU_DEP_1)
	v_lshrrev_b32_e32 v13, 16, v13
.LBB101_646:
	s_or_b32 exec_lo, exec_lo, s13
	v_cmp_gt_u32_e64 s12, 0x10000, v43
	v_dual_mov_b32 v15, v43 :: v_dual_lshlrev_b32 v12, 16, v43
	s_delay_alu instid0(VALU_DEP_2)
	s_and_saveexec_b32 s14, s12
	s_cbranch_execz .LBB101_652
; %bb.647:
	v_lshlrev_b32_e32 v13, 16, v13
	s_delay_alu instid0(VALU_DEP_1) | instskip(NEXT) | instid1(VALU_DEP_1)
	v_add_f32_e32 v13, v12, v13
	v_and_b32_e32 v15, 0x7f800000, v13
	s_delay_alu instid0(VALU_DEP_1) | instskip(NEXT) | instid1(VALU_DEP_1)
	v_cmp_ne_u32_e64 s13, 0x7f800000, v15
                                        ; implicit-def: $vgpr15
	s_and_saveexec_b32 s15, s13
	s_delay_alu instid0(SALU_CYCLE_1)
	s_xor_b32 s13, exec_lo, s15
; %bb.648:
	v_bfe_u32 v15, v13, 16, 1
	s_delay_alu instid0(VALU_DEP_1)
	v_add3_u32 v15, v13, v15, 0x7fff
                                        ; implicit-def: $vgpr13
; %bb.649:
	s_and_not1_saveexec_b32 s15, s13
; %bb.650:
	v_and_b32_e32 v15, 0xffff, v13
	v_or_b32_e32 v16, 0x10000, v13
	s_delay_alu instid0(VALU_DEP_2) | instskip(NEXT) | instid1(VALU_DEP_1)
	v_cmp_eq_u32_e64 s13, 0, v15
	v_cndmask_b32_e64 v15, v16, v13, s13
; %bb.651:
	s_or_b32 exec_lo, exec_lo, s15
	s_delay_alu instid0(VALU_DEP_1)
	v_lshrrev_b32_e32 v15, 16, v15
.LBB101_652:
	s_or_b32 exec_lo, exec_lo, s14
	v_cmp_gt_u32_e64 s13, 0x10000, v44
	v_lshlrev_b32_e32 v13, 16, v44
	v_mov_b32_e32 v17, v44
	s_delay_alu instid0(VALU_DEP_3)
	s_and_saveexec_b32 s15, s13
	s_cbranch_execz .LBB101_658
; %bb.653:
	v_lshlrev_b32_e32 v15, 16, v15
	s_delay_alu instid0(VALU_DEP_1) | instskip(NEXT) | instid1(VALU_DEP_1)
	v_add_f32_e32 v15, v13, v15
	v_and_b32_e32 v16, 0x7f800000, v15
	s_delay_alu instid0(VALU_DEP_1) | instskip(NEXT) | instid1(VALU_DEP_1)
	v_cmp_ne_u32_e64 s14, 0x7f800000, v16
                                        ; implicit-def: $vgpr16
	s_and_saveexec_b32 s16, s14
	s_delay_alu instid0(SALU_CYCLE_1)
	s_xor_b32 s14, exec_lo, s16
; %bb.654:
	v_bfe_u32 v16, v15, 16, 1
	s_delay_alu instid0(VALU_DEP_1)
	v_add3_u32 v16, v15, v16, 0x7fff
                                        ; implicit-def: $vgpr15
; %bb.655:
	s_and_not1_saveexec_b32 s16, s14
; %bb.656:
	v_and_b32_e32 v16, 0xffff, v15
	v_or_b32_e32 v17, 0x10000, v15
	s_delay_alu instid0(VALU_DEP_2) | instskip(NEXT) | instid1(VALU_DEP_1)
	v_cmp_eq_u32_e64 s14, 0, v16
	v_cndmask_b32_e64 v16, v17, v15, s14
; %bb.657:
	s_or_b32 exec_lo, exec_lo, s16
	s_delay_alu instid0(VALU_DEP_1)
	v_lshrrev_b32_e32 v17, 16, v16
.LBB101_658:
	s_or_b32 exec_lo, exec_lo, s15
	v_cmp_gt_u32_e64 s14, 0x10000, v45
	v_dual_mov_b32 v15, v45 :: v_dual_lshlrev_b32 v16, 16, v45
	s_delay_alu instid0(VALU_DEP_2)
	s_and_saveexec_b32 s16, s14
	s_cbranch_execz .LBB101_664
; %bb.659:
	v_lshlrev_b32_e32 v15, 16, v17
	s_delay_alu instid0(VALU_DEP_1) | instskip(NEXT) | instid1(VALU_DEP_1)
	v_add_f32_e32 v15, v16, v15
	v_and_b32_e32 v17, 0x7f800000, v15
	s_delay_alu instid0(VALU_DEP_1) | instskip(NEXT) | instid1(VALU_DEP_1)
	v_cmp_ne_u32_e64 s15, 0x7f800000, v17
                                        ; implicit-def: $vgpr17
	s_and_saveexec_b32 s17, s15
	s_delay_alu instid0(SALU_CYCLE_1)
	s_xor_b32 s15, exec_lo, s17
; %bb.660:
	v_bfe_u32 v17, v15, 16, 1
	s_delay_alu instid0(VALU_DEP_1)
	v_add3_u32 v17, v15, v17, 0x7fff
                                        ; implicit-def: $vgpr15
; %bb.661:
	s_and_not1_saveexec_b32 s17, s15
; %bb.662:
	v_and_b32_e32 v17, 0xffff, v15
	v_or_b32_e32 v18, 0x10000, v15
	s_delay_alu instid0(VALU_DEP_2) | instskip(NEXT) | instid1(VALU_DEP_1)
	v_cmp_eq_u32_e64 s15, 0, v17
	v_cndmask_b32_e64 v17, v18, v15, s15
; %bb.663:
	s_or_b32 exec_lo, exec_lo, s17
	s_delay_alu instid0(VALU_DEP_1)
	v_lshrrev_b32_e32 v15, 16, v17
.LBB101_664:
	s_or_b32 exec_lo, exec_lo, s16
	v_cmp_gt_u32_e64 s15, 0x10000, v46
	v_lshlrev_b32_e32 v17, 16, v46
	v_mov_b32_e32 v19, v46
	s_delay_alu instid0(VALU_DEP_3)
	s_and_saveexec_b32 s17, s15
	s_cbranch_execz .LBB101_670
; %bb.665:
	v_lshlrev_b32_e32 v15, 16, v15
	s_delay_alu instid0(VALU_DEP_1) | instskip(NEXT) | instid1(VALU_DEP_1)
	v_add_f32_e32 v15, v17, v15
	v_and_b32_e32 v18, 0x7f800000, v15
	s_delay_alu instid0(VALU_DEP_1) | instskip(NEXT) | instid1(VALU_DEP_1)
	v_cmp_ne_u32_e64 s16, 0x7f800000, v18
                                        ; implicit-def: $vgpr18
	s_and_saveexec_b32 s18, s16
	s_delay_alu instid0(SALU_CYCLE_1)
	s_xor_b32 s16, exec_lo, s18
; %bb.666:
	v_bfe_u32 v18, v15, 16, 1
	s_delay_alu instid0(VALU_DEP_1)
	v_add3_u32 v18, v15, v18, 0x7fff
                                        ; implicit-def: $vgpr15
; %bb.667:
	s_and_not1_saveexec_b32 s18, s16
; %bb.668:
	v_and_b32_e32 v18, 0xffff, v15
	v_or_b32_e32 v19, 0x10000, v15
	s_delay_alu instid0(VALU_DEP_2) | instskip(NEXT) | instid1(VALU_DEP_1)
	v_cmp_eq_u32_e64 s16, 0, v18
	v_cndmask_b32_e64 v18, v19, v15, s16
; %bb.669:
	s_or_b32 exec_lo, exec_lo, s18
	s_delay_alu instid0(VALU_DEP_1)
	v_lshrrev_b32_e32 v19, 16, v18
.LBB101_670:
	s_or_b32 exec_lo, exec_lo, s17
	v_cmp_gt_u32_e64 s16, 0x10000, v47
	v_dual_mov_b32 v15, v47 :: v_dual_lshlrev_b32 v18, 16, v47
	s_delay_alu instid0(VALU_DEP_2)
	s_and_saveexec_b32 s18, s16
	s_cbranch_execz .LBB101_676
; %bb.671:
	v_lshlrev_b32_e32 v15, 16, v19
	s_delay_alu instid0(VALU_DEP_1) | instskip(NEXT) | instid1(VALU_DEP_1)
	v_add_f32_e32 v15, v18, v15
	v_and_b32_e32 v19, 0x7f800000, v15
	s_delay_alu instid0(VALU_DEP_1) | instskip(NEXT) | instid1(VALU_DEP_1)
	v_cmp_ne_u32_e64 s17, 0x7f800000, v19
                                        ; implicit-def: $vgpr19
	s_and_saveexec_b32 s19, s17
	s_delay_alu instid0(SALU_CYCLE_1)
	s_xor_b32 s17, exec_lo, s19
; %bb.672:
	v_bfe_u32 v19, v15, 16, 1
	s_delay_alu instid0(VALU_DEP_1)
	v_add3_u32 v19, v15, v19, 0x7fff
                                        ; implicit-def: $vgpr15
; %bb.673:
	s_and_not1_saveexec_b32 s19, s17
; %bb.674:
	v_and_b32_e32 v19, 0xffff, v15
	v_or_b32_e32 v20, 0x10000, v15
	s_delay_alu instid0(VALU_DEP_2) | instskip(NEXT) | instid1(VALU_DEP_1)
	v_cmp_eq_u32_e64 s17, 0, v19
	v_cndmask_b32_e64 v19, v20, v15, s17
; %bb.675:
	s_or_b32 exec_lo, exec_lo, s19
	s_delay_alu instid0(VALU_DEP_1)
	v_lshrrev_b32_e32 v15, 16, v19
.LBB101_676:
	s_or_b32 exec_lo, exec_lo, s18
	v_cmp_gt_u32_e64 s17, 0x10000, v48
	v_lshlrev_b32_e32 v19, 16, v48
	v_mov_b32_e32 v21, v48
	s_delay_alu instid0(VALU_DEP_3)
	s_and_saveexec_b32 s19, s17
	s_cbranch_execz .LBB101_682
; %bb.677:
	v_lshlrev_b32_e32 v15, 16, v15
	s_delay_alu instid0(VALU_DEP_1) | instskip(NEXT) | instid1(VALU_DEP_1)
	v_add_f32_e32 v15, v19, v15
	v_and_b32_e32 v20, 0x7f800000, v15
	s_delay_alu instid0(VALU_DEP_1) | instskip(NEXT) | instid1(VALU_DEP_1)
	v_cmp_ne_u32_e64 s18, 0x7f800000, v20
                                        ; implicit-def: $vgpr20
	s_and_saveexec_b32 s20, s18
	s_delay_alu instid0(SALU_CYCLE_1)
	s_xor_b32 s18, exec_lo, s20
; %bb.678:
	v_bfe_u32 v20, v15, 16, 1
	s_delay_alu instid0(VALU_DEP_1)
	v_add3_u32 v20, v15, v20, 0x7fff
                                        ; implicit-def: $vgpr15
; %bb.679:
	s_and_not1_saveexec_b32 s20, s18
; %bb.680:
	v_and_b32_e32 v20, 0xffff, v15
	v_or_b32_e32 v21, 0x10000, v15
	s_delay_alu instid0(VALU_DEP_2) | instskip(NEXT) | instid1(VALU_DEP_1)
	v_cmp_eq_u32_e64 s18, 0, v20
	v_cndmask_b32_e64 v20, v21, v15, s18
; %bb.681:
	s_or_b32 exec_lo, exec_lo, s20
	s_delay_alu instid0(VALU_DEP_1)
	v_lshrrev_b32_e32 v21, 16, v20
.LBB101_682:
	s_or_b32 exec_lo, exec_lo, s19
	v_cmp_gt_u32_e64 s18, 0x10000, v31
	v_dual_mov_b32 v15, v31 :: v_dual_lshlrev_b32 v20, 16, v31
	s_delay_alu instid0(VALU_DEP_2)
	s_and_saveexec_b32 s20, s18
	s_cbranch_execz .LBB101_688
; %bb.683:
	v_lshlrev_b32_e32 v15, 16, v21
	s_delay_alu instid0(VALU_DEP_1) | instskip(NEXT) | instid1(VALU_DEP_1)
	v_add_f32_e32 v15, v20, v15
	v_and_b32_e32 v21, 0x7f800000, v15
	s_delay_alu instid0(VALU_DEP_1) | instskip(NEXT) | instid1(VALU_DEP_1)
	v_cmp_ne_u32_e64 s19, 0x7f800000, v21
                                        ; implicit-def: $vgpr21
	s_and_saveexec_b32 s21, s19
	s_delay_alu instid0(SALU_CYCLE_1)
	s_xor_b32 s19, exec_lo, s21
; %bb.684:
	v_bfe_u32 v21, v15, 16, 1
	s_delay_alu instid0(VALU_DEP_1)
	v_add3_u32 v21, v15, v21, 0x7fff
                                        ; implicit-def: $vgpr15
; %bb.685:
	s_and_not1_saveexec_b32 s21, s19
; %bb.686:
	v_and_b32_e32 v21, 0xffff, v15
	v_or_b32_e32 v23, 0x10000, v15
	s_delay_alu instid0(VALU_DEP_2) | instskip(NEXT) | instid1(VALU_DEP_1)
	v_cmp_eq_u32_e64 s19, 0, v21
	v_cndmask_b32_e64 v21, v23, v15, s19
; %bb.687:
	s_or_b32 exec_lo, exec_lo, s21
	s_delay_alu instid0(VALU_DEP_1)
	v_lshrrev_b32_e32 v15, 16, v21
.LBB101_688:
	s_or_b32 exec_lo, exec_lo, s20
	v_cmp_gt_u32_e64 s19, 0x10000, v32
	v_dual_mov_b32 v26, v32 :: v_dual_lshlrev_b32 v21, 16, v32
	s_delay_alu instid0(VALU_DEP_2)
	s_and_saveexec_b32 s21, s19
	s_cbranch_execz .LBB101_694
; %bb.689:
	v_lshlrev_b32_e32 v15, 16, v15
	s_delay_alu instid0(VALU_DEP_1) | instskip(NEXT) | instid1(VALU_DEP_1)
	v_add_f32_e32 v15, v21, v15
	v_and_b32_e32 v23, 0x7f800000, v15
	s_delay_alu instid0(VALU_DEP_1) | instskip(NEXT) | instid1(VALU_DEP_1)
	v_cmp_ne_u32_e64 s20, 0x7f800000, v23
                                        ; implicit-def: $vgpr23
	s_and_saveexec_b32 s22, s20
	s_delay_alu instid0(SALU_CYCLE_1)
	s_xor_b32 s20, exec_lo, s22
; %bb.690:
	v_bfe_u32 v23, v15, 16, 1
	s_delay_alu instid0(VALU_DEP_1)
	v_add3_u32 v23, v15, v23, 0x7fff
                                        ; implicit-def: $vgpr15
; %bb.691:
	s_and_not1_saveexec_b32 s22, s20
; %bb.692:
	v_and_b32_e32 v23, 0xffff, v15
	v_or_b32_e32 v26, 0x10000, v15
	s_delay_alu instid0(VALU_DEP_2) | instskip(NEXT) | instid1(VALU_DEP_1)
	v_cmp_eq_u32_e64 s20, 0, v23
	v_cndmask_b32_e64 v23, v26, v15, s20
; %bb.693:
	s_or_b32 exec_lo, exec_lo, s22
	s_delay_alu instid0(VALU_DEP_1)
	v_lshrrev_b32_e32 v26, 16, v23
.LBB101_694:
	s_or_b32 exec_lo, exec_lo, s21
	v_cmp_gt_u32_e64 s20, 0x10000, v29
	v_lshlrev_b32_e32 v23, 16, v29
	v_mov_b32_e32 v15, v29
	s_delay_alu instid0(VALU_DEP_3)
	s_and_saveexec_b32 s22, s20
	s_cbranch_execz .LBB101_700
; %bb.695:
	v_lshlrev_b32_e32 v15, 16, v26
	s_delay_alu instid0(VALU_DEP_1) | instskip(NEXT) | instid1(VALU_DEP_1)
	v_add_f32_e32 v15, v23, v15
	v_and_b32_e32 v26, 0x7f800000, v15
	s_delay_alu instid0(VALU_DEP_1) | instskip(NEXT) | instid1(VALU_DEP_1)
	v_cmp_ne_u32_e64 s21, 0x7f800000, v26
                                        ; implicit-def: $vgpr26
	s_and_saveexec_b32 s23, s21
	s_delay_alu instid0(SALU_CYCLE_1)
	s_xor_b32 s21, exec_lo, s23
; %bb.696:
	v_bfe_u32 v26, v15, 16, 1
	s_delay_alu instid0(VALU_DEP_1)
	v_add3_u32 v26, v15, v26, 0x7fff
                                        ; implicit-def: $vgpr15
; %bb.697:
	s_and_not1_saveexec_b32 s23, s21
; %bb.698:
	v_and_b32_e32 v26, 0xffff, v15
	v_or_b32_e32 v27, 0x10000, v15
	s_delay_alu instid0(VALU_DEP_2) | instskip(NEXT) | instid1(VALU_DEP_1)
	v_cmp_eq_u32_e64 s21, 0, v26
	v_cndmask_b32_e64 v26, v27, v15, s21
; %bb.699:
	s_or_b32 exec_lo, exec_lo, s23
	s_delay_alu instid0(VALU_DEP_1)
	v_lshrrev_b32_e32 v15, 16, v26
.LBB101_700:
	s_or_b32 exec_lo, exec_lo, s22
	v_mov_b32_e32 v26, v22
	s_mov_b32 s22, exec_lo
	v_cmpx_gt_u32_e32 0x10000, v22
	s_cbranch_execz .LBB101_706
; %bb.701:
	v_lshlrev_b32_e32 v15, 16, v15
	v_lshlrev_b32_e32 v26, 16, v22
	s_delay_alu instid0(VALU_DEP_1) | instskip(NEXT) | instid1(VALU_DEP_1)
	v_add_f32_e32 v15, v26, v15
	v_and_b32_e32 v26, 0x7f800000, v15
	s_delay_alu instid0(VALU_DEP_1) | instskip(NEXT) | instid1(VALU_DEP_1)
	v_cmp_ne_u32_e64 s21, 0x7f800000, v26
                                        ; implicit-def: $vgpr26
	s_and_saveexec_b32 s23, s21
	s_delay_alu instid0(SALU_CYCLE_1)
	s_xor_b32 s21, exec_lo, s23
; %bb.702:
	v_bfe_u32 v26, v15, 16, 1
	s_delay_alu instid0(VALU_DEP_1)
	v_add3_u32 v26, v15, v26, 0x7fff
                                        ; implicit-def: $vgpr15
; %bb.703:
	s_and_not1_saveexec_b32 s23, s21
; %bb.704:
	v_and_b32_e32 v26, 0xffff, v15
	v_or_b32_e32 v27, 0x10000, v15
	s_delay_alu instid0(VALU_DEP_2) | instskip(NEXT) | instid1(VALU_DEP_1)
	v_cmp_eq_u32_e64 s21, 0, v26
	v_cndmask_b32_e64 v26, v27, v15, s21
; %bb.705:
	s_or_b32 exec_lo, exec_lo, s23
	s_delay_alu instid0(VALU_DEP_1)
	v_lshrrev_b32_e32 v26, 16, v26
.LBB101_706:
	s_or_b32 exec_lo, exec_lo, s22
	v_or3_b32 v15, v22, v29, v32
	v_lshrrev_b32_e32 v22, 5, v0
	v_lshrrev_b32_e32 v27, 16, v25
	s_mov_b32 s22, exec_lo
	s_delay_alu instid0(VALU_DEP_3) | instskip(NEXT) | instid1(VALU_DEP_3)
	v_or3_b32 v15, v15, v31, v48
	v_add_lshl_u32 v30, v22, v0, 2
	s_delay_alu instid0(VALU_DEP_2) | instskip(NEXT) | instid1(VALU_DEP_1)
	v_or3_b32 v15, v15, v47, v46
	v_or3_b32 v15, v15, v45, v44
	s_delay_alu instid0(VALU_DEP_1) | instskip(NEXT) | instid1(VALU_DEP_1)
	v_or3_b32 v15, v15, v43, v41
	v_or3_b32 v15, v15, v40, v39
	s_delay_alu instid0(VALU_DEP_1) | instskip(NEXT) | instid1(VALU_DEP_1)
	;; [unrolled: 3-line block ×4, first 2 shown]
	v_and_b32_e32 v15, 0x10000, v15
	v_cmp_ne_u32_e64 s21, 0, v15
	s_delay_alu instid0(VALU_DEP_1)
	v_cndmask_b32_e64 v22, v27, 1, s21
	ds_store_b16 v30, v26
	ds_store_b8 v30, v22 offset:2
	s_waitcnt vmcnt(0) lgkmcnt(0)
	s_barrier
	buffer_gl0_inv
	v_cmpx_gt_u32_e32 32, v0
	s_xor_b32 s24, exec_lo, s22
	s_cbranch_execz .LBB101_764
; %bb.707:
	v_lshrrev_b32_e32 v15, 2, v0
	s_delay_alu instid0(VALU_DEP_1) | instskip(NEXT) | instid1(VALU_DEP_1)
	v_and_b32_e32 v15, 12, v15
	v_lshl_or_b32 v15, v0, 3, v15
	ds_load_u8 v49, v15 offset:6
	ds_load_u16 v27, v15 offset:4
	ds_load_b32 v30, v15
	s_waitcnt lgkmcnt(2)
	v_cmp_eq_u16_e64 s21, 0, v49
	s_waitcnt lgkmcnt(1)
	v_mov_b32_e32 v51, v27
	s_delay_alu instid0(VALU_DEP_2)
	s_and_saveexec_b32 s23, s21
	s_cbranch_execz .LBB101_713
; %bb.708:
	s_waitcnt lgkmcnt(0)
	v_lshlrev_b32_e32 v50, 16, v30
	v_lshlrev_b32_e32 v51, 16, v27
	s_delay_alu instid0(VALU_DEP_1) | instskip(NEXT) | instid1(VALU_DEP_1)
	v_add_f32_e32 v50, v50, v51
	v_and_b32_e32 v51, 0x7f800000, v50
	s_delay_alu instid0(VALU_DEP_1) | instskip(NEXT) | instid1(VALU_DEP_1)
	v_cmp_ne_u32_e64 s22, 0x7f800000, v51
                                        ; implicit-def: $vgpr51
	s_and_saveexec_b32 s25, s22
	s_delay_alu instid0(SALU_CYCLE_1)
	s_xor_b32 s22, exec_lo, s25
; %bb.709:
	v_bfe_u32 v51, v50, 16, 1
	s_delay_alu instid0(VALU_DEP_1)
	v_add3_u32 v51, v50, v51, 0x7fff
                                        ; implicit-def: $vgpr50
; %bb.710:
	s_and_not1_saveexec_b32 s25, s22
; %bb.711:
	v_and_b32_e32 v51, 0xffff, v50
	v_or_b32_e32 v52, 0x10000, v50
	s_delay_alu instid0(VALU_DEP_2) | instskip(NEXT) | instid1(VALU_DEP_1)
	v_cmp_eq_u32_e64 s22, 0, v51
	v_cndmask_b32_e64 v51, v52, v50, s22
; %bb.712:
	s_or_b32 exec_lo, exec_lo, s25
	s_delay_alu instid0(VALU_DEP_1)
	v_lshrrev_b32_e32 v51, 16, v51
.LBB101_713:
	s_or_b32 exec_lo, exec_lo, s23
	v_and_b32_e32 v52, 1, v49
	s_waitcnt lgkmcnt(0)
	s_delay_alu instid0(VALU_DEP_2) | instskip(SKIP_4) | instid1(VALU_DEP_1)
	v_dual_mov_b32 v58, v51 :: v_dual_and_b32 v49, 0x10000, v30
	v_and_b32_e32 v50, 0xff000000, v30
	v_and_b32_e32 v53, 0xffff, v51
	v_cmp_eq_u32_e64 s22, 1, v52
	s_mov_b32 s25, exec_lo
	v_cndmask_b32_e64 v52, v49, 0x10000, s22
	s_delay_alu instid0(VALU_DEP_1) | instskip(NEXT) | instid1(VALU_DEP_1)
	v_or_b32_e32 v55, v52, v50
	v_lshrrev_b32_e32 v52, 16, v55
	v_or_b32_e32 v54, v55, v53
	s_delay_alu instid0(VALU_DEP_2) | instskip(NEXT) | instid1(VALU_DEP_2)
	v_and_b32_e32 v56, 1, v52
	v_mov_b32_dpp v57, v54 row_shr:1 row_mask:0xf bank_mask:0xf
	s_delay_alu instid0(VALU_DEP_2)
	v_cmpx_eq_u16_e32 0, v56
	s_cbranch_execz .LBB101_719
; %bb.714:
	s_delay_alu instid0(VALU_DEP_2) | instskip(SKIP_1) | instid1(VALU_DEP_1)
	v_lshlrev_b32_e32 v56, 16, v57
	v_lshlrev_b32_e32 v53, 16, v53
	v_add_f32_e32 v53, v53, v56
	s_delay_alu instid0(VALU_DEP_1) | instskip(NEXT) | instid1(VALU_DEP_1)
	v_and_b32_e32 v56, 0x7f800000, v53
	v_cmp_ne_u32_e64 s23, 0x7f800000, v56
                                        ; implicit-def: $vgpr56
	s_delay_alu instid0(VALU_DEP_1) | instskip(NEXT) | instid1(SALU_CYCLE_1)
	s_and_saveexec_b32 s28, s23
	s_xor_b32 s23, exec_lo, s28
; %bb.715:
	v_bfe_u32 v56, v53, 16, 1
	s_delay_alu instid0(VALU_DEP_1)
	v_add3_u32 v56, v53, v56, 0x7fff
                                        ; implicit-def: $vgpr53
; %bb.716:
	s_and_not1_saveexec_b32 s28, s23
; %bb.717:
	v_and_b32_e32 v56, 0xffff, v53
	v_or_b32_e32 v58, 0x10000, v53
	s_delay_alu instid0(VALU_DEP_2) | instskip(NEXT) | instid1(VALU_DEP_1)
	v_cmp_eq_u32_e64 s23, 0, v56
	v_cndmask_b32_e64 v56, v58, v53, s23
; %bb.718:
	s_or_b32 exec_lo, exec_lo, s28
	s_delay_alu instid0(VALU_DEP_1)
	v_lshrrev_b32_e32 v58, 16, v56
.LBB101_719:
	s_or_b32 exec_lo, exec_lo, s25
	v_mbcnt_lo_u32_b32 v53, -1, 0
	s_mov_b32 s25, exec_lo
	s_delay_alu instid0(VALU_DEP_1) | instskip(NEXT) | instid1(VALU_DEP_1)
	v_and_b32_e32 v56, 15, v53
	v_cmpx_ne_u32_e32 0, v56
; %bb.720:
	v_lshrrev_b32_e32 v51, 16, v57
	v_and_b32_e32 v52, 0x10000, v55
	s_delay_alu instid0(VALU_DEP_2) | instskip(NEXT) | instid1(VALU_DEP_2)
	v_and_b32_e32 v51, 1, v51
	v_cmp_ne_u32_e64 s23, 0, v52
	s_delay_alu instid0(VALU_DEP_1) | instskip(SKIP_1) | instid1(VALU_DEP_2)
	v_cndmask_b32_e64 v52, v51, 1, s23
	v_and_b32_e32 v51, 0xffff, v58
	v_lshlrev_b32_e32 v54, 16, v52
	s_delay_alu instid0(VALU_DEP_1)
	v_or3_b32 v54, v54, v51, v50
	v_mov_b32_e32 v51, v58
; %bb.721:
	s_or_b32 exec_lo, exec_lo, s25
	s_delay_alu instid0(VALU_DEP_2) | instskip(SKIP_3) | instid1(VALU_DEP_3)
	v_lshrrev_b32_e32 v55, 16, v54
	v_mov_b32_dpp v58, v54 row_shr:2 row_mask:0xf bank_mask:0xf
	v_mov_b32_e32 v59, v54
	s_mov_b32 s25, exec_lo
	v_and_b32_e32 v57, 0xff, v55
	s_delay_alu instid0(VALU_DEP_1)
	v_cmpx_eq_u16_e32 0, v57
	s_cbranch_execz .LBB101_727
; %bb.722:
	v_lshlrev_b32_e32 v57, 16, v58
	v_lshlrev_b32_e32 v59, 16, v54
	s_delay_alu instid0(VALU_DEP_1) | instskip(NEXT) | instid1(VALU_DEP_1)
	v_add_f32_e32 v57, v59, v57
	v_and_b32_e32 v59, 0x7f800000, v57
	s_delay_alu instid0(VALU_DEP_1) | instskip(NEXT) | instid1(VALU_DEP_1)
	v_cmp_ne_u32_e64 s23, 0x7f800000, v59
                                        ; implicit-def: $vgpr59
	s_and_saveexec_b32 s28, s23
	s_delay_alu instid0(SALU_CYCLE_1)
	s_xor_b32 s23, exec_lo, s28
; %bb.723:
	v_bfe_u32 v59, v57, 16, 1
	s_delay_alu instid0(VALU_DEP_1)
	v_add3_u32 v59, v57, v59, 0x7fff
                                        ; implicit-def: $vgpr57
; %bb.724:
	s_and_not1_saveexec_b32 s28, s23
; %bb.725:
	v_and_b32_e32 v59, 0xffff, v57
	v_or_b32_e32 v60, 0x10000, v57
	s_delay_alu instid0(VALU_DEP_2) | instskip(NEXT) | instid1(VALU_DEP_1)
	v_cmp_eq_u32_e64 s23, 0, v59
	v_cndmask_b32_e64 v59, v60, v57, s23
; %bb.726:
	s_or_b32 exec_lo, exec_lo, s28
	s_delay_alu instid0(VALU_DEP_1)
	v_lshrrev_b32_e32 v59, 16, v59
.LBB101_727:
	s_or_b32 exec_lo, exec_lo, s25
	v_mov_b32_e32 v57, v54
	s_mov_b32 s25, exec_lo
	v_cmpx_lt_u32_e32 1, v56
; %bb.728:
	v_lshrrev_b32_e32 v51, 16, v58
	v_and_b32_e32 v52, 0x10000, v54
	s_delay_alu instid0(VALU_DEP_2) | instskip(NEXT) | instid1(VALU_DEP_2)
	v_and_b32_e32 v51, 1, v51
	v_cmp_ne_u32_e64 s23, 0, v52
	s_delay_alu instid0(VALU_DEP_1) | instskip(SKIP_1) | instid1(VALU_DEP_2)
	v_cndmask_b32_e64 v52, v51, 1, s23
	v_dual_mov_b32 v51, v59 :: v_dual_and_b32 v54, 0xffff, v59
	v_mov_b32_e32 v55, v52
	v_lshlrev_b32_e32 v57, 16, v52
	s_delay_alu instid0(VALU_DEP_1)
	v_or3_b32 v57, v57, v54, v50
	v_mov_b32_e32 v54, v59
; %bb.729:
	s_or_b32 exec_lo, exec_lo, s25
	v_and_b32_e32 v59, 0xff, v55
	s_delay_alu instid0(VALU_DEP_3) | instskip(NEXT) | instid1(VALU_DEP_2)
	v_mov_b32_dpp v58, v57 row_shr:4 row_mask:0xf bank_mask:0xf
	v_cmp_eq_u16_e64 s23, 0, v59
	v_mov_b32_e32 v59, v54
	s_delay_alu instid0(VALU_DEP_2)
	s_and_saveexec_b32 s25, s23
	s_cbranch_execz .LBB101_735
; %bb.730:
	v_lshlrev_b32_e32 v59, 16, v58
	v_lshlrev_b32_e32 v60, 16, v54
	s_delay_alu instid0(VALU_DEP_1) | instskip(NEXT) | instid1(VALU_DEP_1)
	v_add_f32_e32 v59, v60, v59
	v_and_b32_e32 v60, 0x7f800000, v59
	s_delay_alu instid0(VALU_DEP_1) | instskip(NEXT) | instid1(VALU_DEP_1)
	v_cmp_ne_u32_e64 s23, 0x7f800000, v60
                                        ; implicit-def: $vgpr60
	s_and_saveexec_b32 s28, s23
	s_delay_alu instid0(SALU_CYCLE_1)
	s_xor_b32 s23, exec_lo, s28
; %bb.731:
	v_bfe_u32 v60, v59, 16, 1
	s_delay_alu instid0(VALU_DEP_1)
	v_add3_u32 v60, v59, v60, 0x7fff
                                        ; implicit-def: $vgpr59
; %bb.732:
	s_and_not1_saveexec_b32 s28, s23
; %bb.733:
	v_and_b32_e32 v60, 0xffff, v59
	v_or_b32_e32 v61, 0x10000, v59
	s_delay_alu instid0(VALU_DEP_2) | instskip(NEXT) | instid1(VALU_DEP_1)
	v_cmp_eq_u32_e64 s23, 0, v60
	v_cndmask_b32_e64 v60, v61, v59, s23
; %bb.734:
	s_or_b32 exec_lo, exec_lo, s28
	s_delay_alu instid0(VALU_DEP_1)
	v_lshrrev_b32_e32 v59, 16, v60
.LBB101_735:
	s_or_b32 exec_lo, exec_lo, s25
	s_delay_alu instid0(SALU_CYCLE_1)
	s_mov_b32 s25, exec_lo
	v_cmpx_lt_u32_e32 3, v56
; %bb.736:
	v_lshrrev_b32_e32 v51, 16, v58
	v_and_b32_e32 v52, 1, v55
	s_delay_alu instid0(VALU_DEP_2) | instskip(NEXT) | instid1(VALU_DEP_2)
	v_and_b32_e32 v51, 1, v51
	v_cmp_eq_u32_e64 s23, 1, v52
	s_delay_alu instid0(VALU_DEP_1) | instskip(SKIP_1) | instid1(VALU_DEP_2)
	v_cndmask_b32_e64 v52, v51, 1, s23
	v_dual_mov_b32 v51, v59 :: v_dual_and_b32 v54, 0xffff, v59
	v_mov_b32_e32 v55, v52
	v_lshlrev_b32_e32 v57, 16, v52
	s_delay_alu instid0(VALU_DEP_1)
	v_or3_b32 v57, v57, v54, v50
	v_mov_b32_e32 v54, v59
; %bb.737:
	s_or_b32 exec_lo, exec_lo, s25
	v_and_b32_e32 v59, 0xff, v55
	s_delay_alu instid0(VALU_DEP_3) | instskip(NEXT) | instid1(VALU_DEP_2)
	v_mov_b32_dpp v58, v57 row_shr:8 row_mask:0xf bank_mask:0xf
	v_cmp_eq_u16_e64 s23, 0, v59
	v_mov_b32_e32 v59, v54
	s_delay_alu instid0(VALU_DEP_2)
	s_and_saveexec_b32 s25, s23
	s_cbranch_execz .LBB101_743
; %bb.738:
	v_lshlrev_b32_e32 v59, 16, v58
	v_lshlrev_b32_e32 v60, 16, v54
	s_delay_alu instid0(VALU_DEP_1) | instskip(NEXT) | instid1(VALU_DEP_1)
	v_add_f32_e32 v59, v60, v59
	v_and_b32_e32 v60, 0x7f800000, v59
	s_delay_alu instid0(VALU_DEP_1) | instskip(NEXT) | instid1(VALU_DEP_1)
	v_cmp_ne_u32_e64 s23, 0x7f800000, v60
                                        ; implicit-def: $vgpr60
	s_and_saveexec_b32 s28, s23
	s_delay_alu instid0(SALU_CYCLE_1)
	s_xor_b32 s23, exec_lo, s28
; %bb.739:
	v_bfe_u32 v60, v59, 16, 1
	s_delay_alu instid0(VALU_DEP_1)
	v_add3_u32 v60, v59, v60, 0x7fff
                                        ; implicit-def: $vgpr59
; %bb.740:
	s_and_not1_saveexec_b32 s28, s23
; %bb.741:
	v_and_b32_e32 v60, 0xffff, v59
	v_or_b32_e32 v61, 0x10000, v59
	s_delay_alu instid0(VALU_DEP_2) | instskip(NEXT) | instid1(VALU_DEP_1)
	v_cmp_eq_u32_e64 s23, 0, v60
	v_cndmask_b32_e64 v60, v61, v59, s23
; %bb.742:
	s_or_b32 exec_lo, exec_lo, s28
	s_delay_alu instid0(VALU_DEP_1)
	v_lshrrev_b32_e32 v59, 16, v60
.LBB101_743:
	s_or_b32 exec_lo, exec_lo, s25
	s_delay_alu instid0(SALU_CYCLE_1)
	s_mov_b32 s25, exec_lo
	v_cmpx_lt_u32_e32 7, v56
; %bb.744:
	v_lshrrev_b32_e32 v51, 16, v58
	v_and_b32_e32 v52, 1, v55
	s_delay_alu instid0(VALU_DEP_2) | instskip(NEXT) | instid1(VALU_DEP_2)
	v_and_b32_e32 v51, 1, v51
	v_cmp_eq_u32_e64 s23, 1, v52
	s_delay_alu instid0(VALU_DEP_1) | instskip(SKIP_1) | instid1(VALU_DEP_2)
	v_cndmask_b32_e64 v52, v51, 1, s23
	v_dual_mov_b32 v51, v59 :: v_dual_and_b32 v54, 0xffff, v59
	v_dual_mov_b32 v55, v52 :: v_dual_lshlrev_b32 v56, 16, v52
	s_delay_alu instid0(VALU_DEP_1)
	v_or3_b32 v57, v56, v54, v50
	v_mov_b32_e32 v54, v59
; %bb.745:
	s_or_b32 exec_lo, exec_lo, s25
	ds_swizzle_b32 v56, v57 offset:swizzle(BROADCAST,32,15)
	v_and_b32_e32 v57, 0xff, v55
	s_mov_b32 s25, exec_lo
	s_delay_alu instid0(VALU_DEP_1)
	v_cmpx_eq_u16_e32 0, v57
	s_cbranch_execz .LBB101_751
; %bb.746:
	s_waitcnt lgkmcnt(0)
	v_lshlrev_b32_e32 v57, 16, v56
	v_lshlrev_b32_e32 v54, 16, v54
	s_delay_alu instid0(VALU_DEP_1) | instskip(NEXT) | instid1(VALU_DEP_1)
	v_add_f32_e32 v54, v54, v57
	v_and_b32_e32 v57, 0x7f800000, v54
	s_delay_alu instid0(VALU_DEP_1) | instskip(NEXT) | instid1(VALU_DEP_1)
	v_cmp_ne_u32_e64 s23, 0x7f800000, v57
                                        ; implicit-def: $vgpr57
	s_and_saveexec_b32 s28, s23
	s_delay_alu instid0(SALU_CYCLE_1)
	s_xor_b32 s23, exec_lo, s28
; %bb.747:
	v_bfe_u32 v57, v54, 16, 1
	s_delay_alu instid0(VALU_DEP_1)
	v_add3_u32 v57, v54, v57, 0x7fff
                                        ; implicit-def: $vgpr54
; %bb.748:
	s_and_not1_saveexec_b32 s28, s23
; %bb.749:
	v_and_b32_e32 v57, 0xffff, v54
	v_or_b32_e32 v58, 0x10000, v54
	s_delay_alu instid0(VALU_DEP_2) | instskip(NEXT) | instid1(VALU_DEP_1)
	v_cmp_eq_u32_e64 s23, 0, v57
	v_cndmask_b32_e64 v57, v58, v54, s23
; %bb.750:
	s_or_b32 exec_lo, exec_lo, s28
	s_delay_alu instid0(VALU_DEP_1)
	v_lshrrev_b32_e32 v54, 16, v57
.LBB101_751:
	s_or_b32 exec_lo, exec_lo, s25
	s_waitcnt lgkmcnt(0)
	v_lshrrev_b32_e32 v56, 16, v56
	v_and_b32_e32 v55, 1, v55
	v_and_b32_e32 v57, 16, v53
	s_mov_b32 s25, exec_lo
	s_delay_alu instid0(VALU_DEP_3) | instskip(NEXT) | instid1(VALU_DEP_3)
	v_and_b32_e32 v56, 1, v56
	v_cmp_eq_u32_e64 s23, 1, v55
	s_delay_alu instid0(VALU_DEP_1) | instskip(SKIP_1) | instid1(VALU_DEP_1)
	v_cndmask_b32_e64 v55, v56, 1, s23
	v_cmp_eq_u32_e64 s23, 0, v57
	v_cndmask_b32_e64 v51, v54, v51, s23
	s_delay_alu instid0(VALU_DEP_3) | instskip(SKIP_1) | instid1(VALU_DEP_3)
	v_cndmask_b32_e64 v52, v55, v52, s23
	v_add_nc_u32_e32 v54, -1, v53
	v_and_b32_e32 v51, 0xffff, v51
	s_delay_alu instid0(VALU_DEP_3) | instskip(NEXT) | instid1(VALU_DEP_3)
	v_and_b32_e32 v52, 0xff, v52
	v_cmp_gt_i32_e64 s23, 0, v54
	s_delay_alu instid0(VALU_DEP_2) | instskip(NEXT) | instid1(VALU_DEP_2)
	v_lshlrev_b32_e32 v52, 16, v52
	v_cndmask_b32_e64 v53, v54, v53, s23
	s_delay_alu instid0(VALU_DEP_2) | instskip(NEXT) | instid1(VALU_DEP_2)
	v_or3_b32 v50, v52, v51, v50
	v_lshlrev_b32_e32 v51, 2, v53
	ds_bpermute_b32 v50, v51, v50
	v_and_b32_e32 v51, 0xff0000, v30
	s_delay_alu instid0(VALU_DEP_1)
	v_cmpx_eq_u32_e32 0, v51
	s_cbranch_execz .LBB101_757
; %bb.752:
	s_waitcnt lgkmcnt(0)
	v_lshlrev_b32_e32 v51, 16, v50
	v_lshlrev_b32_e32 v30, 16, v30
	s_delay_alu instid0(VALU_DEP_1) | instskip(NEXT) | instid1(VALU_DEP_1)
	v_add_f32_e32 v30, v30, v51
	v_and_b32_e32 v51, 0x7f800000, v30
	s_delay_alu instid0(VALU_DEP_1) | instskip(NEXT) | instid1(VALU_DEP_1)
	v_cmp_ne_u32_e64 s23, 0x7f800000, v51
                                        ; implicit-def: $vgpr51
	s_and_saveexec_b32 s28, s23
	s_delay_alu instid0(SALU_CYCLE_1)
	s_xor_b32 s23, exec_lo, s28
; %bb.753:
	v_bfe_u32 v51, v30, 16, 1
	s_delay_alu instid0(VALU_DEP_1)
	v_add3_u32 v51, v30, v51, 0x7fff
                                        ; implicit-def: $vgpr30
; %bb.754:
	s_and_not1_saveexec_b32 s28, s23
; %bb.755:
	v_and_b32_e32 v51, 0xffff, v30
	v_or_b32_e32 v52, 0x10000, v30
	s_delay_alu instid0(VALU_DEP_2) | instskip(NEXT) | instid1(VALU_DEP_1)
	v_cmp_eq_u32_e64 s23, 0, v51
	v_cndmask_b32_e64 v51, v52, v30, s23
; %bb.756:
	s_or_b32 exec_lo, exec_lo, s28
	s_delay_alu instid0(VALU_DEP_1)
	v_lshrrev_b32_e32 v30, 16, v51
.LBB101_757:
	s_or_b32 exec_lo, exec_lo, s25
	s_waitcnt lgkmcnt(0)
	v_lshrrev_b32_e32 v50, 16, v50
	v_cmp_eq_u32_e64 s23, 0, v49
	s_delay_alu instid0(VALU_DEP_2) | instskip(NEXT) | instid1(VALU_DEP_1)
	v_and_b32_e32 v50, 1, v50
	v_cndmask_b32_e64 v49, 1, v50, s23
	v_cmp_eq_u32_e64 s23, 0, v0
	s_delay_alu instid0(VALU_DEP_1) | instskip(NEXT) | instid1(VALU_DEP_3)
	v_cndmask_b32_e64 v26, v30, v26, s23
	v_cndmask_b32_e64 v22, v49, v22, s23
	ds_store_b16 v15, v26
	ds_store_b8 v15, v22 offset:2
	s_and_saveexec_b32 s23, s21
	s_cbranch_execz .LBB101_763
; %bb.758:
	v_lshlrev_b32_e32 v26, 16, v26
	v_lshlrev_b32_e32 v27, 16, v27
	s_delay_alu instid0(VALU_DEP_1) | instskip(NEXT) | instid1(VALU_DEP_1)
	v_add_f32_e32 v26, v27, v26
	v_and_b32_e32 v27, 0x7f800000, v26
	s_delay_alu instid0(VALU_DEP_1) | instskip(NEXT) | instid1(VALU_DEP_1)
	v_cmp_ne_u32_e64 s21, 0x7f800000, v27
                                        ; implicit-def: $vgpr27
	s_and_saveexec_b32 s25, s21
	s_delay_alu instid0(SALU_CYCLE_1)
	s_xor_b32 s21, exec_lo, s25
; %bb.759:
	v_bfe_u32 v27, v26, 16, 1
	s_delay_alu instid0(VALU_DEP_1)
	v_add3_u32 v27, v26, v27, 0x7fff
                                        ; implicit-def: $vgpr26
; %bb.760:
	s_and_not1_saveexec_b32 s25, s21
; %bb.761:
	v_and_b32_e32 v27, 0xffff, v26
	v_or_b32_e32 v30, 0x10000, v26
	s_delay_alu instid0(VALU_DEP_2) | instskip(NEXT) | instid1(VALU_DEP_1)
	v_cmp_eq_u32_e64 s21, 0, v27
	v_cndmask_b32_e64 v27, v30, v26, s21
; %bb.762:
	s_or_b32 exec_lo, exec_lo, s25
	s_delay_alu instid0(VALU_DEP_1)
	v_lshrrev_b32_e32 v27, 16, v27
.LBB101_763:
	s_or_b32 exec_lo, exec_lo, s23
	v_cndmask_b32_e64 v22, v22, 1, s22
	ds_store_b16 v15, v27 offset:4
	ds_store_b8 v15, v22 offset:6
.LBB101_764:
	s_or_b32 exec_lo, exec_lo, s24
	v_and_b32_e32 v22, 0xffff, v24
	v_cmp_eq_u32_e64 s21, 0, v0
	s_mov_b32 s23, exec_lo
	s_waitcnt lgkmcnt(0)
	s_barrier
	buffer_gl0_inv
	v_cmpx_ne_u32_e32 0, v0
	s_cbranch_execz .LBB101_772
; %bb.765:
	v_add_nc_u32_e32 v15, -1, v0
	s_mov_b32 s24, exec_lo
	s_delay_alu instid0(VALU_DEP_1) | instskip(NEXT) | instid1(VALU_DEP_1)
	v_lshrrev_b32_e32 v24, 5, v15
	v_add_lshl_u32 v15, v24, v15, 2
	ds_load_u8 v26, v15 offset:2
	ds_load_u16 v24, v15
	s_waitcnt lgkmcnt(1)
	v_cmpx_eq_u16_e32 0, v26
	s_cbranch_execz .LBB101_771
; %bb.766:
	v_lshlrev_b32_e32 v15, 16, v22
	s_waitcnt lgkmcnt(0)
	v_lshlrev_b32_e32 v24, 16, v24
	s_delay_alu instid0(VALU_DEP_1) | instskip(NEXT) | instid1(VALU_DEP_1)
	v_add_f32_e32 v15, v15, v24
	v_and_b32_e32 v24, 0x7f800000, v15
	s_delay_alu instid0(VALU_DEP_1) | instskip(NEXT) | instid1(VALU_DEP_1)
	v_cmp_ne_u32_e64 s22, 0x7f800000, v24
                                        ; implicit-def: $vgpr24
	s_and_saveexec_b32 s25, s22
	s_delay_alu instid0(SALU_CYCLE_1)
	s_xor_b32 s22, exec_lo, s25
; %bb.767:
	v_bfe_u32 v24, v15, 16, 1
	s_delay_alu instid0(VALU_DEP_1)
	v_add3_u32 v24, v15, v24, 0x7fff
                                        ; implicit-def: $vgpr15
; %bb.768:
	s_and_not1_saveexec_b32 s25, s22
; %bb.769:
	v_and_b32_e32 v24, 0xffff, v15
	v_or_b32_e32 v26, 0x10000, v15
	s_delay_alu instid0(VALU_DEP_2) | instskip(NEXT) | instid1(VALU_DEP_1)
	v_cmp_eq_u32_e64 s22, 0, v24
	v_cndmask_b32_e64 v24, v26, v15, s22
; %bb.770:
	s_or_b32 exec_lo, exec_lo, s25
	s_delay_alu instid0(VALU_DEP_1)
	v_lshrrev_b32_e32 v24, 16, v24
.LBB101_771:
	s_or_b32 exec_lo, exec_lo, s24
.LBB101_772:
	s_delay_alu instid0(SALU_CYCLE_1) | instskip(SKIP_2) | instid1(VALU_DEP_1)
	s_or_b32 exec_lo, exec_lo, s23
	v_and_b32_e32 v15, 0xff0000, v25
	s_mov_b32 s23, exec_lo
	v_cmpx_eq_u32_e32 0, v15
	s_cbranch_execz .LBB101_833
; %bb.773:
	s_waitcnt lgkmcnt(0)
	v_lshlrev_b32_e32 v15, 16, v24
	s_delay_alu instid0(VALU_DEP_1) | instskip(NEXT) | instid1(VALU_DEP_1)
	v_add_f32_e32 v14, v14, v15
	v_and_b32_e32 v15, 0x7f800000, v14
	s_delay_alu instid0(VALU_DEP_1) | instskip(NEXT) | instid1(VALU_DEP_1)
	v_cmp_ne_u32_e64 s22, 0x7f800000, v15
                                        ; implicit-def: $vgpr15
	s_and_saveexec_b32 s24, s22
	s_delay_alu instid0(SALU_CYCLE_1)
	s_xor_b32 s22, exec_lo, s24
; %bb.774:
	v_bfe_u32 v15, v14, 16, 1
	s_delay_alu instid0(VALU_DEP_1)
	v_add3_u32 v15, v14, v15, 0x7fff
                                        ; implicit-def: $vgpr14
; %bb.775:
	s_and_not1_saveexec_b32 s24, s22
; %bb.776:
	v_and_b32_e32 v15, 0xffff, v14
	v_or_b32_e32 v25, 0x10000, v14
	s_delay_alu instid0(VALU_DEP_2) | instskip(NEXT) | instid1(VALU_DEP_1)
	v_cmp_eq_u32_e64 s22, 0, v15
	v_cndmask_b32_e64 v15, v25, v14, s22
; %bb.777:
	s_or_b32 exec_lo, exec_lo, s24
	s_delay_alu instid0(VALU_DEP_1)
	v_lshrrev_b32_e32 v25, 16, v15
	s_or_b32 exec_lo, exec_lo, s23
	s_and_saveexec_b32 s22, vcc_lo
	s_cbranch_execnz .LBB101_834
.LBB101_778:
	s_or_b32 exec_lo, exec_lo, s22
	v_and_b32_e32 v26, 0xffff, v42
	s_and_saveexec_b32 s22, s2
	s_cbranch_execz .LBB101_839
.LBB101_779:
	s_delay_alu instid0(VALU_DEP_1) | instskip(NEXT) | instid1(VALU_DEP_1)
	v_lshlrev_b32_e32 v2, 16, v26
	v_add_f32_e32 v1, v1, v2
	s_delay_alu instid0(VALU_DEP_1) | instskip(NEXT) | instid1(VALU_DEP_1)
	v_and_b32_e32 v2, 0x7f800000, v1
	v_cmp_ne_u32_e32 vcc_lo, 0x7f800000, v2
                                        ; implicit-def: $vgpr2
	s_and_saveexec_b32 s2, vcc_lo
	s_delay_alu instid0(SALU_CYCLE_1)
	s_xor_b32 s2, exec_lo, s2
; %bb.780:
	v_bfe_u32 v2, v1, 16, 1
	s_delay_alu instid0(VALU_DEP_1)
	v_add3_u32 v2, v1, v2, 0x7fff
                                        ; implicit-def: $vgpr1
; %bb.781:
	s_and_not1_saveexec_b32 s2, s2
; %bb.782:
	v_and_b32_e32 v2, 0xffff, v1
	v_or_b32_e32 v14, 0x10000, v1
	s_delay_alu instid0(VALU_DEP_2) | instskip(NEXT) | instid1(VALU_DEP_2)
	v_cmp_eq_u32_e32 vcc_lo, 0, v2
	v_cndmask_b32_e32 v2, v14, v1, vcc_lo
; %bb.783:
	s_or_b32 exec_lo, exec_lo, s2
	s_delay_alu instid0(VALU_DEP_1) | instskip(SKIP_1) | instid1(VALU_DEP_1)
	v_lshrrev_b32_e32 v37, 16, v2
	s_or_b32 exec_lo, exec_lo, s22
	v_and_b32_e32 v2, 0xffff, v37
	s_and_saveexec_b32 s2, s3
	s_cbranch_execnz .LBB101_840
.LBB101_784:
	s_or_b32 exec_lo, exec_lo, s2
	v_and_b32_e32 v3, 0xffff, v33
	s_and_saveexec_b32 s2, s4
	s_cbranch_execz .LBB101_845
.LBB101_785:
	s_delay_alu instid0(VALU_DEP_1) | instskip(NEXT) | instid1(VALU_DEP_1)
	v_lshlrev_b32_e32 v1, 16, v3
	v_add_f32_e32 v1, v4, v1
	s_delay_alu instid0(VALU_DEP_1) | instskip(NEXT) | instid1(VALU_DEP_1)
	v_and_b32_e32 v4, 0x7f800000, v1
	v_cmp_ne_u32_e32 vcc_lo, 0x7f800000, v4
                                        ; implicit-def: $vgpr4
	s_and_saveexec_b32 s3, vcc_lo
	s_delay_alu instid0(SALU_CYCLE_1)
	s_xor_b32 s3, exec_lo, s3
; %bb.786:
	v_bfe_u32 v4, v1, 16, 1
	s_delay_alu instid0(VALU_DEP_1)
	v_add3_u32 v4, v1, v4, 0x7fff
                                        ; implicit-def: $vgpr1
; %bb.787:
	s_and_not1_saveexec_b32 s3, s3
; %bb.788:
	v_and_b32_e32 v4, 0xffff, v1
	v_or_b32_e32 v14, 0x10000, v1
	s_delay_alu instid0(VALU_DEP_2) | instskip(NEXT) | instid1(VALU_DEP_2)
	v_cmp_eq_u32_e32 vcc_lo, 0, v4
	v_cndmask_b32_e32 v4, v14, v1, vcc_lo
; %bb.789:
	s_or_b32 exec_lo, exec_lo, s3
	s_delay_alu instid0(VALU_DEP_1) | instskip(SKIP_1) | instid1(VALU_DEP_1)
	v_lshrrev_b32_e32 v36, 16, v4
	s_or_b32 exec_lo, exec_lo, s2
	v_and_b32_e32 v4, 0xffff, v36
	s_and_saveexec_b32 s2, s5
	s_cbranch_execnz .LBB101_846
.LBB101_790:
	s_or_b32 exec_lo, exec_lo, s2
	v_and_b32_e32 v5, 0xffff, v28
	s_and_saveexec_b32 s2, s6
	s_cbranch_execz .LBB101_851
.LBB101_791:
	s_delay_alu instid0(VALU_DEP_1) | instskip(NEXT) | instid1(VALU_DEP_1)
	v_lshlrev_b32_e32 v1, 16, v5
	v_add_f32_e32 v1, v6, v1
	s_delay_alu instid0(VALU_DEP_1) | instskip(NEXT) | instid1(VALU_DEP_1)
	v_and_b32_e32 v6, 0x7f800000, v1
	v_cmp_ne_u32_e32 vcc_lo, 0x7f800000, v6
                                        ; implicit-def: $vgpr6
	s_and_saveexec_b32 s3, vcc_lo
	s_delay_alu instid0(SALU_CYCLE_1)
	s_xor_b32 s3, exec_lo, s3
; %bb.792:
	v_bfe_u32 v6, v1, 16, 1
	s_delay_alu instid0(VALU_DEP_1)
	v_add3_u32 v6, v1, v6, 0x7fff
                                        ; implicit-def: $vgpr1
; %bb.793:
	s_and_not1_saveexec_b32 s3, s3
; %bb.794:
	v_and_b32_e32 v6, 0xffff, v1
	v_or_b32_e32 v14, 0x10000, v1
	s_delay_alu instid0(VALU_DEP_2) | instskip(NEXT) | instid1(VALU_DEP_2)
	v_cmp_eq_u32_e32 vcc_lo, 0, v6
	v_cndmask_b32_e32 v6, v14, v1, vcc_lo
; %bb.795:
	s_or_b32 exec_lo, exec_lo, s3
	s_delay_alu instid0(VALU_DEP_1) | instskip(SKIP_1) | instid1(VALU_DEP_1)
	v_lshrrev_b32_e32 v35, 16, v6
	s_or_b32 exec_lo, exec_lo, s2
	v_and_b32_e32 v6, 0xffff, v35
	s_and_saveexec_b32 s2, s7
	s_cbranch_execnz .LBB101_852
.LBB101_796:
	s_or_b32 exec_lo, exec_lo, s2
	v_and_b32_e32 v7, 0xffff, v34
	s_and_saveexec_b32 s2, s8
	s_cbranch_execz .LBB101_857
.LBB101_797:
	s_delay_alu instid0(VALU_DEP_1) | instskip(NEXT) | instid1(VALU_DEP_1)
	v_lshlrev_b32_e32 v1, 16, v7
	v_add_f32_e32 v1, v8, v1
	s_delay_alu instid0(VALU_DEP_1) | instskip(NEXT) | instid1(VALU_DEP_1)
	v_and_b32_e32 v8, 0x7f800000, v1
	v_cmp_ne_u32_e32 vcc_lo, 0x7f800000, v8
                                        ; implicit-def: $vgpr8
	s_and_saveexec_b32 s3, vcc_lo
	s_delay_alu instid0(SALU_CYCLE_1)
	s_xor_b32 s3, exec_lo, s3
; %bb.798:
	v_bfe_u32 v8, v1, 16, 1
	s_delay_alu instid0(VALU_DEP_1)
	v_add3_u32 v8, v1, v8, 0x7fff
                                        ; implicit-def: $vgpr1
; %bb.799:
	s_and_not1_saveexec_b32 s3, s3
; %bb.800:
	v_and_b32_e32 v8, 0xffff, v1
	v_or_b32_e32 v14, 0x10000, v1
	s_delay_alu instid0(VALU_DEP_2) | instskip(NEXT) | instid1(VALU_DEP_2)
	v_cmp_eq_u32_e32 vcc_lo, 0, v8
	v_cndmask_b32_e32 v8, v14, v1, vcc_lo
; %bb.801:
	s_or_b32 exec_lo, exec_lo, s3
	s_delay_alu instid0(VALU_DEP_1) | instskip(SKIP_1) | instid1(VALU_DEP_1)
	v_lshrrev_b32_e32 v38, 16, v8
	s_or_b32 exec_lo, exec_lo, s2
	v_and_b32_e32 v8, 0xffff, v38
	s_and_saveexec_b32 s2, s9
	s_cbranch_execnz .LBB101_858
.LBB101_802:
	s_or_b32 exec_lo, exec_lo, s2
	v_and_b32_e32 v9, 0xffff, v39
	s_and_saveexec_b32 s2, s10
	s_cbranch_execz .LBB101_863
.LBB101_803:
	s_delay_alu instid0(VALU_DEP_1) | instskip(NEXT) | instid1(VALU_DEP_1)
	v_lshlrev_b32_e32 v1, 16, v9
	v_add_f32_e32 v1, v10, v1
	s_delay_alu instid0(VALU_DEP_1) | instskip(NEXT) | instid1(VALU_DEP_1)
	v_and_b32_e32 v10, 0x7f800000, v1
	v_cmp_ne_u32_e32 vcc_lo, 0x7f800000, v10
                                        ; implicit-def: $vgpr10
	s_and_saveexec_b32 s3, vcc_lo
	s_delay_alu instid0(SALU_CYCLE_1)
	s_xor_b32 s3, exec_lo, s3
; %bb.804:
	v_bfe_u32 v10, v1, 16, 1
	s_delay_alu instid0(VALU_DEP_1)
	v_add3_u32 v10, v1, v10, 0x7fff
                                        ; implicit-def: $vgpr1
; %bb.805:
	s_and_not1_saveexec_b32 s3, s3
; %bb.806:
	v_and_b32_e32 v10, 0xffff, v1
	v_or_b32_e32 v14, 0x10000, v1
	s_delay_alu instid0(VALU_DEP_2) | instskip(NEXT) | instid1(VALU_DEP_2)
	v_cmp_eq_u32_e32 vcc_lo, 0, v10
	v_cndmask_b32_e32 v10, v14, v1, vcc_lo
; %bb.807:
	s_or_b32 exec_lo, exec_lo, s3
	s_delay_alu instid0(VALU_DEP_1) | instskip(SKIP_1) | instid1(VALU_DEP_1)
	v_lshrrev_b32_e32 v40, 16, v10
	s_or_b32 exec_lo, exec_lo, s2
	v_and_b32_e32 v10, 0xffff, v40
	s_and_saveexec_b32 s2, s11
	s_cbranch_execnz .LBB101_864
.LBB101_808:
	s_or_b32 exec_lo, exec_lo, s2
	v_and_b32_e32 v11, 0xffff, v41
	s_and_saveexec_b32 s2, s12
	s_cbranch_execz .LBB101_869
.LBB101_809:
	s_delay_alu instid0(VALU_DEP_1) | instskip(NEXT) | instid1(VALU_DEP_1)
	v_lshlrev_b32_e32 v1, 16, v11
	v_add_f32_e32 v1, v12, v1
	s_delay_alu instid0(VALU_DEP_1) | instskip(NEXT) | instid1(VALU_DEP_1)
	v_and_b32_e32 v12, 0x7f800000, v1
	v_cmp_ne_u32_e32 vcc_lo, 0x7f800000, v12
                                        ; implicit-def: $vgpr12
	s_and_saveexec_b32 s3, vcc_lo
	s_delay_alu instid0(SALU_CYCLE_1)
	s_xor_b32 s3, exec_lo, s3
; %bb.810:
	v_bfe_u32 v12, v1, 16, 1
	s_delay_alu instid0(VALU_DEP_1)
	v_add3_u32 v12, v1, v12, 0x7fff
                                        ; implicit-def: $vgpr1
; %bb.811:
	s_and_not1_saveexec_b32 s3, s3
; %bb.812:
	v_and_b32_e32 v12, 0xffff, v1
	v_or_b32_e32 v14, 0x10000, v1
	s_delay_alu instid0(VALU_DEP_2) | instskip(NEXT) | instid1(VALU_DEP_2)
	v_cmp_eq_u32_e32 vcc_lo, 0, v12
	v_cndmask_b32_e32 v12, v14, v1, vcc_lo
; %bb.813:
	s_or_b32 exec_lo, exec_lo, s3
	s_delay_alu instid0(VALU_DEP_1) | instskip(SKIP_1) | instid1(VALU_DEP_1)
	v_lshrrev_b32_e32 v43, 16, v12
	s_or_b32 exec_lo, exec_lo, s2
	v_and_b32_e32 v14, 0xffff, v43
	s_and_saveexec_b32 s2, s13
	s_cbranch_execnz .LBB101_870
.LBB101_814:
	s_or_b32 exec_lo, exec_lo, s2
	v_and_b32_e32 v15, 0xffff, v44
	s_and_saveexec_b32 s2, s14
	s_cbranch_execz .LBB101_875
.LBB101_815:
	s_delay_alu instid0(VALU_DEP_1) | instskip(NEXT) | instid1(VALU_DEP_1)
	v_lshlrev_b32_e32 v1, 16, v15
	v_add_f32_e32 v1, v16, v1
	s_delay_alu instid0(VALU_DEP_1) | instskip(NEXT) | instid1(VALU_DEP_1)
	v_and_b32_e32 v12, 0x7f800000, v1
	v_cmp_ne_u32_e32 vcc_lo, 0x7f800000, v12
                                        ; implicit-def: $vgpr12
	s_and_saveexec_b32 s3, vcc_lo
	s_delay_alu instid0(SALU_CYCLE_1)
	s_xor_b32 s3, exec_lo, s3
; %bb.816:
	v_bfe_u32 v12, v1, 16, 1
	s_delay_alu instid0(VALU_DEP_1)
	v_add3_u32 v12, v1, v12, 0x7fff
                                        ; implicit-def: $vgpr1
; %bb.817:
	s_and_not1_saveexec_b32 s3, s3
; %bb.818:
	v_and_b32_e32 v12, 0xffff, v1
	v_or_b32_e32 v13, 0x10000, v1
	s_delay_alu instid0(VALU_DEP_2) | instskip(NEXT) | instid1(VALU_DEP_2)
	v_cmp_eq_u32_e32 vcc_lo, 0, v12
	v_cndmask_b32_e32 v12, v13, v1, vcc_lo
; %bb.819:
	s_or_b32 exec_lo, exec_lo, s3
	s_delay_alu instid0(VALU_DEP_1) | instskip(SKIP_1) | instid1(VALU_DEP_1)
	v_lshrrev_b32_e32 v45, 16, v12
	s_or_b32 exec_lo, exec_lo, s2
	v_and_b32_e32 v16, 0xffff, v45
	s_and_saveexec_b32 s2, s15
	s_cbranch_execnz .LBB101_876
.LBB101_820:
	s_or_b32 exec_lo, exec_lo, s2
	v_and_b32_e32 v17, 0xffff, v46
	s_and_saveexec_b32 s2, s16
	s_cbranch_execz .LBB101_881
.LBB101_821:
	s_delay_alu instid0(VALU_DEP_1) | instskip(NEXT) | instid1(VALU_DEP_1)
	v_lshlrev_b32_e32 v1, 16, v17
	v_add_f32_e32 v1, v18, v1
	s_delay_alu instid0(VALU_DEP_1) | instskip(NEXT) | instid1(VALU_DEP_1)
	v_and_b32_e32 v12, 0x7f800000, v1
	v_cmp_ne_u32_e32 vcc_lo, 0x7f800000, v12
                                        ; implicit-def: $vgpr12
	s_and_saveexec_b32 s3, vcc_lo
	s_delay_alu instid0(SALU_CYCLE_1)
	s_xor_b32 s3, exec_lo, s3
; %bb.822:
	v_bfe_u32 v12, v1, 16, 1
	s_delay_alu instid0(VALU_DEP_1)
	v_add3_u32 v12, v1, v12, 0x7fff
                                        ; implicit-def: $vgpr1
; %bb.823:
	s_and_not1_saveexec_b32 s3, s3
; %bb.824:
	v_and_b32_e32 v12, 0xffff, v1
	v_or_b32_e32 v13, 0x10000, v1
	s_delay_alu instid0(VALU_DEP_2) | instskip(NEXT) | instid1(VALU_DEP_2)
	v_cmp_eq_u32_e32 vcc_lo, 0, v12
	v_cndmask_b32_e32 v12, v13, v1, vcc_lo
; %bb.825:
	s_or_b32 exec_lo, exec_lo, s3
	s_delay_alu instid0(VALU_DEP_1) | instskip(SKIP_1) | instid1(VALU_DEP_1)
	v_lshrrev_b32_e32 v47, 16, v12
	s_or_b32 exec_lo, exec_lo, s2
	v_and_b32_e32 v18, 0xffff, v47
	s_and_saveexec_b32 s2, s17
	s_cbranch_execnz .LBB101_882
.LBB101_826:
	s_or_b32 exec_lo, exec_lo, s2
	v_and_b32_e32 v19, 0xffff, v48
	s_and_saveexec_b32 s2, s18
	s_cbranch_execz .LBB101_887
.LBB101_827:
	s_delay_alu instid0(VALU_DEP_1) | instskip(NEXT) | instid1(VALU_DEP_1)
	v_lshlrev_b32_e32 v1, 16, v19
	v_add_f32_e32 v1, v20, v1
	s_delay_alu instid0(VALU_DEP_1) | instskip(NEXT) | instid1(VALU_DEP_1)
	v_and_b32_e32 v12, 0x7f800000, v1
	v_cmp_ne_u32_e32 vcc_lo, 0x7f800000, v12
                                        ; implicit-def: $vgpr12
	s_and_saveexec_b32 s3, vcc_lo
	s_delay_alu instid0(SALU_CYCLE_1)
	s_xor_b32 s3, exec_lo, s3
; %bb.828:
	v_bfe_u32 v12, v1, 16, 1
	s_delay_alu instid0(VALU_DEP_1)
	v_add3_u32 v12, v1, v12, 0x7fff
                                        ; implicit-def: $vgpr1
; %bb.829:
	s_and_not1_saveexec_b32 s3, s3
; %bb.830:
	v_and_b32_e32 v12, 0xffff, v1
	v_or_b32_e32 v13, 0x10000, v1
	s_delay_alu instid0(VALU_DEP_2) | instskip(NEXT) | instid1(VALU_DEP_2)
	v_cmp_eq_u32_e32 vcc_lo, 0, v12
	v_cndmask_b32_e32 v12, v13, v1, vcc_lo
; %bb.831:
	s_or_b32 exec_lo, exec_lo, s3
	s_delay_alu instid0(VALU_DEP_1) | instskip(SKIP_1) | instid1(VALU_DEP_1)
	v_lshrrev_b32_e32 v31, 16, v12
	s_or_b32 exec_lo, exec_lo, s2
	v_and_b32_e32 v20, 0xffff, v31
	s_and_saveexec_b32 s2, s19
	s_cbranch_execnz .LBB101_888
.LBB101_832:
	s_or_b32 exec_lo, exec_lo, s2
	v_and_b32_e32 v21, 0xffff, v32
	s_and_saveexec_b32 s2, s20
	s_cbranch_execnz .LBB101_893
	s_branch .LBB101_898
.LBB101_833:
	s_or_b32 exec_lo, exec_lo, s23
	s_and_saveexec_b32 s22, vcc_lo
	s_cbranch_execz .LBB101_778
.LBB101_834:
	s_delay_alu instid0(VALU_DEP_1) | instskip(NEXT) | instid1(VALU_DEP_1)
	v_lshlrev_b32_e32 v14, 16, v25
	v_add_f32_e32 v2, v2, v14
	s_delay_alu instid0(VALU_DEP_1) | instskip(NEXT) | instid1(VALU_DEP_1)
	v_and_b32_e32 v14, 0x7f800000, v2
	v_cmp_ne_u32_e32 vcc_lo, 0x7f800000, v14
                                        ; implicit-def: $vgpr14
	s_and_saveexec_b32 s23, vcc_lo
	s_delay_alu instid0(SALU_CYCLE_1)
	s_xor_b32 s23, exec_lo, s23
; %bb.835:
	v_bfe_u32 v14, v2, 16, 1
	s_delay_alu instid0(VALU_DEP_1)
	v_add3_u32 v14, v2, v14, 0x7fff
                                        ; implicit-def: $vgpr2
; %bb.836:
	s_and_not1_saveexec_b32 s23, s23
; %bb.837:
	v_and_b32_e32 v14, 0xffff, v2
	v_or_b32_e32 v15, 0x10000, v2
	s_delay_alu instid0(VALU_DEP_2) | instskip(NEXT) | instid1(VALU_DEP_2)
	v_cmp_eq_u32_e32 vcc_lo, 0, v14
	v_cndmask_b32_e32 v14, v15, v2, vcc_lo
; %bb.838:
	s_or_b32 exec_lo, exec_lo, s23
	s_delay_alu instid0(VALU_DEP_1) | instskip(SKIP_1) | instid1(VALU_DEP_1)
	v_lshrrev_b32_e32 v42, 16, v14
	s_or_b32 exec_lo, exec_lo, s22
	v_and_b32_e32 v26, 0xffff, v42
	s_and_saveexec_b32 s22, s2
	s_cbranch_execnz .LBB101_779
.LBB101_839:
	s_or_b32 exec_lo, exec_lo, s22
	v_and_b32_e32 v2, 0xffff, v37
	s_and_saveexec_b32 s2, s3
	s_cbranch_execz .LBB101_784
.LBB101_840:
	s_delay_alu instid0(VALU_DEP_1) | instskip(NEXT) | instid1(VALU_DEP_1)
	v_lshlrev_b32_e32 v1, 16, v2
	v_add_f32_e32 v1, v3, v1
	s_delay_alu instid0(VALU_DEP_1) | instskip(NEXT) | instid1(VALU_DEP_1)
	v_and_b32_e32 v3, 0x7f800000, v1
	v_cmp_ne_u32_e32 vcc_lo, 0x7f800000, v3
                                        ; implicit-def: $vgpr3
	s_and_saveexec_b32 s3, vcc_lo
	s_delay_alu instid0(SALU_CYCLE_1)
	s_xor_b32 s3, exec_lo, s3
; %bb.841:
	v_bfe_u32 v3, v1, 16, 1
	s_delay_alu instid0(VALU_DEP_1)
	v_add3_u32 v3, v1, v3, 0x7fff
                                        ; implicit-def: $vgpr1
; %bb.842:
	s_and_not1_saveexec_b32 s3, s3
; %bb.843:
	v_and_b32_e32 v3, 0xffff, v1
	v_or_b32_e32 v14, 0x10000, v1
	s_delay_alu instid0(VALU_DEP_2) | instskip(NEXT) | instid1(VALU_DEP_2)
	v_cmp_eq_u32_e32 vcc_lo, 0, v3
	v_cndmask_b32_e32 v3, v14, v1, vcc_lo
; %bb.844:
	s_or_b32 exec_lo, exec_lo, s3
	s_delay_alu instid0(VALU_DEP_1) | instskip(SKIP_1) | instid1(VALU_DEP_1)
	v_lshrrev_b32_e32 v33, 16, v3
	s_or_b32 exec_lo, exec_lo, s2
	v_and_b32_e32 v3, 0xffff, v33
	s_and_saveexec_b32 s2, s4
	s_cbranch_execnz .LBB101_785
.LBB101_845:
	s_or_b32 exec_lo, exec_lo, s2
	v_and_b32_e32 v4, 0xffff, v36
	s_and_saveexec_b32 s2, s5
	s_cbranch_execz .LBB101_790
.LBB101_846:
	s_delay_alu instid0(VALU_DEP_1) | instskip(NEXT) | instid1(VALU_DEP_1)
	v_lshlrev_b32_e32 v1, 16, v4
	v_add_f32_e32 v1, v5, v1
	s_delay_alu instid0(VALU_DEP_1) | instskip(NEXT) | instid1(VALU_DEP_1)
	v_and_b32_e32 v5, 0x7f800000, v1
	v_cmp_ne_u32_e32 vcc_lo, 0x7f800000, v5
                                        ; implicit-def: $vgpr5
	s_and_saveexec_b32 s3, vcc_lo
	s_delay_alu instid0(SALU_CYCLE_1)
	s_xor_b32 s3, exec_lo, s3
; %bb.847:
	v_bfe_u32 v5, v1, 16, 1
	s_delay_alu instid0(VALU_DEP_1)
	v_add3_u32 v5, v1, v5, 0x7fff
                                        ; implicit-def: $vgpr1
; %bb.848:
	s_and_not1_saveexec_b32 s3, s3
; %bb.849:
	v_and_b32_e32 v5, 0xffff, v1
	v_or_b32_e32 v14, 0x10000, v1
	s_delay_alu instid0(VALU_DEP_2) | instskip(NEXT) | instid1(VALU_DEP_2)
	v_cmp_eq_u32_e32 vcc_lo, 0, v5
	v_cndmask_b32_e32 v5, v14, v1, vcc_lo
; %bb.850:
	s_or_b32 exec_lo, exec_lo, s3
	s_delay_alu instid0(VALU_DEP_1) | instskip(SKIP_1) | instid1(VALU_DEP_1)
	v_lshrrev_b32_e32 v28, 16, v5
	s_or_b32 exec_lo, exec_lo, s2
	v_and_b32_e32 v5, 0xffff, v28
	s_and_saveexec_b32 s2, s6
	s_cbranch_execnz .LBB101_791
.LBB101_851:
	s_or_b32 exec_lo, exec_lo, s2
	v_and_b32_e32 v6, 0xffff, v35
	s_and_saveexec_b32 s2, s7
	s_cbranch_execz .LBB101_796
.LBB101_852:
	s_delay_alu instid0(VALU_DEP_1) | instskip(NEXT) | instid1(VALU_DEP_1)
	v_lshlrev_b32_e32 v1, 16, v6
	v_add_f32_e32 v1, v7, v1
	s_delay_alu instid0(VALU_DEP_1) | instskip(NEXT) | instid1(VALU_DEP_1)
	v_and_b32_e32 v7, 0x7f800000, v1
	v_cmp_ne_u32_e32 vcc_lo, 0x7f800000, v7
                                        ; implicit-def: $vgpr7
	s_and_saveexec_b32 s3, vcc_lo
	s_delay_alu instid0(SALU_CYCLE_1)
	s_xor_b32 s3, exec_lo, s3
; %bb.853:
	v_bfe_u32 v7, v1, 16, 1
	s_delay_alu instid0(VALU_DEP_1)
	v_add3_u32 v7, v1, v7, 0x7fff
                                        ; implicit-def: $vgpr1
; %bb.854:
	s_and_not1_saveexec_b32 s3, s3
; %bb.855:
	v_and_b32_e32 v7, 0xffff, v1
	v_or_b32_e32 v14, 0x10000, v1
	s_delay_alu instid0(VALU_DEP_2) | instskip(NEXT) | instid1(VALU_DEP_2)
	v_cmp_eq_u32_e32 vcc_lo, 0, v7
	v_cndmask_b32_e32 v7, v14, v1, vcc_lo
; %bb.856:
	s_or_b32 exec_lo, exec_lo, s3
	s_delay_alu instid0(VALU_DEP_1) | instskip(SKIP_1) | instid1(VALU_DEP_1)
	v_lshrrev_b32_e32 v34, 16, v7
	s_or_b32 exec_lo, exec_lo, s2
	v_and_b32_e32 v7, 0xffff, v34
	s_and_saveexec_b32 s2, s8
	s_cbranch_execnz .LBB101_797
.LBB101_857:
	s_or_b32 exec_lo, exec_lo, s2
	v_and_b32_e32 v8, 0xffff, v38
	s_and_saveexec_b32 s2, s9
	s_cbranch_execz .LBB101_802
.LBB101_858:
	s_delay_alu instid0(VALU_DEP_1) | instskip(NEXT) | instid1(VALU_DEP_1)
	v_lshlrev_b32_e32 v1, 16, v8
	v_add_f32_e32 v1, v9, v1
	s_delay_alu instid0(VALU_DEP_1) | instskip(NEXT) | instid1(VALU_DEP_1)
	v_and_b32_e32 v9, 0x7f800000, v1
	v_cmp_ne_u32_e32 vcc_lo, 0x7f800000, v9
                                        ; implicit-def: $vgpr9
	s_and_saveexec_b32 s3, vcc_lo
	s_delay_alu instid0(SALU_CYCLE_1)
	s_xor_b32 s3, exec_lo, s3
; %bb.859:
	v_bfe_u32 v9, v1, 16, 1
	s_delay_alu instid0(VALU_DEP_1)
	v_add3_u32 v9, v1, v9, 0x7fff
                                        ; implicit-def: $vgpr1
; %bb.860:
	s_and_not1_saveexec_b32 s3, s3
; %bb.861:
	v_and_b32_e32 v9, 0xffff, v1
	v_or_b32_e32 v14, 0x10000, v1
	s_delay_alu instid0(VALU_DEP_2) | instskip(NEXT) | instid1(VALU_DEP_2)
	v_cmp_eq_u32_e32 vcc_lo, 0, v9
	v_cndmask_b32_e32 v9, v14, v1, vcc_lo
; %bb.862:
	s_or_b32 exec_lo, exec_lo, s3
	s_delay_alu instid0(VALU_DEP_1) | instskip(SKIP_1) | instid1(VALU_DEP_1)
	v_lshrrev_b32_e32 v39, 16, v9
	s_or_b32 exec_lo, exec_lo, s2
	v_and_b32_e32 v9, 0xffff, v39
	s_and_saveexec_b32 s2, s10
	s_cbranch_execnz .LBB101_803
.LBB101_863:
	s_or_b32 exec_lo, exec_lo, s2
	v_and_b32_e32 v10, 0xffff, v40
	s_and_saveexec_b32 s2, s11
	s_cbranch_execz .LBB101_808
.LBB101_864:
	s_delay_alu instid0(VALU_DEP_1) | instskip(NEXT) | instid1(VALU_DEP_1)
	v_lshlrev_b32_e32 v1, 16, v10
	v_add_f32_e32 v1, v11, v1
	s_delay_alu instid0(VALU_DEP_1) | instskip(NEXT) | instid1(VALU_DEP_1)
	v_and_b32_e32 v11, 0x7f800000, v1
	v_cmp_ne_u32_e32 vcc_lo, 0x7f800000, v11
                                        ; implicit-def: $vgpr11
	s_and_saveexec_b32 s3, vcc_lo
	s_delay_alu instid0(SALU_CYCLE_1)
	s_xor_b32 s3, exec_lo, s3
; %bb.865:
	v_bfe_u32 v11, v1, 16, 1
	s_delay_alu instid0(VALU_DEP_1)
	v_add3_u32 v11, v1, v11, 0x7fff
                                        ; implicit-def: $vgpr1
; %bb.866:
	s_and_not1_saveexec_b32 s3, s3
; %bb.867:
	v_and_b32_e32 v11, 0xffff, v1
	v_or_b32_e32 v14, 0x10000, v1
	s_delay_alu instid0(VALU_DEP_2) | instskip(NEXT) | instid1(VALU_DEP_2)
	v_cmp_eq_u32_e32 vcc_lo, 0, v11
	v_cndmask_b32_e32 v11, v14, v1, vcc_lo
; %bb.868:
	s_or_b32 exec_lo, exec_lo, s3
	s_delay_alu instid0(VALU_DEP_1) | instskip(SKIP_1) | instid1(VALU_DEP_1)
	v_lshrrev_b32_e32 v41, 16, v11
	s_or_b32 exec_lo, exec_lo, s2
	v_and_b32_e32 v11, 0xffff, v41
	s_and_saveexec_b32 s2, s12
	s_cbranch_execnz .LBB101_809
.LBB101_869:
	s_or_b32 exec_lo, exec_lo, s2
	v_and_b32_e32 v14, 0xffff, v43
	s_and_saveexec_b32 s2, s13
	s_cbranch_execz .LBB101_814
.LBB101_870:
	s_delay_alu instid0(VALU_DEP_1) | instskip(NEXT) | instid1(VALU_DEP_1)
	v_lshlrev_b32_e32 v1, 16, v14
	v_add_f32_e32 v1, v13, v1
	s_delay_alu instid0(VALU_DEP_1) | instskip(NEXT) | instid1(VALU_DEP_1)
	v_and_b32_e32 v12, 0x7f800000, v1
	v_cmp_ne_u32_e32 vcc_lo, 0x7f800000, v12
                                        ; implicit-def: $vgpr12
	s_and_saveexec_b32 s3, vcc_lo
	s_delay_alu instid0(SALU_CYCLE_1)
	s_xor_b32 s3, exec_lo, s3
; %bb.871:
	v_bfe_u32 v12, v1, 16, 1
	s_delay_alu instid0(VALU_DEP_1)
	v_add3_u32 v12, v1, v12, 0x7fff
                                        ; implicit-def: $vgpr1
; %bb.872:
	s_and_not1_saveexec_b32 s3, s3
; %bb.873:
	v_and_b32_e32 v12, 0xffff, v1
	v_or_b32_e32 v13, 0x10000, v1
	s_delay_alu instid0(VALU_DEP_2) | instskip(NEXT) | instid1(VALU_DEP_2)
	v_cmp_eq_u32_e32 vcc_lo, 0, v12
	v_cndmask_b32_e32 v12, v13, v1, vcc_lo
; %bb.874:
	s_or_b32 exec_lo, exec_lo, s3
	s_delay_alu instid0(VALU_DEP_1) | instskip(SKIP_1) | instid1(VALU_DEP_1)
	v_lshrrev_b32_e32 v44, 16, v12
	s_or_b32 exec_lo, exec_lo, s2
	v_and_b32_e32 v15, 0xffff, v44
	s_and_saveexec_b32 s2, s14
	s_cbranch_execnz .LBB101_815
.LBB101_875:
	s_or_b32 exec_lo, exec_lo, s2
	v_and_b32_e32 v16, 0xffff, v45
	s_and_saveexec_b32 s2, s15
	s_cbranch_execz .LBB101_820
.LBB101_876:
	s_delay_alu instid0(VALU_DEP_1) | instskip(NEXT) | instid1(VALU_DEP_1)
	v_lshlrev_b32_e32 v1, 16, v16
	v_add_f32_e32 v1, v17, v1
	s_delay_alu instid0(VALU_DEP_1) | instskip(NEXT) | instid1(VALU_DEP_1)
	v_and_b32_e32 v12, 0x7f800000, v1
	v_cmp_ne_u32_e32 vcc_lo, 0x7f800000, v12
                                        ; implicit-def: $vgpr12
	s_and_saveexec_b32 s3, vcc_lo
	s_delay_alu instid0(SALU_CYCLE_1)
	s_xor_b32 s3, exec_lo, s3
; %bb.877:
	v_bfe_u32 v12, v1, 16, 1
	s_delay_alu instid0(VALU_DEP_1)
	v_add3_u32 v12, v1, v12, 0x7fff
                                        ; implicit-def: $vgpr1
; %bb.878:
	s_and_not1_saveexec_b32 s3, s3
; %bb.879:
	v_and_b32_e32 v12, 0xffff, v1
	v_or_b32_e32 v13, 0x10000, v1
	s_delay_alu instid0(VALU_DEP_2) | instskip(NEXT) | instid1(VALU_DEP_2)
	v_cmp_eq_u32_e32 vcc_lo, 0, v12
	v_cndmask_b32_e32 v12, v13, v1, vcc_lo
; %bb.880:
	s_or_b32 exec_lo, exec_lo, s3
	s_delay_alu instid0(VALU_DEP_1) | instskip(SKIP_1) | instid1(VALU_DEP_1)
	v_lshrrev_b32_e32 v46, 16, v12
	s_or_b32 exec_lo, exec_lo, s2
	v_and_b32_e32 v17, 0xffff, v46
	s_and_saveexec_b32 s2, s16
	s_cbranch_execnz .LBB101_821
.LBB101_881:
	s_or_b32 exec_lo, exec_lo, s2
	v_and_b32_e32 v18, 0xffff, v47
	s_and_saveexec_b32 s2, s17
	s_cbranch_execz .LBB101_826
.LBB101_882:
	s_delay_alu instid0(VALU_DEP_1) | instskip(NEXT) | instid1(VALU_DEP_1)
	v_lshlrev_b32_e32 v1, 16, v18
	v_add_f32_e32 v1, v19, v1
	s_delay_alu instid0(VALU_DEP_1) | instskip(NEXT) | instid1(VALU_DEP_1)
	v_and_b32_e32 v12, 0x7f800000, v1
	v_cmp_ne_u32_e32 vcc_lo, 0x7f800000, v12
                                        ; implicit-def: $vgpr12
	s_and_saveexec_b32 s3, vcc_lo
	s_delay_alu instid0(SALU_CYCLE_1)
	s_xor_b32 s3, exec_lo, s3
; %bb.883:
	v_bfe_u32 v12, v1, 16, 1
	s_delay_alu instid0(VALU_DEP_1)
	v_add3_u32 v12, v1, v12, 0x7fff
                                        ; implicit-def: $vgpr1
; %bb.884:
	s_and_not1_saveexec_b32 s3, s3
; %bb.885:
	v_and_b32_e32 v12, 0xffff, v1
	v_or_b32_e32 v13, 0x10000, v1
	s_delay_alu instid0(VALU_DEP_2) | instskip(NEXT) | instid1(VALU_DEP_2)
	v_cmp_eq_u32_e32 vcc_lo, 0, v12
	v_cndmask_b32_e32 v12, v13, v1, vcc_lo
; %bb.886:
	s_or_b32 exec_lo, exec_lo, s3
	s_delay_alu instid0(VALU_DEP_1) | instskip(SKIP_1) | instid1(VALU_DEP_1)
	v_lshrrev_b32_e32 v48, 16, v12
	s_or_b32 exec_lo, exec_lo, s2
	v_and_b32_e32 v19, 0xffff, v48
	s_and_saveexec_b32 s2, s18
	s_cbranch_execnz .LBB101_827
.LBB101_887:
	s_or_b32 exec_lo, exec_lo, s2
	v_and_b32_e32 v20, 0xffff, v31
	s_and_saveexec_b32 s2, s19
	s_cbranch_execz .LBB101_832
.LBB101_888:
	s_delay_alu instid0(VALU_DEP_1) | instskip(NEXT) | instid1(VALU_DEP_1)
	v_lshlrev_b32_e32 v1, 16, v20
	v_add_f32_e32 v1, v21, v1
	s_delay_alu instid0(VALU_DEP_1) | instskip(NEXT) | instid1(VALU_DEP_1)
	v_and_b32_e32 v12, 0x7f800000, v1
	v_cmp_ne_u32_e32 vcc_lo, 0x7f800000, v12
                                        ; implicit-def: $vgpr12
	s_and_saveexec_b32 s3, vcc_lo
	s_delay_alu instid0(SALU_CYCLE_1)
	s_xor_b32 s3, exec_lo, s3
; %bb.889:
	v_bfe_u32 v12, v1, 16, 1
	s_delay_alu instid0(VALU_DEP_1)
	v_add3_u32 v12, v1, v12, 0x7fff
                                        ; implicit-def: $vgpr1
; %bb.890:
	s_and_not1_saveexec_b32 s3, s3
; %bb.891:
	v_and_b32_e32 v12, 0xffff, v1
	v_or_b32_e32 v13, 0x10000, v1
	s_delay_alu instid0(VALU_DEP_2) | instskip(NEXT) | instid1(VALU_DEP_2)
	v_cmp_eq_u32_e32 vcc_lo, 0, v12
	v_cndmask_b32_e32 v12, v13, v1, vcc_lo
; %bb.892:
	s_or_b32 exec_lo, exec_lo, s3
	s_delay_alu instid0(VALU_DEP_1) | instskip(SKIP_1) | instid1(VALU_DEP_1)
	v_lshrrev_b32_e32 v32, 16, v12
	s_or_b32 exec_lo, exec_lo, s2
	v_and_b32_e32 v21, 0xffff, v32
	s_and_saveexec_b32 s2, s20
	s_cbranch_execz .LBB101_898
.LBB101_893:
	s_delay_alu instid0(VALU_DEP_1) | instskip(NEXT) | instid1(VALU_DEP_1)
	v_lshlrev_b32_e32 v1, 16, v21
	v_add_f32_e32 v1, v23, v1
	s_delay_alu instid0(VALU_DEP_1) | instskip(NEXT) | instid1(VALU_DEP_1)
	v_and_b32_e32 v12, 0x7f800000, v1
	v_cmp_ne_u32_e32 vcc_lo, 0x7f800000, v12
                                        ; implicit-def: $vgpr12
	s_and_saveexec_b32 s3, vcc_lo
	s_delay_alu instid0(SALU_CYCLE_1)
	s_xor_b32 s3, exec_lo, s3
; %bb.894:
	v_bfe_u32 v12, v1, 16, 1
	s_delay_alu instid0(VALU_DEP_1)
	v_add3_u32 v12, v1, v12, 0x7fff
                                        ; implicit-def: $vgpr1
; %bb.895:
	s_and_not1_saveexec_b32 s3, s3
; %bb.896:
	v_and_b32_e32 v12, 0xffff, v1
	v_or_b32_e32 v13, 0x10000, v1
	s_delay_alu instid0(VALU_DEP_2) | instskip(NEXT) | instid1(VALU_DEP_2)
	v_cmp_eq_u32_e32 vcc_lo, 0, v12
	v_cndmask_b32_e32 v12, v13, v1, vcc_lo
; %bb.897:
	s_or_b32 exec_lo, exec_lo, s3
	s_delay_alu instid0(VALU_DEP_1)
	v_lshrrev_b32_e32 v29, 16, v12
.LBB101_898:
	s_or_b32 exec_lo, exec_lo, s2
	v_mov_b32_e32 v12, 0
	ds_load_u8 v1, v12 offset:258
	ds_load_u16 v12, v12 offset:256
	s_waitcnt lgkmcnt(1)
	v_cmp_ne_u16_e32 vcc_lo, 0, v1
	s_cbranch_vccz .LBB101_987
; %bb.899:
	s_and_saveexec_b32 s2, s21
	s_cbranch_execz .LBB101_901
.LBB101_900:
	v_lshlrev_b32_e32 v1, 16, v1
	s_waitcnt lgkmcnt(0)
	v_dual_mov_b32 v13, 2 :: v_dual_and_b32 v12, 0xffff, v12
	s_delay_alu instid0(VALU_DEP_1)
	v_or_b32_e32 v12, v1, v12
	v_mov_b32_e32 v1, 0
	global_store_b64 v1, v[12:13], s[36:37] offset:256
.LBB101_901:
	s_or_b32 exec_lo, exec_lo, s2
	v_mov_b32_e32 v27, v29
	s_waitcnt lgkmcnt(0)
	v_dual_mov_b32 v12, v25 :: v_dual_mov_b32 v13, v26
.LBB101_902:
	s_load_b64 s[0:1], s[0:1], 0x18
	v_mul_u32_u24_e32 v25, 22, v0
	s_waitcnt lgkmcnt(0)
	s_add_u32 s0, s0, s26
	s_addc_u32 s1, s1, s27
	s_and_b32 vcc_lo, exec_lo, s39
	s_cbranch_vccz .LBB101_982
; %bb.903:
	v_or_b32_e32 v1, 1, v25
	s_add_i32 s33, s33, s38
	s_mov_b32 s2, exec_lo
	s_delay_alu instid0(VALU_DEP_1) | instskip(NEXT) | instid1(VALU_DEP_1)
	v_max_u32_e32 v1, v25, v1
	v_cmpx_gt_u32_e64 s33, v1
	s_cbranch_execz .LBB101_939
; %bb.904:
	v_add_nc_u32_e32 v1, 2, v25
	s_mov_b32 s3, exec_lo
	s_delay_alu instid0(VALU_DEP_1)
	v_cmpx_gt_u32_e64 s33, v1
	s_cbranch_execz .LBB101_938
; %bb.905:
	v_add_nc_u32_e32 v1, 3, v25
	s_mov_b32 s4, exec_lo
	s_delay_alu instid0(VALU_DEP_1)
	;; [unrolled: 6-line block ×17, first 2 shown]
	v_cmpx_gt_u32_e64 s33, v1
; %bb.921:
	v_add_nc_u32_e32 v1, 19, v25
	s_mov_b32 s20, exec_lo
	s_delay_alu instid0(VALU_DEP_1)
	v_cmpx_gt_u32_e64 s33, v1
	s_or_b32 exec_lo, exec_lo, s20
; %bb.922:
	s_delay_alu instid0(SALU_CYCLE_1)
	s_or_b32 exec_lo, exec_lo, s19
.LBB101_923:
	s_delay_alu instid0(SALU_CYCLE_1)
	s_or_b32 exec_lo, exec_lo, s18
.LBB101_924:
	s_delay_alu instid0(SALU_CYCLE_1)
	s_or_b32 exec_lo, exec_lo, s17
.LBB101_925:
	s_delay_alu instid0(SALU_CYCLE_1)
	s_or_b32 exec_lo, exec_lo, s16
.LBB101_926:
	s_delay_alu instid0(SALU_CYCLE_1)
	s_or_b32 exec_lo, exec_lo, s15
.LBB101_927:
	s_delay_alu instid0(SALU_CYCLE_1)
	s_or_b32 exec_lo, exec_lo, s14
.LBB101_928:
	s_delay_alu instid0(SALU_CYCLE_1)
	s_or_b32 exec_lo, exec_lo, s13
.LBB101_929:
	s_delay_alu instid0(SALU_CYCLE_1)
	s_or_b32 exec_lo, exec_lo, s12
.LBB101_930:
	s_delay_alu instid0(SALU_CYCLE_1)
	s_or_b32 exec_lo, exec_lo, s11
.LBB101_931:
	s_delay_alu instid0(SALU_CYCLE_1)
	s_or_b32 exec_lo, exec_lo, s10
.LBB101_932:
	s_delay_alu instid0(SALU_CYCLE_1)
	s_or_b32 exec_lo, exec_lo, s9
.LBB101_933:
	s_delay_alu instid0(SALU_CYCLE_1)
	s_or_b32 exec_lo, exec_lo, s8
.LBB101_934:
	s_delay_alu instid0(SALU_CYCLE_1)
	s_or_b32 exec_lo, exec_lo, s7
.LBB101_935:
	s_delay_alu instid0(SALU_CYCLE_1)
	s_or_b32 exec_lo, exec_lo, s6
.LBB101_936:
	s_delay_alu instid0(SALU_CYCLE_1)
	s_or_b32 exec_lo, exec_lo, s5
.LBB101_937:
	s_delay_alu instid0(SALU_CYCLE_1)
	s_or_b32 exec_lo, exec_lo, s4
.LBB101_938:
	s_delay_alu instid0(SALU_CYCLE_1)
	s_or_b32 exec_lo, exec_lo, s3
.LBB101_939:
	s_delay_alu instid0(SALU_CYCLE_1)
	s_or_b32 exec_lo, exec_lo, s2
	v_lshlrev_b32_e32 v46, 1, v25
	v_perm_b32 v1, v2, v13, 0x5040100
	v_perm_b32 v22, v12, v24, 0x5040100
	;; [unrolled: 1-line block ×8, first 2 shown]
	s_waitcnt_vscnt null, 0x0
	s_barrier
	buffer_gl0_inv
	v_perm_b32 v32, v20, v19, 0x5040100
	v_perm_b32 v33, v18, v17, 0x5040100
	ds_store_2addr_b32 v46, v22, v1 offset1:1
	ds_store_2addr_b32 v46, v26, v23 offset0:2 offset1:3
	ds_store_2addr_b32 v46, v29, v28 offset0:4 offset1:5
	ds_store_2addr_b32 v46, v31, v30 offset0:6 offset1:7
	v_mad_i32_i24 v1, 0xffffffd6, v0, v46
	v_perm_b32 v34, v27, v21, 0x5040100
	ds_store_2addr_b32 v46, v33, v32 offset0:8 offset1:9
	ds_store_b32 v46, v34 offset:40
	s_waitcnt lgkmcnt(0)
	s_barrier
	buffer_gl0_inv
	ds_load_u16 v48, v1 offset:128
	ds_load_u16 v47, v1 offset:256
	;; [unrolled: 1-line block ×21, first 2 shown]
	v_dual_mov_b32 v1, 0 :: v_dual_lshlrev_b32 v22, 1, v0
	s_delay_alu instid0(VALU_DEP_1) | instskip(NEXT) | instid1(VALU_DEP_1)
	v_add_co_u32 v22, s2, s0, v22
	v_add_co_ci_u32_e64 v23, null, s1, 0, s2
	s_mov_b32 s2, exec_lo
	v_cmpx_gt_u32_e64 s33, v0
	s_cbranch_execz .LBB101_941
; %bb.940:
	v_mul_i32_i24_e32 v49, 0xffffffd6, v0
	s_delay_alu instid0(VALU_DEP_1)
	v_add_nc_u32_e32 v46, v46, v49
	ds_load_u16 v46, v46
	s_waitcnt lgkmcnt(0)
	global_store_b16 v[22:23], v46, off
.LBB101_941:
	s_or_b32 exec_lo, exec_lo, s2
	v_or_b32_e32 v46, 64, v0
	s_mov_b32 s2, exec_lo
	s_delay_alu instid0(VALU_DEP_1)
	v_cmpx_gt_u32_e64 s33, v46
	s_cbranch_execz .LBB101_943
; %bb.942:
	s_waitcnt lgkmcnt(20)
	global_store_b16 v[22:23], v48, off offset:128
.LBB101_943:
	s_or_b32 exec_lo, exec_lo, s2
	v_or_b32_e32 v46, 0x80, v0
	s_mov_b32 s2, exec_lo
	s_delay_alu instid0(VALU_DEP_1)
	v_cmpx_gt_u32_e64 s33, v46
	s_cbranch_execz .LBB101_945
; %bb.944:
	s_waitcnt lgkmcnt(19)
	global_store_b16 v[22:23], v47, off offset:256
.LBB101_945:
	;; [unrolled: 10-line block ×3, first 2 shown]
	s_or_b32 exec_lo, exec_lo, s2
	s_waitcnt lgkmcnt(18)
	v_or_b32_e32 v45, 0x100, v0
	s_mov_b32 s2, exec_lo
	s_delay_alu instid0(VALU_DEP_1)
	v_cmpx_gt_u32_e64 s33, v45
	s_cbranch_execz .LBB101_949
; %bb.948:
	s_waitcnt lgkmcnt(17)
	global_store_b16 v[22:23], v44, off offset:512
.LBB101_949:
	s_or_b32 exec_lo, exec_lo, s2
	s_waitcnt lgkmcnt(17)
	v_or_b32_e32 v44, 0x140, v0
	s_mov_b32 s2, exec_lo
	s_delay_alu instid0(VALU_DEP_1)
	v_cmpx_gt_u32_e64 s33, v44
	s_cbranch_execz .LBB101_951
; %bb.950:
	s_waitcnt lgkmcnt(16)
	global_store_b16 v[22:23], v43, off offset:640
.LBB101_951:
	;; [unrolled: 11-line block ×17, first 2 shown]
	s_or_b32 exec_lo, exec_lo, s2
	v_or_b32_e32 v22, 0x540, v0
	s_delay_alu instid0(VALU_DEP_1)
	v_cmp_gt_u32_e64 s2, s33, v22
	s_branch .LBB101_984
.LBB101_982:
	s_mov_b32 s2, 0
                                        ; implicit-def: $vgpr26
	s_cbranch_execz .LBB101_984
; %bb.983:
	v_lshlrev_b32_e32 v22, 1, v25
	v_perm_b32 v6, v7, v6, 0x5040100
	v_perm_b32 v5, v5, v4, 0x5040100
	;; [unrolled: 1-line block ×10, first 2 shown]
	s_waitcnt lgkmcnt(0)
	s_waitcnt_vscnt null, 0x0
	s_barrier
	buffer_gl0_inv
	ds_store_b16 v22, v24
	ds_store_b128 v22, v[3:6] offset:2
	ds_store_b128 v22, v[10:13] offset:18
	ds_store_b64 v22, v[1:2] offset:34
	ds_store_b16 v22, v27 offset:42
	v_mov_b32_e32 v1, 0
	v_mad_i32_i24 v2, 0xffffffd6, v0, v22
	s_waitcnt lgkmcnt(0)
	s_barrier
	buffer_gl0_inv
	ds_load_u16 v3, v2
	ds_load_u16 v4, v2 offset:128
	ds_load_u16 v5, v2 offset:256
	ds_load_u16 v6, v2 offset:384
	ds_load_u16 v7, v2 offset:512
	ds_load_u16 v8, v2 offset:640
	ds_load_u16 v9, v2 offset:768
	ds_load_u16 v10, v2 offset:896
	ds_load_u16 v11, v2 offset:1024
	ds_load_u16 v12, v2 offset:1152
	ds_load_u16 v13, v2 offset:1280
	ds_load_u16 v14, v2 offset:1408
	ds_load_u16 v15, v2 offset:1536
	ds_load_u16 v16, v2 offset:1664
	ds_load_u16 v17, v2 offset:1792
	ds_load_u16 v18, v2 offset:1920
	ds_load_u16 v20, v2 offset:2048
	ds_load_u16 v21, v2 offset:2176
	ds_load_u16 v22, v2 offset:2304
	ds_load_u16 v23, v2 offset:2432
	ds_load_u16 v24, v2 offset:2560
	ds_load_u16 v26, v2 offset:2688
	v_lshlrev_b32_e32 v19, 1, v0
	s_or_b32 s2, s2, exec_lo
	s_waitcnt lgkmcnt(21)
	global_store_b16 v19, v3, s[0:1]
	s_waitcnt lgkmcnt(20)
	global_store_b16 v19, v4, s[0:1] offset:128
	s_waitcnt lgkmcnt(19)
	global_store_b16 v19, v5, s[0:1] offset:256
	;; [unrolled: 2-line block ×20, first 2 shown]
.LBB101_984:
	s_delay_alu instid0(VALU_DEP_1)
	s_and_saveexec_b32 s3, s2
	s_cbranch_execz .LBB101_986
; %bb.985:
	v_lshlrev_b64 v[0:1], 1, v[0:1]
	s_delay_alu instid0(VALU_DEP_1) | instskip(NEXT) | instid1(VALU_DEP_2)
	v_add_co_u32 v0, vcc_lo, s0, v0
	v_add_co_ci_u32_e32 v1, vcc_lo, s1, v1, vcc_lo
	s_waitcnt lgkmcnt(0)
	global_store_b16 v[0:1], v26, off offset:2688
	s_nop 0
	s_sendmsg sendmsg(MSG_DEALLOC_VGPRS)
	s_endpgm
.LBB101_986:
	s_nop 0
	s_sendmsg sendmsg(MSG_DEALLOC_VGPRS)
	s_endpgm
.LBB101_987:
	v_lshlrev_b32_e32 v13, 16, v22
	s_waitcnt lgkmcnt(0)
	v_lshlrev_b32_e32 v12, 16, v12
	s_delay_alu instid0(VALU_DEP_1) | instskip(NEXT) | instid1(VALU_DEP_1)
	v_add_f32_e32 v12, v13, v12
	v_and_b32_e32 v13, 0x7f800000, v12
	v_readfirstlane_b32 s2, v12
	s_delay_alu instid0(VALU_DEP_2)
	v_cmp_eq_u32_e32 vcc_lo, 0x7f800000, v13
	s_cbranch_vccnz .LBB101_989
; %bb.988:
	s_delay_alu instid0(VALU_DEP_2) | instskip(NEXT) | instid1(SALU_CYCLE_1)
	s_bfe_u32 s3, s2, 0x10010
	s_add_i32 s3, s2, s3
	s_delay_alu instid0(SALU_CYCLE_1)
	s_addk_i32 s3, 0x7fff
	s_cbranch_execz .LBB101_990
	s_branch .LBB101_991
.LBB101_989:
                                        ; implicit-def: $sgpr3
.LBB101_990:
	s_delay_alu instid0(VALU_DEP_2)
	s_and_b32 s3, s2, 0xffff
	s_or_b32 s4, s2, 0x10000
	s_cmp_eq_u32 s3, 0
	s_cselect_b32 s3, s2, s4
.LBB101_991:
	s_delay_alu instid0(SALU_CYCLE_1) | instskip(NEXT) | instid1(SALU_CYCLE_1)
	s_lshr_b32 s2, s3, 16
	v_mov_b32_e32 v12, s2
	s_and_saveexec_b32 s2, s21
	s_cbranch_execnz .LBB101_900
	s_branch .LBB101_901
	.section	.rodata,"a",@progbits
	.p2align	6, 0x0
	.amdhsa_kernel _ZN7rocprim6detail25device_scan_by_key_kernelILNS0_25lookback_scan_determinismE0ELb1ENS0_26wrapped_scan_by_key_configINS_14default_configEi12hip_bfloat16EEPiN6hipcub22TransformInputIteratorIS5_NS8_6CastOpIS5_EEPS5_lEESC_S5_NS8_8EqualityENS8_3SumENS0_19lookback_scan_stateINS_5tupleIJS5_bEEELb0ELb1EEES5_EEvT2_T3_T4_T5_T6_T7_T8_mmmPKNSH_IJT9_bEEE
		.amdhsa_group_segment_fixed_size 6144
		.amdhsa_private_segment_fixed_size 0
		.amdhsa_kernarg_size 80
		.amdhsa_user_sgpr_count 15
		.amdhsa_user_sgpr_dispatch_ptr 0
		.amdhsa_user_sgpr_queue_ptr 0
		.amdhsa_user_sgpr_kernarg_segment_ptr 1
		.amdhsa_user_sgpr_dispatch_id 0
		.amdhsa_user_sgpr_private_segment_size 0
		.amdhsa_wavefront_size32 1
		.amdhsa_uses_dynamic_stack 0
		.amdhsa_enable_private_segment 0
		.amdhsa_system_sgpr_workgroup_id_x 1
		.amdhsa_system_sgpr_workgroup_id_y 0
		.amdhsa_system_sgpr_workgroup_id_z 0
		.amdhsa_system_sgpr_workgroup_info 0
		.amdhsa_system_vgpr_workitem_id 0
		.amdhsa_next_free_vgpr 62
		.amdhsa_next_free_sgpr 45
		.amdhsa_reserve_vcc 1
		.amdhsa_float_round_mode_32 0
		.amdhsa_float_round_mode_16_64 0
		.amdhsa_float_denorm_mode_32 3
		.amdhsa_float_denorm_mode_16_64 3
		.amdhsa_dx10_clamp 1
		.amdhsa_ieee_mode 1
		.amdhsa_fp16_overflow 0
		.amdhsa_workgroup_processor_mode 1
		.amdhsa_memory_ordered 1
		.amdhsa_forward_progress 0
		.amdhsa_shared_vgpr_count 0
		.amdhsa_exception_fp_ieee_invalid_op 0
		.amdhsa_exception_fp_denorm_src 0
		.amdhsa_exception_fp_ieee_div_zero 0
		.amdhsa_exception_fp_ieee_overflow 0
		.amdhsa_exception_fp_ieee_underflow 0
		.amdhsa_exception_fp_ieee_inexact 0
		.amdhsa_exception_int_div_zero 0
	.end_amdhsa_kernel
	.section	.text._ZN7rocprim6detail25device_scan_by_key_kernelILNS0_25lookback_scan_determinismE0ELb1ENS0_26wrapped_scan_by_key_configINS_14default_configEi12hip_bfloat16EEPiN6hipcub22TransformInputIteratorIS5_NS8_6CastOpIS5_EEPS5_lEESC_S5_NS8_8EqualityENS8_3SumENS0_19lookback_scan_stateINS_5tupleIJS5_bEEELb0ELb1EEES5_EEvT2_T3_T4_T5_T6_T7_T8_mmmPKNSH_IJT9_bEEE,"axG",@progbits,_ZN7rocprim6detail25device_scan_by_key_kernelILNS0_25lookback_scan_determinismE0ELb1ENS0_26wrapped_scan_by_key_configINS_14default_configEi12hip_bfloat16EEPiN6hipcub22TransformInputIteratorIS5_NS8_6CastOpIS5_EEPS5_lEESC_S5_NS8_8EqualityENS8_3SumENS0_19lookback_scan_stateINS_5tupleIJS5_bEEELb0ELb1EEES5_EEvT2_T3_T4_T5_T6_T7_T8_mmmPKNSH_IJT9_bEEE,comdat
.Lfunc_end101:
	.size	_ZN7rocprim6detail25device_scan_by_key_kernelILNS0_25lookback_scan_determinismE0ELb1ENS0_26wrapped_scan_by_key_configINS_14default_configEi12hip_bfloat16EEPiN6hipcub22TransformInputIteratorIS5_NS8_6CastOpIS5_EEPS5_lEESC_S5_NS8_8EqualityENS8_3SumENS0_19lookback_scan_stateINS_5tupleIJS5_bEEELb0ELb1EEES5_EEvT2_T3_T4_T5_T6_T7_T8_mmmPKNSH_IJT9_bEEE, .Lfunc_end101-_ZN7rocprim6detail25device_scan_by_key_kernelILNS0_25lookback_scan_determinismE0ELb1ENS0_26wrapped_scan_by_key_configINS_14default_configEi12hip_bfloat16EEPiN6hipcub22TransformInputIteratorIS5_NS8_6CastOpIS5_EEPS5_lEESC_S5_NS8_8EqualityENS8_3SumENS0_19lookback_scan_stateINS_5tupleIJS5_bEEELb0ELb1EEES5_EEvT2_T3_T4_T5_T6_T7_T8_mmmPKNSH_IJT9_bEEE
                                        ; -- End function
	.section	.AMDGPU.csdata,"",@progbits
; Kernel info:
; codeLenInByte = 31204
; NumSgprs: 47
; NumVgprs: 62
; ScratchSize: 0
; MemoryBound: 0
; FloatMode: 240
; IeeeMode: 1
; LDSByteSize: 6144 bytes/workgroup (compile time only)
; SGPRBlocks: 5
; VGPRBlocks: 7
; NumSGPRsForWavesPerEU: 47
; NumVGPRsForWavesPerEU: 62
; Occupancy: 11
; WaveLimiterHint : 1
; COMPUTE_PGM_RSRC2:SCRATCH_EN: 0
; COMPUTE_PGM_RSRC2:USER_SGPR: 15
; COMPUTE_PGM_RSRC2:TRAP_HANDLER: 0
; COMPUTE_PGM_RSRC2:TGID_X_EN: 1
; COMPUTE_PGM_RSRC2:TGID_Y_EN: 0
; COMPUTE_PGM_RSRC2:TGID_Z_EN: 0
; COMPUTE_PGM_RSRC2:TIDIG_COMP_CNT: 0
	.section	.text._ZN7rocprim6detail25device_scan_by_key_kernelILNS0_25lookback_scan_determinismE0ELb1ENS0_26wrapped_scan_by_key_configINS_14default_configEi12hip_bfloat16EEPiN6hipcub22TransformInputIteratorIS5_NS8_6CastOpIS5_EEPS5_lEESC_S5_NS8_8EqualityENS8_3MaxENS0_19lookback_scan_stateINS_5tupleIJS5_bEEELb1ELb1EEES5_EEvT2_T3_T4_T5_T6_T7_T8_mmmPKNSH_IJT9_bEEE,"axG",@progbits,_ZN7rocprim6detail25device_scan_by_key_kernelILNS0_25lookback_scan_determinismE0ELb1ENS0_26wrapped_scan_by_key_configINS_14default_configEi12hip_bfloat16EEPiN6hipcub22TransformInputIteratorIS5_NS8_6CastOpIS5_EEPS5_lEESC_S5_NS8_8EqualityENS8_3MaxENS0_19lookback_scan_stateINS_5tupleIJS5_bEEELb1ELb1EEES5_EEvT2_T3_T4_T5_T6_T7_T8_mmmPKNSH_IJT9_bEEE,comdat
	.protected	_ZN7rocprim6detail25device_scan_by_key_kernelILNS0_25lookback_scan_determinismE0ELb1ENS0_26wrapped_scan_by_key_configINS_14default_configEi12hip_bfloat16EEPiN6hipcub22TransformInputIteratorIS5_NS8_6CastOpIS5_EEPS5_lEESC_S5_NS8_8EqualityENS8_3MaxENS0_19lookback_scan_stateINS_5tupleIJS5_bEEELb1ELb1EEES5_EEvT2_T3_T4_T5_T6_T7_T8_mmmPKNSH_IJT9_bEEE ; -- Begin function _ZN7rocprim6detail25device_scan_by_key_kernelILNS0_25lookback_scan_determinismE0ELb1ENS0_26wrapped_scan_by_key_configINS_14default_configEi12hip_bfloat16EEPiN6hipcub22TransformInputIteratorIS5_NS8_6CastOpIS5_EEPS5_lEESC_S5_NS8_8EqualityENS8_3MaxENS0_19lookback_scan_stateINS_5tupleIJS5_bEEELb1ELb1EEES5_EEvT2_T3_T4_T5_T6_T7_T8_mmmPKNSH_IJT9_bEEE
	.globl	_ZN7rocprim6detail25device_scan_by_key_kernelILNS0_25lookback_scan_determinismE0ELb1ENS0_26wrapped_scan_by_key_configINS_14default_configEi12hip_bfloat16EEPiN6hipcub22TransformInputIteratorIS5_NS8_6CastOpIS5_EEPS5_lEESC_S5_NS8_8EqualityENS8_3MaxENS0_19lookback_scan_stateINS_5tupleIJS5_bEEELb1ELb1EEES5_EEvT2_T3_T4_T5_T6_T7_T8_mmmPKNSH_IJT9_bEEE
	.p2align	8
	.type	_ZN7rocprim6detail25device_scan_by_key_kernelILNS0_25lookback_scan_determinismE0ELb1ENS0_26wrapped_scan_by_key_configINS_14default_configEi12hip_bfloat16EEPiN6hipcub22TransformInputIteratorIS5_NS8_6CastOpIS5_EEPS5_lEESC_S5_NS8_8EqualityENS8_3MaxENS0_19lookback_scan_stateINS_5tupleIJS5_bEEELb1ELb1EEES5_EEvT2_T3_T4_T5_T6_T7_T8_mmmPKNSH_IJT9_bEEE,@function
_ZN7rocprim6detail25device_scan_by_key_kernelILNS0_25lookback_scan_determinismE0ELb1ENS0_26wrapped_scan_by_key_configINS_14default_configEi12hip_bfloat16EEPiN6hipcub22TransformInputIteratorIS5_NS8_6CastOpIS5_EEPS5_lEESC_S5_NS8_8EqualityENS8_3MaxENS0_19lookback_scan_stateINS_5tupleIJS5_bEEELb1ELb1EEES5_EEvT2_T3_T4_T5_T6_T7_T8_mmmPKNSH_IJT9_bEEE: ; @_ZN7rocprim6detail25device_scan_by_key_kernelILNS0_25lookback_scan_determinismE0ELb1ENS0_26wrapped_scan_by_key_configINS_14default_configEi12hip_bfloat16EEPiN6hipcub22TransformInputIteratorIS5_NS8_6CastOpIS5_EEPS5_lEESC_S5_NS8_8EqualityENS8_3MaxENS0_19lookback_scan_stateINS_5tupleIJS5_bEEELb1ELb1EEES5_EEvT2_T3_T4_T5_T6_T7_T8_mmmPKNSH_IJT9_bEEE
; %bb.0:
	s_endpgm
	.section	.rodata,"a",@progbits
	.p2align	6, 0x0
	.amdhsa_kernel _ZN7rocprim6detail25device_scan_by_key_kernelILNS0_25lookback_scan_determinismE0ELb1ENS0_26wrapped_scan_by_key_configINS_14default_configEi12hip_bfloat16EEPiN6hipcub22TransformInputIteratorIS5_NS8_6CastOpIS5_EEPS5_lEESC_S5_NS8_8EqualityENS8_3MaxENS0_19lookback_scan_stateINS_5tupleIJS5_bEEELb1ELb1EEES5_EEvT2_T3_T4_T5_T6_T7_T8_mmmPKNSH_IJT9_bEEE
		.amdhsa_group_segment_fixed_size 0
		.amdhsa_private_segment_fixed_size 0
		.amdhsa_kernarg_size 80
		.amdhsa_user_sgpr_count 15
		.amdhsa_user_sgpr_dispatch_ptr 0
		.amdhsa_user_sgpr_queue_ptr 0
		.amdhsa_user_sgpr_kernarg_segment_ptr 1
		.amdhsa_user_sgpr_dispatch_id 0
		.amdhsa_user_sgpr_private_segment_size 0
		.amdhsa_wavefront_size32 1
		.amdhsa_uses_dynamic_stack 0
		.amdhsa_enable_private_segment 0
		.amdhsa_system_sgpr_workgroup_id_x 1
		.amdhsa_system_sgpr_workgroup_id_y 0
		.amdhsa_system_sgpr_workgroup_id_z 0
		.amdhsa_system_sgpr_workgroup_info 0
		.amdhsa_system_vgpr_workitem_id 0
		.amdhsa_next_free_vgpr 1
		.amdhsa_next_free_sgpr 1
		.amdhsa_reserve_vcc 0
		.amdhsa_float_round_mode_32 0
		.amdhsa_float_round_mode_16_64 0
		.amdhsa_float_denorm_mode_32 3
		.amdhsa_float_denorm_mode_16_64 3
		.amdhsa_dx10_clamp 1
		.amdhsa_ieee_mode 1
		.amdhsa_fp16_overflow 0
		.amdhsa_workgroup_processor_mode 1
		.amdhsa_memory_ordered 1
		.amdhsa_forward_progress 0
		.amdhsa_shared_vgpr_count 0
		.amdhsa_exception_fp_ieee_invalid_op 0
		.amdhsa_exception_fp_denorm_src 0
		.amdhsa_exception_fp_ieee_div_zero 0
		.amdhsa_exception_fp_ieee_overflow 0
		.amdhsa_exception_fp_ieee_underflow 0
		.amdhsa_exception_fp_ieee_inexact 0
		.amdhsa_exception_int_div_zero 0
	.end_amdhsa_kernel
	.section	.text._ZN7rocprim6detail25device_scan_by_key_kernelILNS0_25lookback_scan_determinismE0ELb1ENS0_26wrapped_scan_by_key_configINS_14default_configEi12hip_bfloat16EEPiN6hipcub22TransformInputIteratorIS5_NS8_6CastOpIS5_EEPS5_lEESC_S5_NS8_8EqualityENS8_3MaxENS0_19lookback_scan_stateINS_5tupleIJS5_bEEELb1ELb1EEES5_EEvT2_T3_T4_T5_T6_T7_T8_mmmPKNSH_IJT9_bEEE,"axG",@progbits,_ZN7rocprim6detail25device_scan_by_key_kernelILNS0_25lookback_scan_determinismE0ELb1ENS0_26wrapped_scan_by_key_configINS_14default_configEi12hip_bfloat16EEPiN6hipcub22TransformInputIteratorIS5_NS8_6CastOpIS5_EEPS5_lEESC_S5_NS8_8EqualityENS8_3MaxENS0_19lookback_scan_stateINS_5tupleIJS5_bEEELb1ELb1EEES5_EEvT2_T3_T4_T5_T6_T7_T8_mmmPKNSH_IJT9_bEEE,comdat
.Lfunc_end102:
	.size	_ZN7rocprim6detail25device_scan_by_key_kernelILNS0_25lookback_scan_determinismE0ELb1ENS0_26wrapped_scan_by_key_configINS_14default_configEi12hip_bfloat16EEPiN6hipcub22TransformInputIteratorIS5_NS8_6CastOpIS5_EEPS5_lEESC_S5_NS8_8EqualityENS8_3MaxENS0_19lookback_scan_stateINS_5tupleIJS5_bEEELb1ELb1EEES5_EEvT2_T3_T4_T5_T6_T7_T8_mmmPKNSH_IJT9_bEEE, .Lfunc_end102-_ZN7rocprim6detail25device_scan_by_key_kernelILNS0_25lookback_scan_determinismE0ELb1ENS0_26wrapped_scan_by_key_configINS_14default_configEi12hip_bfloat16EEPiN6hipcub22TransformInputIteratorIS5_NS8_6CastOpIS5_EEPS5_lEESC_S5_NS8_8EqualityENS8_3MaxENS0_19lookback_scan_stateINS_5tupleIJS5_bEEELb1ELb1EEES5_EEvT2_T3_T4_T5_T6_T7_T8_mmmPKNSH_IJT9_bEEE
                                        ; -- End function
	.section	.AMDGPU.csdata,"",@progbits
; Kernel info:
; codeLenInByte = 4
; NumSgprs: 0
; NumVgprs: 0
; ScratchSize: 0
; MemoryBound: 0
; FloatMode: 240
; IeeeMode: 1
; LDSByteSize: 0 bytes/workgroup (compile time only)
; SGPRBlocks: 0
; VGPRBlocks: 0
; NumSGPRsForWavesPerEU: 1
; NumVGPRsForWavesPerEU: 1
; Occupancy: 16
; WaveLimiterHint : 0
; COMPUTE_PGM_RSRC2:SCRATCH_EN: 0
; COMPUTE_PGM_RSRC2:USER_SGPR: 15
; COMPUTE_PGM_RSRC2:TRAP_HANDLER: 0
; COMPUTE_PGM_RSRC2:TGID_X_EN: 1
; COMPUTE_PGM_RSRC2:TGID_Y_EN: 0
; COMPUTE_PGM_RSRC2:TGID_Z_EN: 0
; COMPUTE_PGM_RSRC2:TIDIG_COMP_CNT: 0
	.section	.text._ZN7rocprim6detail25device_scan_by_key_kernelILNS0_25lookback_scan_determinismE0ELb1ENS0_26wrapped_scan_by_key_configINS_14default_configEi12hip_bfloat16EEPiN6hipcub22TransformInputIteratorIS5_NS8_6CastOpIS5_EEPS5_lEESC_S5_NS8_8EqualityENS8_3MaxENS0_19lookback_scan_stateINS_5tupleIJS5_bEEELb0ELb1EEES5_EEvT2_T3_T4_T5_T6_T7_T8_mmmPKNSH_IJT9_bEEE,"axG",@progbits,_ZN7rocprim6detail25device_scan_by_key_kernelILNS0_25lookback_scan_determinismE0ELb1ENS0_26wrapped_scan_by_key_configINS_14default_configEi12hip_bfloat16EEPiN6hipcub22TransformInputIteratorIS5_NS8_6CastOpIS5_EEPS5_lEESC_S5_NS8_8EqualityENS8_3MaxENS0_19lookback_scan_stateINS_5tupleIJS5_bEEELb0ELb1EEES5_EEvT2_T3_T4_T5_T6_T7_T8_mmmPKNSH_IJT9_bEEE,comdat
	.protected	_ZN7rocprim6detail25device_scan_by_key_kernelILNS0_25lookback_scan_determinismE0ELb1ENS0_26wrapped_scan_by_key_configINS_14default_configEi12hip_bfloat16EEPiN6hipcub22TransformInputIteratorIS5_NS8_6CastOpIS5_EEPS5_lEESC_S5_NS8_8EqualityENS8_3MaxENS0_19lookback_scan_stateINS_5tupleIJS5_bEEELb0ELb1EEES5_EEvT2_T3_T4_T5_T6_T7_T8_mmmPKNSH_IJT9_bEEE ; -- Begin function _ZN7rocprim6detail25device_scan_by_key_kernelILNS0_25lookback_scan_determinismE0ELb1ENS0_26wrapped_scan_by_key_configINS_14default_configEi12hip_bfloat16EEPiN6hipcub22TransformInputIteratorIS5_NS8_6CastOpIS5_EEPS5_lEESC_S5_NS8_8EqualityENS8_3MaxENS0_19lookback_scan_stateINS_5tupleIJS5_bEEELb0ELb1EEES5_EEvT2_T3_T4_T5_T6_T7_T8_mmmPKNSH_IJT9_bEEE
	.globl	_ZN7rocprim6detail25device_scan_by_key_kernelILNS0_25lookback_scan_determinismE0ELb1ENS0_26wrapped_scan_by_key_configINS_14default_configEi12hip_bfloat16EEPiN6hipcub22TransformInputIteratorIS5_NS8_6CastOpIS5_EEPS5_lEESC_S5_NS8_8EqualityENS8_3MaxENS0_19lookback_scan_stateINS_5tupleIJS5_bEEELb0ELb1EEES5_EEvT2_T3_T4_T5_T6_T7_T8_mmmPKNSH_IJT9_bEEE
	.p2align	8
	.type	_ZN7rocprim6detail25device_scan_by_key_kernelILNS0_25lookback_scan_determinismE0ELb1ENS0_26wrapped_scan_by_key_configINS_14default_configEi12hip_bfloat16EEPiN6hipcub22TransformInputIteratorIS5_NS8_6CastOpIS5_EEPS5_lEESC_S5_NS8_8EqualityENS8_3MaxENS0_19lookback_scan_stateINS_5tupleIJS5_bEEELb0ELb1EEES5_EEvT2_T3_T4_T5_T6_T7_T8_mmmPKNSH_IJT9_bEEE,@function
_ZN7rocprim6detail25device_scan_by_key_kernelILNS0_25lookback_scan_determinismE0ELb1ENS0_26wrapped_scan_by_key_configINS_14default_configEi12hip_bfloat16EEPiN6hipcub22TransformInputIteratorIS5_NS8_6CastOpIS5_EEPS5_lEESC_S5_NS8_8EqualityENS8_3MaxENS0_19lookback_scan_stateINS_5tupleIJS5_bEEELb0ELb1EEES5_EEvT2_T3_T4_T5_T6_T7_T8_mmmPKNSH_IJT9_bEEE: ; @_ZN7rocprim6detail25device_scan_by_key_kernelILNS0_25lookback_scan_determinismE0ELb1ENS0_26wrapped_scan_by_key_configINS_14default_configEi12hip_bfloat16EEPiN6hipcub22TransformInputIteratorIS5_NS8_6CastOpIS5_EEPS5_lEESC_S5_NS8_8EqualityENS8_3MaxENS0_19lookback_scan_stateINS_5tupleIJS5_bEEELb0ELb1EEES5_EEvT2_T3_T4_T5_T6_T7_T8_mmmPKNSH_IJT9_bEEE
; %bb.0:
	s_clause 0x1
	s_load_b128 s[4:7], s[0:1], 0x0
	s_load_b256 s[36:43], s[0:1], 0x28
	s_mov_b32 s3, 0
	s_mul_i32 s2, s15, 0x580
	s_clause 0x1
	s_load_b32 s44, s[0:1], 0x20
	s_load_b64 s[30:31], s[0:1], 0x48
	s_lshl_b64 s[8:9], s[2:3], 2
	v_lshlrev_b32_e32 v49, 2, v0
	s_waitcnt lgkmcnt(0)
	s_add_u32 s34, s4, s8
	s_addc_u32 s35, s5, s9
	s_lshl_b64 s[28:29], s[2:3], 1
	s_delay_alu instid0(SALU_CYCLE_1)
	s_add_u32 s26, s6, s28
	s_addc_u32 s27, s7, s29
	s_add_u32 s4, s15, s40
	s_addc_u32 s5, 0, s41
	s_add_u32 s6, s42, -1
	s_addc_u32 s7, s43, -1
	s_mul_i32 s33, s6, 0xfffffa80
	v_cmp_ge_u64_e64 s39, s[4:5], s[6:7]
	s_delay_alu instid0(VALU_DEP_1)
	s_and_b32 vcc_lo, exec_lo, s39
	s_cbranch_vccz .LBB103_116
; %bb.1:
	s_load_b32 s24, s[34:35], 0x0
	s_add_i32 s25, s33, s38
	v_add_co_u32 v1, s2, s34, v49
	s_delay_alu instid0(VALU_DEP_1)
	v_add_co_ci_u32_e64 v2, null, s35, 0, s2
	v_cmp_gt_u32_e32 vcc_lo, s25, v0
	s_waitcnt lgkmcnt(0)
	v_mov_b32_e32 v3, s24
	s_and_saveexec_b32 s2, vcc_lo
	s_cbranch_execz .LBB103_3
; %bb.2:
	global_load_b32 v3, v[1:2], off
.LBB103_3:
	s_or_b32 exec_lo, exec_lo, s2
	v_or_b32_e32 v4, 64, v0
	s_delay_alu instid0(VALU_DEP_1) | instskip(SKIP_1) | instid1(VALU_DEP_2)
	v_cmp_gt_u32_e64 s2, s25, v4
	v_mov_b32_e32 v4, s24
	s_and_saveexec_b32 s3, s2
	s_cbranch_execz .LBB103_5
; %bb.4:
	global_load_b32 v4, v[1:2], off offset:256
.LBB103_5:
	s_or_b32 exec_lo, exec_lo, s3
	v_or_b32_e32 v5, 0x80, v0
	s_delay_alu instid0(VALU_DEP_1) | instskip(SKIP_1) | instid1(VALU_DEP_2)
	v_cmp_gt_u32_e64 s3, s25, v5
	v_mov_b32_e32 v5, s24
	s_and_saveexec_b32 s4, s3
	s_cbranch_execz .LBB103_7
; %bb.6:
	global_load_b32 v5, v[1:2], off offset:512
.LBB103_7:
	;; [unrolled: 10-line block ×15, first 2 shown]
	s_or_b32 exec_lo, exec_lo, s18
	v_or_b32_e32 v19, 0x400, v0
	s_delay_alu instid0(VALU_DEP_1) | instskip(SKIP_1) | instid1(VALU_DEP_2)
	v_cmp_gt_u32_e64 s18, s25, v19
	v_mov_b32_e32 v19, s24
	s_and_saveexec_b32 s20, s18
	s_cbranch_execz .LBB103_35
; %bb.34:
	v_add_co_u32 v19, s19, 0x1000, v1
	s_delay_alu instid0(VALU_DEP_1)
	v_add_co_ci_u32_e64 v20, s19, 0, v2, s19
	global_load_b32 v19, v[19:20], off
.LBB103_35:
	s_or_b32 exec_lo, exec_lo, s20
	v_or_b32_e32 v20, 0x440, v0
	s_delay_alu instid0(VALU_DEP_1) | instskip(SKIP_1) | instid1(VALU_DEP_2)
	v_cmp_gt_u32_e64 s19, s25, v20
	v_mov_b32_e32 v20, s24
	s_and_saveexec_b32 s21, s19
	s_cbranch_execz .LBB103_37
; %bb.36:
	v_add_co_u32 v20, s20, 0x1000, v1
	s_delay_alu instid0(VALU_DEP_1)
	v_add_co_ci_u32_e64 v21, s20, 0, v2, s20
	global_load_b32 v20, v[20:21], off offset:256
.LBB103_37:
	s_or_b32 exec_lo, exec_lo, s21
	v_or_b32_e32 v21, 0x480, v0
	s_delay_alu instid0(VALU_DEP_1) | instskip(SKIP_1) | instid1(VALU_DEP_2)
	v_cmp_gt_u32_e64 s20, s25, v21
	v_mov_b32_e32 v21, s24
	s_and_saveexec_b32 s22, s20
	s_cbranch_execz .LBB103_39
; %bb.38:
	v_add_co_u32 v21, s21, 0x1000, v1
	s_delay_alu instid0(VALU_DEP_1)
	v_add_co_ci_u32_e64 v22, s21, 0, v2, s21
	global_load_b32 v21, v[21:22], off offset:512
.LBB103_39:
	;; [unrolled: 13-line block ×5, first 2 shown]
	s_or_b32 exec_lo, exec_lo, s40
	s_waitcnt vmcnt(0)
	ds_store_2addr_stride64_b32 v49, v3, v4 offset1:1
	ds_store_2addr_stride64_b32 v49, v5, v6 offset0:2 offset1:3
	ds_store_2addr_stride64_b32 v49, v7, v8 offset0:4 offset1:5
	;; [unrolled: 1-line block ×10, first 2 shown]
	s_waitcnt lgkmcnt(0)
	s_barrier
	buffer_gl0_inv
	s_load_b32 s40, s[34:35], 0x0
	v_mad_u32_u24 v21, 0x54, v0, v49
	ds_load_2addr_b64 v[17:20], v21 offset1:1
	ds_load_2addr_b64 v[13:16], v21 offset0:2 offset1:3
	ds_load_2addr_b64 v[9:12], v21 offset0:4 offset1:5
	;; [unrolled: 1-line block ×4, first 2 shown]
	ds_load_b64 v[25:26], v21 offset:80
	v_mad_i32_i24 v23, 0xffffffac, v0, v21
	s_waitcnt lgkmcnt(0)
	v_mov_b32_e32 v50, s40
	s_mov_b32 s40, exec_lo
	ds_store_b32 v23, v17 offset:5888
	s_waitcnt lgkmcnt(0)
	s_barrier
	buffer_gl0_inv
	v_cmpx_ne_u32_e32 63, v0
	s_cbranch_execz .LBB103_47
; %bb.46:
	ds_load_b32 v50, v49 offset:5892
.LBB103_47:
	s_or_b32 exec_lo, exec_lo, s40
	v_lshlrev_b32_e32 v24, 1, v0
	s_waitcnt lgkmcnt(0)
	s_barrier
	buffer_gl0_inv
                                        ; implicit-def: $vgpr27
	v_add_co_u32 v21, s24, s26, v24
	s_delay_alu instid0(VALU_DEP_1)
	v_add_co_ci_u32_e64 v22, null, s27, 0, s24
	s_and_saveexec_b32 s24, vcc_lo
	s_cbranch_execz .LBB103_181
; %bb.48:
	global_load_u16 v27, v[21:22], off
	s_or_b32 exec_lo, exec_lo, s24
                                        ; implicit-def: $vgpr28
	s_and_saveexec_b32 s24, s2
	s_cbranch_execnz .LBB103_182
.LBB103_49:
	s_or_b32 exec_lo, exec_lo, s24
                                        ; implicit-def: $vgpr29
	s_and_saveexec_b32 s2, s3
	s_cbranch_execz .LBB103_183
.LBB103_50:
	global_load_u16 v29, v[21:22], off offset:256
	s_or_b32 exec_lo, exec_lo, s2
                                        ; implicit-def: $vgpr30
	s_and_saveexec_b32 s2, s4
	s_cbranch_execnz .LBB103_184
.LBB103_51:
	s_or_b32 exec_lo, exec_lo, s2
                                        ; implicit-def: $vgpr31
	s_and_saveexec_b32 s2, s5
	s_cbranch_execz .LBB103_185
.LBB103_52:
	global_load_u16 v31, v[21:22], off offset:512
	s_or_b32 exec_lo, exec_lo, s2
                                        ; implicit-def: $vgpr32
	s_and_saveexec_b32 s2, s6
	s_cbranch_execnz .LBB103_186
.LBB103_53:
	s_or_b32 exec_lo, exec_lo, s2
                                        ; implicit-def: $vgpr33
	s_and_saveexec_b32 s2, s7
	s_cbranch_execz .LBB103_187
.LBB103_54:
	global_load_u16 v33, v[21:22], off offset:768
	s_or_b32 exec_lo, exec_lo, s2
                                        ; implicit-def: $vgpr34
	s_and_saveexec_b32 s2, s8
	s_cbranch_execnz .LBB103_188
.LBB103_55:
	s_or_b32 exec_lo, exec_lo, s2
                                        ; implicit-def: $vgpr35
	s_and_saveexec_b32 s2, s9
	s_cbranch_execz .LBB103_189
.LBB103_56:
	global_load_u16 v35, v[21:22], off offset:1024
	s_or_b32 exec_lo, exec_lo, s2
                                        ; implicit-def: $vgpr36
	s_and_saveexec_b32 s2, s10
	s_cbranch_execnz .LBB103_190
.LBB103_57:
	s_or_b32 exec_lo, exec_lo, s2
                                        ; implicit-def: $vgpr37
	s_and_saveexec_b32 s2, s11
	s_cbranch_execz .LBB103_191
.LBB103_58:
	global_load_u16 v37, v[21:22], off offset:1280
	s_or_b32 exec_lo, exec_lo, s2
                                        ; implicit-def: $vgpr38
	s_and_saveexec_b32 s2, s12
	s_cbranch_execnz .LBB103_192
.LBB103_59:
	s_or_b32 exec_lo, exec_lo, s2
                                        ; implicit-def: $vgpr39
	s_and_saveexec_b32 s2, s13
	s_cbranch_execz .LBB103_193
.LBB103_60:
	global_load_u16 v39, v[21:22], off offset:1536
	s_or_b32 exec_lo, exec_lo, s2
                                        ; implicit-def: $vgpr40
	s_and_saveexec_b32 s2, s14
	s_cbranch_execnz .LBB103_194
.LBB103_61:
	s_or_b32 exec_lo, exec_lo, s2
                                        ; implicit-def: $vgpr41
	s_and_saveexec_b32 s2, s16
	s_cbranch_execz .LBB103_195
.LBB103_62:
	global_load_u16 v41, v[21:22], off offset:1792
	s_or_b32 exec_lo, exec_lo, s2
                                        ; implicit-def: $vgpr42
	s_and_saveexec_b32 s2, s17
	s_cbranch_execnz .LBB103_196
.LBB103_63:
	s_or_b32 exec_lo, exec_lo, s2
                                        ; implicit-def: $vgpr43
	s_and_saveexec_b32 s2, s18
	s_cbranch_execz .LBB103_197
.LBB103_64:
	global_load_u16 v43, v[21:22], off offset:2048
	s_or_b32 exec_lo, exec_lo, s2
                                        ; implicit-def: $vgpr44
	s_and_saveexec_b32 s2, s19
	s_cbranch_execnz .LBB103_198
.LBB103_65:
	s_or_b32 exec_lo, exec_lo, s2
                                        ; implicit-def: $vgpr45
	s_and_saveexec_b32 s2, s20
	s_cbranch_execz .LBB103_199
.LBB103_66:
	global_load_u16 v45, v[21:22], off offset:2304
	s_or_b32 exec_lo, exec_lo, s2
                                        ; implicit-def: $vgpr46
	s_and_saveexec_b32 s2, s21
	s_cbranch_execnz .LBB103_200
.LBB103_67:
	s_or_b32 exec_lo, exec_lo, s2
                                        ; implicit-def: $vgpr47
	s_and_saveexec_b32 s2, s22
	s_cbranch_execz .LBB103_69
.LBB103_68:
	global_load_u16 v47, v[21:22], off offset:2560
.LBB103_69:
	s_or_b32 exec_lo, exec_lo, s2
	v_mul_u32_u24_e32 v51, 22, v0
                                        ; implicit-def: $vgpr48
	s_and_saveexec_b32 s2, s23
	s_cbranch_execz .LBB103_71
; %bb.70:
	global_load_u16 v48, v[21:22], off offset:2688
.LBB103_71:
	s_or_b32 exec_lo, exec_lo, s2
	v_sub_nc_u32_e32 v21, v23, v24
	v_cmp_gt_u32_e32 vcc_lo, s25, v51
	s_mov_b32 s3, 0
	s_mov_b32 s2, 0
                                        ; implicit-def: $sgpr5
	s_waitcnt vmcnt(0)
	ds_store_b16 v21, v27
	ds_store_b16 v21, v28 offset:128
	ds_store_b16 v21, v29 offset:256
	ds_store_b16 v21, v30 offset:384
	ds_store_b16 v21, v31 offset:512
	ds_store_b16 v21, v32 offset:640
	ds_store_b16 v21, v33 offset:768
	ds_store_b16 v21, v34 offset:896
	ds_store_b16 v21, v35 offset:1024
	ds_store_b16 v21, v36 offset:1152
	ds_store_b16 v21, v37 offset:1280
	ds_store_b16 v21, v38 offset:1408
	ds_store_b16 v21, v39 offset:1536
	ds_store_b16 v21, v40 offset:1664
	ds_store_b16 v21, v41 offset:1792
	ds_store_b16 v21, v42 offset:1920
	ds_store_b16 v21, v43 offset:2048
	ds_store_b16 v21, v44 offset:2176
	ds_store_b16 v21, v45 offset:2304
	ds_store_b16 v21, v46 offset:2432
	ds_store_b16 v21, v47 offset:2560
	ds_store_b16 v21, v48 offset:2688
	v_dual_mov_b32 v33, 0 :: v_dual_mov_b32 v34, 0
	v_dual_mov_b32 v35, 0 :: v_dual_mov_b32 v36, 0
	;; [unrolled: 1-line block ×10, first 2 shown]
	v_mov_b32_e32 v47, 0
	s_waitcnt lgkmcnt(0)
	s_barrier
	buffer_gl0_inv
                                        ; implicit-def: $vgpr30
	s_and_saveexec_b32 s4, vcc_lo
	s_cbranch_execz .LBB103_115
; %bb.72:
	v_mad_u32_u24 v22, v0, 42, v21
	v_cmp_ne_u32_e32 vcc_lo, v17, v18
	v_or_b32_e32 v23, 1, v51
	v_dual_mov_b32 v34, 0 :: v_dual_mov_b32 v35, 0
	ds_load_u16 v22, v22
	v_cndmask_b32_e64 v24, 0, 1, vcc_lo
	v_cmp_eq_u32_e32 vcc_lo, v17, v18
	v_dual_mov_b32 v27, 0 :: v_dual_mov_b32 v36, 0
	v_dual_mov_b32 v28, 0 :: v_dual_mov_b32 v37, 0
	;; [unrolled: 1-line block ×7, first 2 shown]
	v_mov_b32_e32 v31, 0
	v_mov_b32_e32 v47, 0
	s_mov_b32 s7, 0
	s_waitcnt lgkmcnt(0)
	v_dual_cndmask_b32 v17, s44, v22 :: v_dual_mov_b32 v44, 0
	s_mov_b32 s6, 0
	s_mov_b32 s3, exec_lo
                                        ; implicit-def: $sgpr5
                                        ; implicit-def: $vgpr30
	s_delay_alu instid0(VALU_DEP_1) | instskip(NEXT) | instid1(VALU_DEP_1)
	v_dual_mov_b32 v48, 0 :: v_dual_and_b32 v17, 0xffff, v17
	v_lshl_or_b32 v33, v24, 16, v17
	v_cmpx_gt_u32_e64 s25, v23
	s_cbranch_execz .LBB103_114
; %bb.73:
	v_mul_u32_u24_e32 v17, 42, v0
	v_cmp_ne_u32_e32 vcc_lo, v18, v19
	v_dual_mov_b32 v35, 0 :: v_dual_add_nc_u32 v30, 2, v51
	v_dual_mov_b32 v27, 0 :: v_dual_mov_b32 v28, 0
	s_delay_alu instid0(VALU_DEP_4)
	v_dual_mov_b32 v36, 0 :: v_dual_add_nc_u32 v17, v21, v17
	v_cndmask_b32_e64 v34, 0, 1, vcc_lo
	v_cmp_eq_u32_e32 vcc_lo, v18, v19
	v_dual_mov_b32 v37, 0 :: v_dual_mov_b32 v38, 0
	ds_load_b128 v[21:24], v17 offset:2
	v_mov_b32_e32 v43, 0
	v_dual_mov_b32 v39, 0 :: v_dual_mov_b32 v40, 0
	v_dual_mov_b32 v41, 0 :: v_dual_mov_b32 v42, 0
	;; [unrolled: 1-line block ×5, first 2 shown]
	v_mov_b32_e32 v48, 0
                                        ; implicit-def: $sgpr8
	s_waitcnt lgkmcnt(0)
	v_dual_mov_b32 v31, 0 :: v_dual_cndmask_b32 v18, s44, v21
	v_cmp_gt_u32_e32 vcc_lo, s25, v30
                                        ; implicit-def: $vgpr30
	s_delay_alu instid0(VALU_DEP_2) | instskip(NEXT) | instid1(VALU_DEP_1)
	v_and_b32_e32 v18, 0xffff, v18
	v_lshl_or_b32 v34, v34, 16, v18
	s_and_saveexec_b32 s5, vcc_lo
	s_cbranch_execz .LBB103_113
; %bb.74:
	v_cmp_ne_u32_e32 vcc_lo, v19, v20
	v_lshrrev_b32_e32 v18, 16, v21
	v_dual_mov_b32 v27, 0 :: v_dual_mov_b32 v36, 0
	v_dual_mov_b32 v28, 0 :: v_dual_mov_b32 v37, 0
	v_cndmask_b32_e64 v29, 0, 1, vcc_lo
	v_cmp_eq_u32_e32 vcc_lo, v19, v20
	v_dual_mov_b32 v38, 0 :: v_dual_add_nc_u32 v21, 3, v51
	v_dual_mov_b32 v41, 0 :: v_dual_mov_b32 v40, 0
	v_dual_mov_b32 v43, 0 :: v_dual_cndmask_b32 v18, s44, v18
	v_dual_mov_b32 v42, 0 :: v_dual_mov_b32 v45, 0
	v_dual_mov_b32 v39, 0 :: v_dual_mov_b32 v44, 0
	s_delay_alu instid0(VALU_DEP_3) | instskip(SKIP_2) | instid1(VALU_DEP_3)
	v_and_b32_e32 v18, 0xffff, v18
	v_dual_mov_b32 v46, 0 :: v_dual_mov_b32 v31, 0
	v_dual_mov_b32 v32, 0 :: v_dual_mov_b32 v47, 0
	v_lshl_or_b32 v35, v29, 16, v18
	v_dual_mov_b32 v29, 0 :: v_dual_mov_b32 v48, 0
	s_mov_b32 s8, 0
	s_mov_b32 s6, exec_lo
                                        ; implicit-def: $sgpr9
                                        ; implicit-def: $vgpr30
	v_cmpx_gt_u32_e64 s25, v21
	s_cbranch_execz .LBB103_112
; %bb.75:
	v_cmp_eq_u32_e32 vcc_lo, v20, v13
	v_dual_mov_b32 v36, 0 :: v_dual_mov_b32 v39, 0
	v_dual_mov_b32 v28, 0 :: v_dual_mov_b32 v41, 0
	v_dual_cndmask_b32 v18, s44, v22 :: v_dual_add_nc_u32 v19, 4, v51
	v_cmp_ne_u32_e32 vcc_lo, v20, v13
	v_dual_mov_b32 v38, 0 :: v_dual_mov_b32 v43, 0
	s_delay_alu instid0(VALU_DEP_3) | instskip(SKIP_3) | instid1(VALU_DEP_3)
	v_dual_mov_b32 v37, 0 :: v_dual_and_b32 v18, 0xffff, v18
	v_cndmask_b32_e64 v20, 0, 1, vcc_lo
	v_dual_mov_b32 v40, 0 :: v_dual_mov_b32 v45, 0
	v_dual_mov_b32 v42, 0 :: v_dual_mov_b32 v29, 0
	v_lshl_or_b32 v27, v20, 16, v18
	v_dual_mov_b32 v44, 0 :: v_dual_mov_b32 v31, 0
	v_dual_mov_b32 v46, 0 :: v_dual_mov_b32 v47, 0
	v_mov_b32_e32 v32, 0
	v_mov_b32_e32 v48, 0
	s_mov_b32 s9, 0
	s_mov_b32 s7, exec_lo
                                        ; implicit-def: $sgpr10
                                        ; implicit-def: $vgpr30
	v_cmpx_gt_u32_e64 s25, v19
	s_cbranch_execz .LBB103_111
; %bb.76:
	v_cmp_ne_u32_e32 vcc_lo, v13, v14
	v_lshrrev_b32_e32 v18, 16, v22
	v_dual_mov_b32 v28, 0 :: v_dual_add_nc_u32 v19, 5, v51
	v_dual_mov_b32 v37, 0 :: v_dual_mov_b32 v40, 0
	v_cndmask_b32_e64 v20, 0, 1, vcc_lo
	v_cmp_eq_u32_e32 vcc_lo, v13, v14
	v_dual_mov_b32 v39, 0 :: v_dual_mov_b32 v42, 0
	v_dual_mov_b32 v38, 0 :: v_dual_mov_b32 v41, 0
	v_dual_mov_b32 v46, 0 :: v_dual_cndmask_b32 v13, s44, v18
	v_dual_mov_b32 v43, 0 :: v_dual_mov_b32 v32, 0
	v_dual_mov_b32 v44, 0 :: v_dual_mov_b32 v45, 0
	s_delay_alu instid0(VALU_DEP_3)
	v_dual_mov_b32 v48, 0 :: v_dual_and_b32 v13, 0xffff, v13
	v_mov_b32_e32 v29, 0
	v_mov_b32_e32 v31, 0
	;; [unrolled: 1-line block ×3, first 2 shown]
	s_mov_b32 s10, 0
	v_lshl_or_b32 v36, v20, 16, v13
	s_mov_b32 s8, exec_lo
                                        ; implicit-def: $sgpr11
                                        ; implicit-def: $vgpr30
	v_cmpx_gt_u32_e64 s25, v19
	s_cbranch_execz .LBB103_110
; %bb.77:
	v_cmp_eq_u32_e32 vcc_lo, v14, v15
	v_dual_mov_b32 v37, 0 :: v_dual_add_nc_u32 v18, 6, v51
	v_dual_mov_b32 v39, 0 :: v_dual_mov_b32 v42, 0
	v_dual_cndmask_b32 v13, s44, v23 :: v_dual_mov_b32 v38, 0
	v_cmp_ne_u32_e32 vcc_lo, v14, v15
	v_dual_mov_b32 v41, 0 :: v_dual_mov_b32 v44, 0
	s_delay_alu instid0(VALU_DEP_3) | instskip(SKIP_3) | instid1(VALU_DEP_3)
	v_dual_mov_b32 v40, 0 :: v_dual_and_b32 v13, 0xffff, v13
	v_cndmask_b32_e64 v14, 0, 1, vcc_lo
	v_dual_mov_b32 v43, 0 :: v_dual_mov_b32 v46, 0
	v_dual_mov_b32 v45, 0 :: v_dual_mov_b32 v32, 0
	v_lshl_or_b32 v28, v14, 16, v13
	v_dual_mov_b32 v29, 0 :: v_dual_mov_b32 v48, 0
	v_mov_b32_e32 v31, 0
	v_mov_b32_e32 v47, 0
	s_mov_b32 s11, 0
	s_mov_b32 s9, exec_lo
                                        ; implicit-def: $sgpr12
                                        ; implicit-def: $vgpr30
	v_cmpx_gt_u32_e64 s25, v18
	s_cbranch_execz .LBB103_109
; %bb.78:
	v_cmp_ne_u32_e32 vcc_lo, v15, v16
	v_lshrrev_b32_e32 v13, 16, v23
	v_dual_mov_b32 v38, 0 :: v_dual_mov_b32 v39, 0
	v_dual_mov_b32 v40, 0 :: v_dual_mov_b32 v41, 0
	v_cndmask_b32_e64 v18, 0, 1, vcc_lo
	v_cmp_eq_u32_e32 vcc_lo, v15, v16
	v_dual_mov_b32 v43, 0 :: v_dual_add_nc_u32 v14, 7, v51
	v_dual_mov_b32 v44, 0 :: v_dual_mov_b32 v45, 0
	v_dual_mov_b32 v46, 0 :: v_dual_cndmask_b32 v13, s44, v13
	v_dual_mov_b32 v29, 0 :: v_dual_mov_b32 v32, 0
	v_dual_mov_b32 v42, 0 :: v_dual_mov_b32 v31, 0
	s_delay_alu instid0(VALU_DEP_3) | instskip(SKIP_3) | instid1(VALU_DEP_2)
	v_dual_mov_b32 v48, 0 :: v_dual_and_b32 v13, 0xffff, v13
	v_mov_b32_e32 v47, 0
	s_mov_b32 s12, 0
	s_mov_b32 s10, exec_lo
                                        ; implicit-def: $sgpr13
                                        ; implicit-def: $vgpr30
	v_lshl_or_b32 v37, v18, 16, v13
	v_cmpx_gt_u32_e64 s25, v14
	s_cbranch_execz .LBB103_108
; %bb.79:
	v_cmp_eq_u32_e32 vcc_lo, v16, v9
	v_dual_mov_b32 v39, 0 :: v_dual_mov_b32 v42, 0
	v_dual_mov_b32 v41, 0 :: v_dual_mov_b32 v44, 0
	v_dual_cndmask_b32 v13, s44, v24 :: v_dual_add_nc_u32 v14, 8, v51
	v_cmp_ne_u32_e32 vcc_lo, v16, v9
	v_dual_mov_b32 v43, 0 :: v_dual_mov_b32 v46, 0
	s_delay_alu instid0(VALU_DEP_3) | instskip(SKIP_3) | instid1(VALU_DEP_3)
	v_dual_mov_b32 v40, 0 :: v_dual_and_b32 v13, 0xffff, v13
	v_cndmask_b32_e64 v15, 0, 1, vcc_lo
	v_dual_mov_b32 v45, 0 :: v_dual_mov_b32 v32, 0
	v_dual_mov_b32 v29, 0 :: v_dual_mov_b32 v48, 0
	v_lshl_or_b32 v38, v15, 16, v13
	v_mov_b32_e32 v31, 0
	v_mov_b32_e32 v47, 0
	s_mov_b32 s13, 0
	s_mov_b32 s11, exec_lo
                                        ; implicit-def: $sgpr14
                                        ; implicit-def: $vgpr30
	v_cmpx_gt_u32_e64 s25, v14
	s_cbranch_execz .LBB103_107
; %bb.80:
	v_cmp_ne_u32_e32 vcc_lo, v9, v10
	v_lshrrev_b32_e32 v13, 16, v24
	v_dual_mov_b32 v40, 0 :: v_dual_mov_b32 v41, 0
	v_dual_mov_b32 v42, 0 :: v_dual_mov_b32 v43, 0
	v_cndmask_b32_e64 v15, 0, 1, vcc_lo
	v_cmp_eq_u32_e32 vcc_lo, v9, v10
	v_dual_mov_b32 v45, 0 :: v_dual_add_nc_u32 v14, 9, v51
	v_dual_mov_b32 v46, 0 :: v_dual_mov_b32 v29, 0
	v_dual_mov_b32 v32, 0 :: v_dual_cndmask_b32 v9, s44, v13
	v_dual_mov_b32 v31, 0 :: v_dual_mov_b32 v48, 0
	v_dual_mov_b32 v44, 0 :: v_dual_mov_b32 v47, 0
	s_delay_alu instid0(VALU_DEP_3) | instskip(SKIP_2) | instid1(VALU_DEP_1)
	v_and_b32_e32 v9, 0xffff, v9
	s_mov_b32 s14, 0
	s_mov_b32 s12, exec_lo
                                        ; implicit-def: $sgpr16
                                        ; implicit-def: $vgpr30
	v_lshl_or_b32 v39, v15, 16, v9
	v_cmpx_gt_u32_e64 s25, v14
	s_cbranch_execz .LBB103_106
; %bb.81:
	ds_load_b128 v[13:16], v17 offset:18
	v_cmp_ne_u32_e32 vcc_lo, v10, v11
	v_dual_mov_b32 v42, 0 :: v_dual_add_nc_u32 v9, 10, v51
	v_dual_mov_b32 v43, 0 :: v_dual_mov_b32 v44, 0
	v_cndmask_b32_e64 v18, 0, 1, vcc_lo
	v_cmp_eq_u32_e32 vcc_lo, v10, v11
	v_mov_b32_e32 v41, 0
	v_dual_mov_b32 v45, 0 :: v_dual_mov_b32 v46, 0
	v_dual_mov_b32 v31, 0 :: v_dual_mov_b32 v32, 0
	;; [unrolled: 1-line block ×3, first 2 shown]
	s_mov_b32 s16, 0
	s_mov_b32 s13, exec_lo
                                        ; implicit-def: $sgpr17
                                        ; implicit-def: $vgpr30
	s_waitcnt lgkmcnt(0)
	v_dual_cndmask_b32 v10, s44, v13 :: v_dual_mov_b32 v29, 0
	s_delay_alu instid0(VALU_DEP_1) | instskip(NEXT) | instid1(VALU_DEP_1)
	v_and_b32_e32 v10, 0xffff, v10
	v_lshl_or_b32 v40, v18, 16, v10
	v_cmpx_gt_u32_e64 s25, v9
	s_cbranch_execz .LBB103_105
; %bb.82:
	v_cmp_ne_u32_e32 vcc_lo, v11, v12
	v_lshrrev_b32_e32 v9, 16, v13
	v_dual_mov_b32 v42, 0 :: v_dual_mov_b32 v43, 0
	v_dual_mov_b32 v44, 0 :: v_dual_mov_b32 v45, 0
	v_cndmask_b32_e64 v13, 0, 1, vcc_lo
	v_cmp_eq_u32_e32 vcc_lo, v11, v12
	v_dual_mov_b32 v29, 0 :: v_dual_add_nc_u32 v10, 11, v51
	v_dual_mov_b32 v32, 0 :: v_dual_mov_b32 v31, 0
	v_dual_mov_b32 v48, 0 :: v_dual_cndmask_b32 v9, s44, v9
	v_dual_mov_b32 v47, 0 :: v_dual_mov_b32 v46, 0
	s_mov_b32 s17, 0
	s_mov_b32 s14, exec_lo
	s_delay_alu instid0(VALU_DEP_2) | instskip(NEXT) | instid1(VALU_DEP_1)
	v_and_b32_e32 v9, 0xffff, v9
                                        ; implicit-def: $sgpr18
                                        ; implicit-def: $vgpr30
	v_lshl_or_b32 v41, v13, 16, v9
	v_cmpx_gt_u32_e64 s25, v10
	s_cbranch_execz .LBB103_104
; %bb.83:
	v_cmp_eq_u32_e32 vcc_lo, v12, v5
	v_dual_mov_b32 v43, 0 :: v_dual_mov_b32 v46, 0
	v_dual_mov_b32 v45, 0 :: v_dual_mov_b32 v32, 0
	v_dual_cndmask_b32 v9, s44, v14 :: v_dual_add_nc_u32 v10, 12, v51
	v_cmp_ne_u32_e32 vcc_lo, v12, v5
	v_dual_mov_b32 v29, 0 :: v_dual_mov_b32 v48, 0
	s_delay_alu instid0(VALU_DEP_3)
	v_dual_mov_b32 v44, 0 :: v_dual_and_b32 v9, 0xffff, v9
	v_cndmask_b32_e64 v11, 0, 1, vcc_lo
	v_mov_b32_e32 v31, 0
	v_mov_b32_e32 v47, 0
	s_mov_b32 s18, 0
	s_mov_b32 s16, exec_lo
	v_lshl_or_b32 v42, v11, 16, v9
                                        ; implicit-def: $sgpr19
                                        ; implicit-def: $vgpr30
	v_cmpx_gt_u32_e64 s25, v10
	s_cbranch_execz .LBB103_103
; %bb.84:
	v_cmp_ne_u32_e32 vcc_lo, v5, v6
	v_lshrrev_b32_e32 v9, 16, v14
	v_dual_mov_b32 v44, 0 :: v_dual_mov_b32 v45, 0
	v_dual_mov_b32 v46, 0 :: v_dual_mov_b32 v29, 0
	v_cndmask_b32_e64 v11, 0, 1, vcc_lo
	v_cmp_eq_u32_e32 vcc_lo, v5, v6
	v_dual_mov_b32 v31, 0 :: v_dual_add_nc_u32 v10, 13, v51
	v_dual_mov_b32 v48, 0 :: v_dual_mov_b32 v47, 0
	v_cndmask_b32_e32 v5, s44, v9, vcc_lo
	s_mov_b32 s19, 0
	s_mov_b32 s17, exec_lo
	v_mov_b32_e32 v32, 0
                                        ; implicit-def: $sgpr20
                                        ; implicit-def: $vgpr30
	s_delay_alu instid0(VALU_DEP_2) | instskip(NEXT) | instid1(VALU_DEP_1)
	v_and_b32_e32 v5, 0xffff, v5
	v_lshl_or_b32 v43, v11, 16, v5
	v_cmpx_gt_u32_e64 s25, v10
	s_cbranch_execz .LBB103_102
; %bb.85:
	v_cmp_eq_u32_e32 vcc_lo, v6, v7
	v_dual_mov_b32 v32, 0 :: v_dual_add_nc_u32 v9, 14, v51
	v_mov_b32_e32 v45, 0
	v_mov_b32_e32 v29, 0
	v_dual_cndmask_b32 v5, s44, v15 :: v_dual_mov_b32 v46, 0
	v_cmp_ne_u32_e32 vcc_lo, v6, v7
	v_mov_b32_e32 v31, 0
	v_mov_b32_e32 v47, 0
	s_delay_alu instid0(VALU_DEP_4) | instskip(SKIP_3) | instid1(VALU_DEP_1)
	v_dual_mov_b32 v48, 0 :: v_dual_and_b32 v5, 0xffff, v5
	v_cndmask_b32_e64 v6, 0, 1, vcc_lo
	s_mov_b32 s20, 0
	s_mov_b32 s18, exec_lo
                                        ; implicit-def: $sgpr21
                                        ; implicit-def: $vgpr30
	v_lshl_or_b32 v44, v6, 16, v5
	v_cmpx_gt_u32_e64 s25, v9
	s_cbranch_execz .LBB103_101
; %bb.86:
	v_lshrrev_b32_e32 v5, 16, v15
	v_cmp_eq_u32_e32 vcc_lo, v7, v8
	v_add_nc_u32_e32 v6, 15, v51
	v_dual_mov_b32 v46, 0 :: v_dual_mov_b32 v29, 0
	v_dual_mov_b32 v31, 0 :: v_dual_mov_b32 v48, 0
	v_cndmask_b32_e32 v5, s44, v5, vcc_lo
	v_cmp_ne_u32_e32 vcc_lo, v7, v8
	v_dual_mov_b32 v47, 0 :: v_dual_mov_b32 v32, 0
	s_mov_b32 s21, 0
	s_delay_alu instid0(VALU_DEP_3) | instskip(SKIP_2) | instid1(VALU_DEP_1)
	v_and_b32_e32 v5, 0xffff, v5
	v_cndmask_b32_e64 v7, 0, 1, vcc_lo
	s_mov_b32 s19, exec_lo
                                        ; implicit-def: $sgpr22
                                        ; implicit-def: $vgpr30
	v_lshl_or_b32 v45, v7, 16, v5
	v_cmpx_gt_u32_e64 s25, v6
	s_cbranch_execz .LBB103_100
; %bb.87:
	v_cmp_eq_u32_e32 vcc_lo, v8, v1
	v_dual_mov_b32 v29, 0 :: v_dual_mov_b32 v48, 0
	v_mov_b32_e32 v31, 0
	v_mov_b32_e32 v47, 0
	v_dual_cndmask_b32 v5, s44, v16 :: v_dual_add_nc_u32 v6, 16, v51
	v_cmp_ne_u32_e32 vcc_lo, v8, v1
	s_mov_b32 s22, 0
	s_mov_b32 s20, exec_lo
	s_delay_alu instid0(VALU_DEP_2) | instskip(SKIP_1) | instid1(VALU_DEP_1)
	v_dual_mov_b32 v32, 0 :: v_dual_and_b32 v5, 0xffff, v5
	v_cndmask_b32_e64 v7, 0, 1, vcc_lo
                                        ; implicit-def: $sgpr23
                                        ; implicit-def: $vgpr30
	v_lshl_or_b32 v46, v7, 16, v5
	v_cmpx_gt_u32_e64 s25, v6
	s_cbranch_execz .LBB103_99
; %bb.88:
	v_lshrrev_b32_e32 v5, 16, v16
	v_cmp_eq_u32_e32 vcc_lo, v1, v2
	v_dual_mov_b32 v31, 0 :: v_dual_mov_b32 v48, 0
	v_dual_mov_b32 v47, 0 :: v_dual_add_nc_u32 v6, 17, v51
	s_delay_alu instid0(VALU_DEP_4) | instskip(SKIP_3) | instid1(VALU_DEP_2)
	v_cndmask_b32_e32 v5, s44, v5, vcc_lo
	v_cmp_ne_u32_e32 vcc_lo, v1, v2
	s_mov_b32 s23, 0
	s_mov_b32 s21, exec_lo
	v_dual_mov_b32 v32, 0 :: v_dual_and_b32 v5, 0xffff, v5
	v_cndmask_b32_e64 v1, 0, 1, vcc_lo
                                        ; implicit-def: $sgpr24
                                        ; implicit-def: $vgpr30
	s_delay_alu instid0(VALU_DEP_1)
	v_lshl_or_b32 v29, v1, 16, v5
	v_cmpx_gt_u32_e64 s25, v6
	s_cbranch_execz .LBB103_98
; %bb.89:
	ds_load_b64 v[5:6], v17 offset:34
	v_cmp_eq_u32_e32 vcc_lo, v2, v3
	v_dual_mov_b32 v48, 0 :: v_dual_add_nc_u32 v7, 18, v51
	v_mov_b32_e32 v47, 0
	s_mov_b32 s24, 0
	s_mov_b32 s22, exec_lo
                                        ; implicit-def: $sgpr40
                                        ; implicit-def: $vgpr30
	s_waitcnt lgkmcnt(0)
	v_dual_mov_b32 v32, 0 :: v_dual_cndmask_b32 v1, s44, v5
	v_cmp_ne_u32_e32 vcc_lo, v2, v3
	s_delay_alu instid0(VALU_DEP_2) | instskip(SKIP_1) | instid1(VALU_DEP_1)
	v_and_b32_e32 v1, 0xffff, v1
	v_cndmask_b32_e64 v2, 0, 1, vcc_lo
	v_lshl_or_b32 v31, v2, 16, v1
	v_cmpx_gt_u32_e64 s25, v7
	s_cbranch_execz .LBB103_97
; %bb.90:
	v_lshrrev_b32_e32 v1, 16, v5
	v_cmp_eq_u32_e32 vcc_lo, v3, v4
	v_mov_b32_e32 v47, 0
	s_mov_b32 s40, 0
	s_mov_b32 s23, exec_lo
	v_dual_cndmask_b32 v1, s44, v1 :: v_dual_add_nc_u32 v2, 19, v51
	v_cmp_ne_u32_e32 vcc_lo, v3, v4
                                        ; implicit-def: $sgpr41
                                        ; implicit-def: $vgpr30
	s_delay_alu instid0(VALU_DEP_2) | instskip(SKIP_1) | instid1(VALU_DEP_1)
	v_dual_mov_b32 v48, 0 :: v_dual_and_b32 v1, 0xffff, v1
	v_cndmask_b32_e64 v3, 0, 1, vcc_lo
	v_lshl_or_b32 v32, v3, 16, v1
	v_cmpx_gt_u32_e64 s25, v2
	s_cbranch_execz .LBB103_96
; %bb.91:
	v_cmp_eq_u32_e32 vcc_lo, v4, v25
	s_mov_b32 s24, exec_lo
                                        ; implicit-def: $sgpr41
                                        ; implicit-def: $vgpr30
	v_add_nc_u32_e32 v2, 20, v51
	v_dual_mov_b32 v48, 0 :: v_dual_cndmask_b32 v1, s44, v6
	v_cmp_ne_u32_e32 vcc_lo, v4, v25
	s_delay_alu instid0(VALU_DEP_2) | instskip(SKIP_1) | instid1(VALU_DEP_1)
	v_and_b32_e32 v1, 0xffff, v1
	v_cndmask_b32_e64 v3, 0, 1, vcc_lo
	v_lshl_or_b32 v47, v3, 16, v1
	v_cmpx_gt_u32_e64 s25, v2
	s_cbranch_execz .LBB103_95
; %bb.92:
	v_lshrrev_b32_e32 v1, 16, v6
	v_cmp_eq_u32_e32 vcc_lo, v25, v26
	v_add_nc_u32_e32 v3, 21, v51
                                        ; implicit-def: $sgpr40
                                        ; implicit-def: $vgpr30
	s_delay_alu instid0(VALU_DEP_3) | instskip(SKIP_1) | instid1(VALU_DEP_2)
	v_cndmask_b32_e32 v1, s44, v1, vcc_lo
	v_cmp_ne_u32_e32 vcc_lo, v25, v26
	v_and_b32_e32 v1, 0xffff, v1
	v_cndmask_b32_e64 v2, 0, 1, vcc_lo
	v_cmp_gt_u32_e32 vcc_lo, s25, v3
	s_mov_b32 s25, 0
	s_delay_alu instid0(VALU_DEP_2) | instskip(SKIP_1) | instid1(SALU_CYCLE_1)
	v_lshl_or_b32 v48, v2, 16, v1
	s_and_saveexec_b32 s41, vcc_lo
	s_xor_b32 s41, exec_lo, s41
	s_cbranch_execz .LBB103_94
; %bb.93:
	ds_load_u16 v1, v17 offset:42
	v_cmp_ne_u32_e32 vcc_lo, v26, v50
	s_mov_b32 s25, exec_lo
	s_and_b32 s40, vcc_lo, exec_lo
	s_waitcnt lgkmcnt(0)
	v_cndmask_b32_e64 v30, v1, s44, vcc_lo
.LBB103_94:
	s_or_b32 exec_lo, exec_lo, s41
	s_delay_alu instid0(SALU_CYCLE_1)
	s_and_b32 s41, s40, exec_lo
	s_and_b32 s40, s25, exec_lo
.LBB103_95:
	s_or_b32 exec_lo, exec_lo, s24
	s_delay_alu instid0(SALU_CYCLE_1)
	s_and_b32 s41, s41, exec_lo
	s_and_b32 s24, s40, exec_lo
.LBB103_96:
	s_or_b32 exec_lo, exec_lo, s23
	s_delay_alu instid0(SALU_CYCLE_1)
	s_and_b32 s40, s41, exec_lo
	s_and_b32 s23, s24, exec_lo
.LBB103_97:
	s_or_b32 exec_lo, exec_lo, s22
	s_delay_alu instid0(SALU_CYCLE_1)
	s_and_b32 s24, s40, exec_lo
	s_and_b32 s22, s23, exec_lo
.LBB103_98:
	s_or_b32 exec_lo, exec_lo, s21
	s_delay_alu instid0(SALU_CYCLE_1)
	s_and_b32 s23, s24, exec_lo
	s_and_b32 s21, s22, exec_lo
.LBB103_99:
	s_or_b32 exec_lo, exec_lo, s20
	s_delay_alu instid0(SALU_CYCLE_1)
	s_and_b32 s22, s23, exec_lo
	s_and_b32 s20, s21, exec_lo
.LBB103_100:
	s_or_b32 exec_lo, exec_lo, s19
	s_delay_alu instid0(SALU_CYCLE_1)
	s_and_b32 s21, s22, exec_lo
	s_and_b32 s19, s20, exec_lo
.LBB103_101:
	s_or_b32 exec_lo, exec_lo, s18
	s_delay_alu instid0(SALU_CYCLE_1)
	s_and_b32 s20, s21, exec_lo
	s_and_b32 s18, s19, exec_lo
.LBB103_102:
	s_or_b32 exec_lo, exec_lo, s17
	s_delay_alu instid0(SALU_CYCLE_1)
	s_and_b32 s19, s20, exec_lo
	s_and_b32 s17, s18, exec_lo
.LBB103_103:
	s_or_b32 exec_lo, exec_lo, s16
	s_delay_alu instid0(SALU_CYCLE_1)
	s_and_b32 s18, s19, exec_lo
	s_and_b32 s16, s17, exec_lo
.LBB103_104:
	s_or_b32 exec_lo, exec_lo, s14
	s_delay_alu instid0(SALU_CYCLE_1)
	s_and_b32 s17, s18, exec_lo
	s_and_b32 s14, s16, exec_lo
.LBB103_105:
	s_or_b32 exec_lo, exec_lo, s13
	s_delay_alu instid0(SALU_CYCLE_1)
	s_and_b32 s16, s17, exec_lo
	s_and_b32 s13, s14, exec_lo
.LBB103_106:
	s_or_b32 exec_lo, exec_lo, s12
	s_delay_alu instid0(SALU_CYCLE_1)
	s_and_b32 s14, s16, exec_lo
	s_and_b32 s12, s13, exec_lo
.LBB103_107:
	s_or_b32 exec_lo, exec_lo, s11
	s_delay_alu instid0(SALU_CYCLE_1)
	s_and_b32 s13, s14, exec_lo
	s_and_b32 s11, s12, exec_lo
.LBB103_108:
	s_or_b32 exec_lo, exec_lo, s10
	s_delay_alu instid0(SALU_CYCLE_1)
	s_and_b32 s12, s13, exec_lo
	s_and_b32 s10, s11, exec_lo
.LBB103_109:
	s_or_b32 exec_lo, exec_lo, s9
	s_delay_alu instid0(SALU_CYCLE_1)
	s_and_b32 s11, s12, exec_lo
	s_and_b32 s9, s10, exec_lo
.LBB103_110:
	s_or_b32 exec_lo, exec_lo, s8
	s_delay_alu instid0(SALU_CYCLE_1)
	s_and_b32 s10, s11, exec_lo
	s_and_b32 s8, s9, exec_lo
.LBB103_111:
	s_or_b32 exec_lo, exec_lo, s7
	s_delay_alu instid0(SALU_CYCLE_1)
	s_and_b32 s9, s10, exec_lo
	s_and_b32 s7, s8, exec_lo
.LBB103_112:
	s_or_b32 exec_lo, exec_lo, s6
	s_delay_alu instid0(SALU_CYCLE_1)
	s_and_b32 s8, s9, exec_lo
	s_and_b32 s6, s7, exec_lo
.LBB103_113:
	s_or_b32 exec_lo, exec_lo, s5
	s_delay_alu instid0(SALU_CYCLE_1)
	s_and_b32 s5, s8, exec_lo
	s_and_b32 s7, s6, exec_lo
.LBB103_114:
	s_or_b32 exec_lo, exec_lo, s3
	s_delay_alu instid0(SALU_CYCLE_1)
	s_and_b32 s5, s5, exec_lo
	s_and_b32 s3, s7, exec_lo
.LBB103_115:
	s_or_b32 exec_lo, exec_lo, s4
	s_mov_b32 s4, 0
	s_and_b32 vcc_lo, exec_lo, s2
	s_cbranch_vccnz .LBB103_117
	s_branch .LBB103_122
.LBB103_116:
                                        ; implicit-def: $sgpr5
                                        ; implicit-def: $vgpr33
                                        ; implicit-def: $vgpr34
                                        ; implicit-def: $vgpr35
                                        ; implicit-def: $vgpr27
                                        ; implicit-def: $vgpr36
                                        ; implicit-def: $vgpr28
                                        ; implicit-def: $vgpr37
                                        ; implicit-def: $vgpr38
                                        ; implicit-def: $vgpr39
                                        ; implicit-def: $vgpr40
                                        ; implicit-def: $vgpr41
                                        ; implicit-def: $vgpr42
                                        ; implicit-def: $vgpr43
                                        ; implicit-def: $vgpr44
                                        ; implicit-def: $vgpr45
                                        ; implicit-def: $vgpr46
                                        ; implicit-def: $vgpr29
                                        ; implicit-def: $vgpr31
                                        ; implicit-def: $vgpr32
                                        ; implicit-def: $vgpr47
                                        ; implicit-def: $vgpr48
                                        ; implicit-def: $vgpr30
                                        ; implicit-def: $sgpr4
	s_cbranch_execz .LBB103_122
.LBB103_117:
	v_add_co_u32 v1, s2, s34, v49
	s_delay_alu instid0(VALU_DEP_1)
	v_add_co_ci_u32_e64 v2, null, s35, 0, s2
	s_clause 0x9
	global_load_b32 v3, v49, s[34:35]
	global_load_b32 v4, v49, s[34:35] offset:256
	global_load_b32 v5, v49, s[34:35] offset:512
	;; [unrolled: 1-line block ×9, first 2 shown]
	v_add_co_u32 v1, vcc_lo, 0x1000, v1
	v_add_co_ci_u32_e32 v2, vcc_lo, 0, v2, vcc_lo
	s_clause 0xb
	global_load_b32 v13, v49, s[34:35] offset:2560
	global_load_b32 v14, v49, s[34:35] offset:2816
	;; [unrolled: 1-line block ×6, first 2 shown]
	global_load_b32 v19, v[1:2], off
	global_load_b32 v20, v[1:2], off offset:256
	global_load_b32 v21, v[1:2], off offset:512
	;; [unrolled: 1-line block ×5, first 2 shown]
	v_mad_u32_u24 v24, 0x54, v0, v49
	s_waitcnt vmcnt(20)
	ds_store_2addr_stride64_b32 v49, v3, v4 offset1:1
	s_waitcnt vmcnt(18)
	ds_store_2addr_stride64_b32 v49, v5, v6 offset0:2 offset1:3
	s_waitcnt vmcnt(16)
	ds_store_2addr_stride64_b32 v49, v7, v8 offset0:4 offset1:5
	s_waitcnt vmcnt(14)
	ds_store_2addr_stride64_b32 v49, v9, v10 offset0:6 offset1:7
	s_waitcnt vmcnt(12)
	ds_store_2addr_stride64_b32 v49, v11, v12 offset0:8 offset1:9
	s_waitcnt vmcnt(10)
	ds_store_2addr_stride64_b32 v49, v13, v14 offset0:10 offset1:11
	s_waitcnt vmcnt(8)
	ds_store_2addr_stride64_b32 v49, v15, v16 offset0:12 offset1:13
	s_waitcnt vmcnt(6)
	ds_store_2addr_stride64_b32 v49, v17, v18 offset0:14 offset1:15
	s_waitcnt vmcnt(4)
	ds_store_2addr_stride64_b32 v49, v19, v20 offset0:16 offset1:17
	s_waitcnt vmcnt(2)
	ds_store_2addr_stride64_b32 v49, v21, v22 offset0:18 offset1:19
	s_waitcnt vmcnt(0)
	ds_store_2addr_stride64_b32 v49, v23, v1 offset0:20 offset1:21
	s_waitcnt lgkmcnt(0)
	s_barrier
	buffer_gl0_inv
	s_load_b32 s2, s[34:35], 0x1600
	ds_load_2addr_b64 v[17:20], v24 offset1:1
	ds_load_2addr_b64 v[13:16], v24 offset0:2 offset1:3
	ds_load_2addr_b64 v[9:12], v24 offset0:4 offset1:5
	;; [unrolled: 1-line block ×4, first 2 shown]
	ds_load_b64 v[29:30], v24 offset:80
	v_mad_i32_i24 v21, 0xffffffac, v0, v24
	s_waitcnt lgkmcnt(0)
	ds_store_b32 v21, v17 offset:5888
	s_waitcnt lgkmcnt(0)
	s_barrier
	buffer_gl0_inv
	v_mov_b32_e32 v50, s2
	s_mov_b32 s2, exec_lo
	v_cmpx_ne_u32_e32 63, v0
	s_cbranch_execz .LBB103_119
; %bb.118:
	ds_load_b32 v50, v49 offset:5892
.LBB103_119:
	s_or_b32 exec_lo, exec_lo, s2
	v_lshlrev_b32_e32 v22, 1, v0
	s_waitcnt lgkmcnt(0)
	s_barrier
	buffer_gl0_inv
	v_cmp_eq_u32_e32 vcc_lo, v17, v18
	v_mov_b32_e32 v17, 0x10000
	s_clause 0x15
	global_load_u16 v23, v22, s[26:27]
	global_load_u16 v24, v22, s[26:27] offset:128
	global_load_u16 v25, v22, s[26:27] offset:256
	;; [unrolled: 1-line block ×21, first 2 shown]
	v_sub_nc_u32_e32 v34, v21, v22
	s_waitcnt vmcnt(21)
	ds_store_b16 v34, v23
	s_waitcnt vmcnt(20)
	ds_store_b16 v34, v24 offset:128
	s_waitcnt vmcnt(19)
	ds_store_b16 v34, v25 offset:256
	s_waitcnt vmcnt(18)
	ds_store_b16 v34, v26 offset:384
	s_waitcnt vmcnt(17)
	ds_store_b16 v34, v27 offset:512
	s_waitcnt vmcnt(16)
	ds_store_b16 v34, v28 offset:640
	s_waitcnt vmcnt(15)
	ds_store_b16 v34, v31 offset:768
	s_waitcnt vmcnt(14)
	ds_store_b16 v34, v32 offset:896
	s_waitcnt vmcnt(13)
	ds_store_b16 v34, v33 offset:1024
	s_waitcnt vmcnt(12)
	ds_store_b16 v34, v35 offset:1152
	s_waitcnt vmcnt(11)
	ds_store_b16 v34, v36 offset:1280
	s_waitcnt vmcnt(10)
	ds_store_b16 v34, v37 offset:1408
	s_waitcnt vmcnt(9)
	ds_store_b16 v34, v38 offset:1536
	s_waitcnt vmcnt(8)
	ds_store_b16 v34, v39 offset:1664
	s_waitcnt vmcnt(7)
	ds_store_b16 v34, v40 offset:1792
	s_waitcnt vmcnt(6)
	ds_store_b16 v34, v41 offset:1920
	s_waitcnt vmcnt(5)
	ds_store_b16 v34, v42 offset:2048
	s_waitcnt vmcnt(4)
	ds_store_b16 v34, v43 offset:2176
	s_waitcnt vmcnt(3)
	ds_store_b16 v34, v44 offset:2304
	s_waitcnt vmcnt(2)
	ds_store_b16 v34, v45 offset:2432
	s_waitcnt vmcnt(1)
	ds_store_b16 v34, v46 offset:2560
	s_waitcnt vmcnt(0)
	ds_store_b16 v34, v47 offset:2688
	v_mad_u32_u24 v48, v0, 42, v34
	s_waitcnt lgkmcnt(0)
	s_barrier
	buffer_gl0_inv
	ds_load_b128 v[25:28], v48 offset:2
	ds_load_b128 v[21:24], v48 offset:18
	ds_load_b64 v[31:32], v48 offset:34
	ds_load_u16 v49, v48 offset:42
	v_mov_b32_e32 v33, s44
	s_and_saveexec_b32 s2, vcc_lo
	s_cbranch_execz .LBB103_121
; %bb.120:
	v_mul_u32_u24_e32 v17, 42, v0
	s_delay_alu instid0(VALU_DEP_1)
	v_add_nc_u32_e32 v17, v34, v17
	ds_load_u16 v33, v17
	v_mov_b32_e32 v17, 0
.LBB103_121:
	s_or_b32 exec_lo, exec_lo, s2
	v_cmp_eq_u32_e32 vcc_lo, v18, v19
	s_waitcnt lgkmcnt(3)
	v_lshrrev_b32_e32 v34, 16, v25
	s_waitcnt lgkmcnt(0)
	v_and_b32_e32 v33, 0xffff, v33
	v_lshrrev_b32_e32 v35, 16, v26
	v_lshrrev_b32_e32 v36, 16, v27
	v_cndmask_b32_e32 v25, s44, v25, vcc_lo
	v_cmp_ne_u32_e32 vcc_lo, v18, v19
	v_or_b32_e32 v33, v17, v33
	v_lshrrev_b32_e32 v37, 16, v28
	v_lshrrev_b32_e32 v39, 16, v21
	v_and_b32_e32 v25, 0xffff, v25
	v_cndmask_b32_e64 v18, 0, 1, vcc_lo
	v_cmp_eq_u32_e32 vcc_lo, v19, v20
	v_lshrrev_b32_e32 v41, 16, v22
	v_lshrrev_b32_e32 v43, 16, v23
	;; [unrolled: 1-line block ×4, first 2 shown]
	v_cndmask_b32_e32 v38, s44, v34, vcc_lo
	v_cmp_eq_u32_e32 vcc_lo, v20, v13
	v_lshl_or_b32 v34, v18, 16, v25
	v_lshrrev_b32_e32 v48, 16, v32
	v_cmp_ne_u32_e64 s5, v30, v50
	v_and_b32_e32 v18, 0xffff, v38
	v_cndmask_b32_e32 v17, s44, v26, vcc_lo
	v_cmp_ne_u32_e32 vcc_lo, v19, v20
	s_mov_b32 s3, -1
                                        ; implicit-def: $sgpr4
	s_delay_alu instid0(VALU_DEP_2)
	v_and_b32_e32 v17, 0xffff, v17
	v_cndmask_b32_e64 v19, 0, 1, vcc_lo
	v_cmp_ne_u32_e32 vcc_lo, v20, v13
	v_cndmask_b32_e64 v20, 0, 1, vcc_lo
	v_cmp_eq_u32_e32 vcc_lo, v13, v14
	v_cndmask_b32_e32 v25, s44, v35, vcc_lo
	v_cmp_eq_u32_e32 vcc_lo, v14, v15
	v_lshl_or_b32 v35, v19, 16, v18
	v_cndmask_b32_e32 v18, s44, v27, vcc_lo
	v_cmp_ne_u32_e32 vcc_lo, v13, v14
	v_lshl_or_b32 v27, v20, 16, v17
	v_and_b32_e32 v17, 0xffff, v25
	s_delay_alu instid0(VALU_DEP_4)
	v_and_b32_e32 v18, 0xffff, v18
	v_cndmask_b32_e64 v13, 0, 1, vcc_lo
	v_cmp_ne_u32_e32 vcc_lo, v14, v15
	v_cndmask_b32_e64 v14, 0, 1, vcc_lo
	v_cmp_eq_u32_e32 vcc_lo, v15, v16
	v_cndmask_b32_e32 v19, s44, v36, vcc_lo
	v_cmp_eq_u32_e32 vcc_lo, v16, v9
	v_lshl_or_b32 v36, v13, 16, v17
	v_cndmask_b32_e32 v13, s44, v28, vcc_lo
	v_cmp_ne_u32_e32 vcc_lo, v15, v16
	v_lshl_or_b32 v28, v14, 16, v18
	v_and_b32_e32 v14, 0xffff, v19
	s_delay_alu instid0(VALU_DEP_4) | instskip(SKIP_4) | instid1(VALU_DEP_2)
	v_and_b32_e32 v13, 0xffff, v13
	v_cndmask_b32_e64 v15, 0, 1, vcc_lo
	v_cmp_ne_u32_e32 vcc_lo, v16, v9
	v_cndmask_b32_e64 v16, 0, 1, vcc_lo
	v_cmp_eq_u32_e32 vcc_lo, v9, v10
	v_lshl_or_b32 v38, v16, 16, v13
	v_cndmask_b32_e32 v17, s44, v37, vcc_lo
	v_cmp_eq_u32_e32 vcc_lo, v10, v11
	v_lshl_or_b32 v37, v15, 16, v14
	s_delay_alu instid0(VALU_DEP_3) | instskip(SKIP_2) | instid1(VALU_DEP_2)
	v_and_b32_e32 v13, 0xffff, v17
	v_cndmask_b32_e32 v14, s44, v21, vcc_lo
	v_cmp_ne_u32_e32 vcc_lo, v9, v10
	v_and_b32_e32 v14, 0xffff, v14
	v_cndmask_b32_e64 v9, 0, 1, vcc_lo
	v_cmp_ne_u32_e32 vcc_lo, v10, v11
	v_cndmask_b32_e64 v10, 0, 1, vcc_lo
	v_cmp_eq_u32_e32 vcc_lo, v11, v12
	s_delay_alu instid0(VALU_DEP_2) | instskip(SKIP_3) | instid1(VALU_DEP_3)
	v_lshl_or_b32 v40, v10, 16, v14
	v_cndmask_b32_e32 v15, s44, v39, vcc_lo
	v_cmp_eq_u32_e32 vcc_lo, v12, v5
	v_lshl_or_b32 v39, v9, 16, v13
	v_and_b32_e32 v10, 0xffff, v15
	v_cndmask_b32_e32 v9, s44, v22, vcc_lo
	v_cmp_ne_u32_e32 vcc_lo, v11, v12
	s_delay_alu instid0(VALU_DEP_2) | instskip(SKIP_4) | instid1(VALU_DEP_2)
	v_and_b32_e32 v9, 0xffff, v9
	v_cndmask_b32_e64 v11, 0, 1, vcc_lo
	v_cmp_ne_u32_e32 vcc_lo, v12, v5
	v_cndmask_b32_e64 v12, 0, 1, vcc_lo
	v_cmp_eq_u32_e32 vcc_lo, v5, v6
	v_lshl_or_b32 v42, v12, 16, v9
	v_cndmask_b32_e32 v13, s44, v41, vcc_lo
	v_cmp_eq_u32_e32 vcc_lo, v6, v7
	v_lshl_or_b32 v41, v11, 16, v10
	s_delay_alu instid0(VALU_DEP_3) | instskip(SKIP_2) | instid1(VALU_DEP_2)
	v_and_b32_e32 v9, 0xffff, v13
	v_cndmask_b32_e32 v10, s44, v23, vcc_lo
	v_cmp_ne_u32_e32 vcc_lo, v5, v6
	v_and_b32_e32 v10, 0xffff, v10
	v_cndmask_b32_e64 v5, 0, 1, vcc_lo
	v_cmp_eq_u32_e32 vcc_lo, v7, v8
	v_cndmask_b32_e32 v11, s44, v43, vcc_lo
	v_cmp_eq_u32_e32 vcc_lo, v8, v1
	s_delay_alu instid0(VALU_DEP_4) | instskip(NEXT) | instid1(VALU_DEP_3)
	v_lshl_or_b32 v43, v5, 16, v9
	v_and_b32_e32 v11, 0xffff, v11
	v_cndmask_b32_e32 v12, s44, v24, vcc_lo
	v_cmp_ne_u32_e32 vcc_lo, v6, v7
	s_delay_alu instid0(VALU_DEP_2) | instskip(SKIP_4) | instid1(VALU_DEP_2)
	v_and_b32_e32 v12, 0xffff, v12
	v_cndmask_b32_e64 v6, 0, 1, vcc_lo
	v_cmp_ne_u32_e32 vcc_lo, v7, v8
	v_cndmask_b32_e64 v7, 0, 1, vcc_lo
	v_cmp_ne_u32_e32 vcc_lo, v8, v1
	v_lshl_or_b32 v45, v7, 16, v11
	v_cndmask_b32_e64 v8, 0, 1, vcc_lo
	v_cmp_eq_u32_e32 vcc_lo, v1, v2
	s_delay_alu instid0(VALU_DEP_2) | instskip(SKIP_3) | instid1(VALU_DEP_3)
	v_lshl_or_b32 v46, v8, 16, v12
	v_cndmask_b32_e32 v13, s44, v44, vcc_lo
	v_cmp_eq_u32_e32 vcc_lo, v2, v3
	v_lshl_or_b32 v44, v6, 16, v10
	v_and_b32_e32 v5, 0xffff, v13
	v_cndmask_b32_e32 v6, s44, v31, vcc_lo
	v_cmp_eq_u32_e32 vcc_lo, v3, v4
	s_delay_alu instid0(VALU_DEP_2) | instskip(SKIP_2) | instid1(VALU_DEP_2)
	v_and_b32_e32 v6, 0xffff, v6
	v_cndmask_b32_e32 v7, s44, v47, vcc_lo
	v_cmp_ne_u32_e32 vcc_lo, v1, v2
	v_and_b32_e32 v7, 0xffff, v7
	v_cndmask_b32_e64 v1, 0, 1, vcc_lo
	v_cmp_ne_u32_e32 vcc_lo, v2, v3
	v_cndmask_b32_e64 v2, 0, 1, vcc_lo
	v_cmp_eq_u32_e32 vcc_lo, v4, v29
	s_delay_alu instid0(VALU_DEP_2) | instskip(SKIP_2) | instid1(VALU_DEP_2)
	v_lshl_or_b32 v31, v2, 16, v6
	v_cndmask_b32_e32 v8, s44, v32, vcc_lo
	v_cmp_eq_u32_e32 vcc_lo, v29, v30
	v_and_b32_e32 v8, 0xffff, v8
	v_cndmask_b32_e32 v9, s44, v48, vcc_lo
	v_cmp_ne_u32_e32 vcc_lo, v3, v4
	s_delay_alu instid0(VALU_DEP_2) | instskip(SKIP_2) | instid1(VALU_DEP_2)
	v_and_b32_e32 v9, 0xffff, v9
	v_cndmask_b32_e64 v3, 0, 1, vcc_lo
	v_cmp_ne_u32_e32 vcc_lo, v4, v29
	v_lshl_or_b32 v32, v3, 16, v7
	v_cndmask_b32_e64 v4, 0, 1, vcc_lo
	v_cmp_ne_u32_e32 vcc_lo, v29, v30
	v_lshl_or_b32 v29, v1, 16, v5
	v_cndmask_b32_e64 v30, v49, s44, s5
	s_delay_alu instid0(VALU_DEP_4) | instskip(SKIP_1) | instid1(VALU_DEP_1)
	v_lshl_or_b32 v47, v4, 16, v8
	v_cndmask_b32_e64 v10, 0, 1, vcc_lo
	v_lshl_or_b32 v48, v10, 16, v9
.LBB103_122:
	v_mov_b32_e32 v49, s4
	s_and_saveexec_b32 s2, s3
; %bb.123:
	v_and_b32_e32 v1, 0xffff, v30
	v_cndmask_b32_e64 v2, 0, 0x10000, s5
	s_delay_alu instid0(VALU_DEP_1)
	v_or_b32_e32 v49, v2, v1
; %bb.124:
	s_or_b32 exec_lo, exec_lo, s2
	s_delay_alu instid0(VALU_DEP_1)
	v_or3_b32 v1, v49, v48, v47
	v_cmp_gt_u32_e64 s22, 0x10000, v34
	v_lshlrev_b32_e32 v30, 16, v33
	v_lshlrev_b32_e32 v26, 16, v34
	v_cmp_gt_u32_e64 s21, 0x10000, v35
	v_lshlrev_b32_e32 v25, 16, v35
	v_cmp_gt_u32_e64 s20, 0x10000, v27
	v_lshlrev_b32_e32 v24, 16, v27
	v_cmp_gt_u32_e64 s19, 0x10000, v36
	v_lshlrev_b32_e32 v23, 16, v36
	v_cmp_gt_u32_e64 s18, 0x10000, v28
	v_lshlrev_b32_e32 v22, 16, v28
	v_cmp_gt_u32_e64 s17, 0x10000, v37
	v_lshlrev_b32_e32 v21, 16, v37
	v_cmp_gt_u32_e64 s16, 0x10000, v38
	v_lshlrev_b32_e32 v20, 16, v38
	v_cmp_gt_u32_e64 s14, 0x10000, v39
	v_lshlrev_b32_e32 v19, 16, v39
	v_cmp_gt_u32_e64 s13, 0x10000, v40
	v_lshlrev_b32_e32 v18, 16, v40
	v_cmp_gt_u32_e64 s12, 0x10000, v41
	v_lshlrev_b32_e32 v17, 16, v41
	v_cmp_gt_u32_e64 s11, 0x10000, v42
	v_lshlrev_b32_e32 v16, 16, v42
	v_cmp_gt_u32_e64 s10, 0x10000, v43
	v_lshlrev_b32_e32 v15, 16, v43
	v_cmp_gt_u32_e64 s9, 0x10000, v44
	v_lshlrev_b32_e32 v14, 16, v44
	v_cmp_gt_u32_e64 s8, 0x10000, v45
	v_lshlrev_b32_e32 v13, 16, v45
	v_cmp_gt_u32_e64 s7, 0x10000, v46
	v_lshlrev_b32_e32 v12, 16, v46
	v_cmp_gt_u32_e64 s6, 0x10000, v29
	v_lshlrev_b32_e32 v11, 16, v29
	v_cmp_gt_u32_e64 s5, 0x10000, v31
	v_lshlrev_b32_e32 v10, 16, v31
	v_cmp_gt_u32_e64 s4, 0x10000, v32
	v_lshlrev_b32_e32 v9, 16, v32
	v_cmp_gt_u32_e64 s3, 0x10000, v47
	v_lshlrev_b32_e32 v8, 16, v47
	v_cmp_gt_u32_e64 s2, 0x10000, v48
	v_lshlrev_b32_e32 v7, 16, v48
	v_cmp_gt_u32_e64 s23, 0x10000, v49
	v_lshlrev_b32_e32 v52, 16, v49
	v_or3_b32 v53, v1, v32, v31
	v_lshrrev_b32_e32 v50, 16, v33
	v_lshrrev_b32_e32 v51, 5, v0
	v_cmp_gt_u32_e32 vcc_lo, 32, v0
	s_cmp_lg_u32 s15, 0
	s_barrier
	buffer_gl0_inv
	s_cbranch_scc0 .LBB103_201
; %bb.125:
	v_cmp_lt_f32_e64 s24, v30, v26
	s_delay_alu instid0(VALU_DEP_1) | instskip(NEXT) | instid1(VALU_DEP_1)
	v_cndmask_b32_e64 v1, v33, v34, s24
	v_cndmask_b32_e64 v1, v34, v1, s22
	s_delay_alu instid0(VALU_DEP_1) | instskip(NEXT) | instid1(VALU_DEP_1)
	v_lshlrev_b32_e32 v2, 16, v1
	v_cmp_lt_f32_e64 s24, v2, v25
	s_delay_alu instid0(VALU_DEP_1) | instskip(NEXT) | instid1(VALU_DEP_1)
	v_cndmask_b32_e64 v1, v1, v35, s24
	v_cndmask_b32_e64 v1, v35, v1, s21
	s_delay_alu instid0(VALU_DEP_1) | instskip(NEXT) | instid1(VALU_DEP_1)
	v_lshlrev_b32_e32 v2, 16, v1
	;; [unrolled: 6-line block ×17, first 2 shown]
	v_cmp_lt_f32_e64 s24, v2, v9
	v_or3_b32 v2, v53, v29, v46
	s_delay_alu instid0(VALU_DEP_2) | instskip(NEXT) | instid1(VALU_DEP_2)
	v_cndmask_b32_e64 v1, v1, v32, s24
	v_or3_b32 v2, v2, v45, v44
	s_delay_alu instid0(VALU_DEP_2) | instskip(NEXT) | instid1(VALU_DEP_2)
	v_cndmask_b32_e64 v1, v32, v1, s4
	v_or3_b32 v2, v2, v43, v42
	s_delay_alu instid0(VALU_DEP_2) | instskip(NEXT) | instid1(VALU_DEP_2)
	v_lshlrev_b32_e32 v3, 16, v1
	v_or3_b32 v2, v2, v41, v40
	s_delay_alu instid0(VALU_DEP_2) | instskip(NEXT) | instid1(VALU_DEP_2)
	v_cmp_lt_f32_e64 s24, v3, v8
	v_or3_b32 v2, v2, v39, v38
	s_delay_alu instid0(VALU_DEP_2) | instskip(NEXT) | instid1(VALU_DEP_2)
	v_cndmask_b32_e64 v1, v1, v47, s24
	v_or3_b32 v2, v2, v37, v28
	s_delay_alu instid0(VALU_DEP_2) | instskip(NEXT) | instid1(VALU_DEP_2)
	v_cndmask_b32_e64 v1, v47, v1, s3
	v_or3_b32 v2, v2, v36, v27
	s_delay_alu instid0(VALU_DEP_2) | instskip(NEXT) | instid1(VALU_DEP_2)
	v_lshlrev_b32_e32 v3, 16, v1
	v_or3_b32 v2, v2, v35, v34
	s_delay_alu instid0(VALU_DEP_2) | instskip(NEXT) | instid1(VALU_DEP_2)
	v_cmp_lt_f32_e64 s24, v3, v7
	v_and_b32_e32 v2, 0x10000, v2
	s_delay_alu instid0(VALU_DEP_2) | instskip(NEXT) | instid1(VALU_DEP_1)
	v_cndmask_b32_e64 v1, v1, v48, s24
	v_cndmask_b32_e64 v1, v48, v1, s2
	s_delay_alu instid0(VALU_DEP_1) | instskip(NEXT) | instid1(VALU_DEP_1)
	v_lshlrev_b32_e32 v3, 16, v1
	v_cmp_lt_f32_e64 s24, v3, v52
	v_add_lshl_u32 v3, v51, v0, 2
	s_delay_alu instid0(VALU_DEP_2) | instskip(NEXT) | instid1(VALU_DEP_1)
	v_cndmask_b32_e64 v1, v1, v49, s24
	v_cndmask_b32_e64 v54, v49, v1, s23
	v_cmp_ne_u32_e64 s23, 0, v2
	s_delay_alu instid0(VALU_DEP_1)
	v_cndmask_b32_e64 v55, v50, 1, s23
	ds_store_b16 v3, v54
	ds_store_b8 v3, v55 offset:2
	s_waitcnt lgkmcnt(0)
	s_barrier
	buffer_gl0_inv
	s_and_saveexec_b32 s27, vcc_lo
	s_cbranch_execz .LBB103_137
; %bb.126:
	v_lshrrev_b32_e32 v1, 2, v0
	s_mov_b32 s26, exec_lo
	s_delay_alu instid0(VALU_DEP_1) | instskip(NEXT) | instid1(VALU_DEP_1)
	v_and_b32_e32 v1, 12, v1
	v_lshl_or_b32 v1, v0, 3, v1
	ds_load_b32 v4, v1
	ds_load_u16 v2, v1 offset:4
	ds_load_u8 v57, v1 offset:6
	s_waitcnt lgkmcnt(2)
	v_lshlrev_b32_e32 v6, 16, v4
	s_waitcnt lgkmcnt(1)
	v_lshlrev_b32_e32 v3, 16, v2
	s_waitcnt lgkmcnt(0)
	v_and_b32_e32 v58, 1, v57
	v_and_b32_e32 v5, 0x10000, v4
	v_cmp_eq_u16_e64 s24, 0, v57
	v_and_b32_e32 v56, 0xff000000, v4
	v_cmp_lt_f32_e64 s23, v6, v3
	v_mbcnt_lo_u32_b32 v57, -1, 0
	s_delay_alu instid0(VALU_DEP_2) | instskip(SKIP_1) | instid1(VALU_DEP_2)
	v_cndmask_b32_e64 v59, v4, v2, s23
	v_cmp_eq_u32_e64 s23, 1, v58
	v_cndmask_b32_e64 v58, v2, v59, s24
	s_delay_alu instid0(VALU_DEP_2) | instskip(SKIP_1) | instid1(VALU_DEP_3)
	v_cndmask_b32_e64 v60, v5, 0x10000, s23
	v_and_b32_e32 v59, 15, v57
	v_and_b32_e32 v62, 0xffff, v58
	s_delay_alu instid0(VALU_DEP_3) | instskip(NEXT) | instid1(VALU_DEP_1)
	v_or_b32_e32 v61, v60, v56
	v_or_b32_e32 v63, v61, v62
	v_lshrrev_b32_e32 v60, 16, v61
	s_delay_alu instid0(VALU_DEP_2)
	v_mov_b32_dpp v64, v63 row_shr:1 row_mask:0xf bank_mask:0xf
	v_cmpx_ne_u32_e32 0, v59
	s_cbranch_execz .LBB103_128
; %bb.127:
	s_delay_alu instid0(VALU_DEP_2) | instskip(SKIP_4) | instid1(VALU_DEP_4)
	v_lshlrev_b32_e32 v65, 16, v64
	v_lshlrev_b32_e32 v62, 16, v62
	v_lshrrev_b32_e32 v60, 16, v61
	v_lshrrev_b32_e32 v63, 16, v64
	v_and_b32_e32 v61, 0x10000, v61
	v_cmp_lt_f32_e64 s25, v65, v62
	s_delay_alu instid0(VALU_DEP_4) | instskip(NEXT) | instid1(VALU_DEP_4)
	v_and_b32_e32 v66, 0xff, v60
	v_and_b32_e32 v60, 1, v63
	s_delay_alu instid0(VALU_DEP_3) | instskip(SKIP_1) | instid1(VALU_DEP_1)
	v_cndmask_b32_e64 v62, v64, v58, s25
	v_cmp_ne_u32_e64 s25, 0, v61
	v_cndmask_b32_e64 v60, v60, 1, s25
	v_cmp_eq_u16_e64 s25, 0, v66
	s_delay_alu instid0(VALU_DEP_2) | instskip(NEXT) | instid1(VALU_DEP_2)
	v_lshlrev_b32_e32 v61, 16, v60
	v_cndmask_b32_e64 v58, v58, v62, s25
	s_delay_alu instid0(VALU_DEP_1) | instskip(NEXT) | instid1(VALU_DEP_1)
	v_and_b32_e32 v62, 0xffff, v58
	v_or3_b32 v63, v61, v62, v56
.LBB103_128:
	s_or_b32 exec_lo, exec_lo, s26
	s_delay_alu instid0(VALU_DEP_1)
	v_lshrrev_b32_e32 v62, 16, v63
	v_mov_b32_dpp v64, v63 row_shr:2 row_mask:0xf bank_mask:0xf
	v_mov_b32_e32 v61, v63
	s_mov_b32 s26, exec_lo
	v_cmpx_lt_u32_e32 1, v59
	s_cbranch_execz .LBB103_130
; %bb.129:
	v_lshlrev_b32_e32 v60, 16, v64
	v_lshlrev_b32_e32 v61, 16, v63
	v_lshrrev_b32_e32 v58, 16, v64
	v_and_b32_e32 v65, 0x10000, v63
	v_and_b32_e32 v62, 0xff, v62
	s_delay_alu instid0(VALU_DEP_4) | instskip(NEXT) | instid1(VALU_DEP_4)
	v_cmp_lt_f32_e64 s25, v60, v61
	v_and_b32_e32 v58, 1, v58
	s_delay_alu instid0(VALU_DEP_2) | instskip(SKIP_1) | instid1(VALU_DEP_1)
	v_cndmask_b32_e64 v61, v64, v63, s25
	v_cmp_ne_u32_e64 s25, 0, v65
	v_cndmask_b32_e64 v60, v58, 1, s25
	v_cmp_eq_u16_e64 s25, 0, v62
	s_delay_alu instid0(VALU_DEP_2) | instskip(NEXT) | instid1(VALU_DEP_2)
	v_lshlrev_b32_e32 v62, 16, v60
	v_cndmask_b32_e64 v58, v63, v61, s25
	s_delay_alu instid0(VALU_DEP_1) | instskip(SKIP_1) | instid1(VALU_DEP_2)
	v_and_b32_e32 v63, 0xffff, v58
	v_mov_b32_e32 v61, v58
	v_or3_b32 v63, v62, v63, v56
	v_mov_b32_e32 v62, v60
.LBB103_130:
	s_or_b32 exec_lo, exec_lo, s26
	s_delay_alu instid0(VALU_DEP_2)
	v_mov_b32_dpp v64, v63 row_shr:4 row_mask:0xf bank_mask:0xf
	s_mov_b32 s26, exec_lo
	v_cmpx_lt_u32_e32 3, v59
	s_cbranch_execz .LBB103_132
; %bb.131:
	s_delay_alu instid0(VALU_DEP_2) | instskip(SKIP_4) | instid1(VALU_DEP_4)
	v_lshlrev_b32_e32 v60, 16, v64
	v_lshlrev_b32_e32 v63, 16, v61
	v_lshrrev_b32_e32 v58, 16, v64
	v_and_b32_e32 v65, 0xff, v62
	v_and_b32_e32 v62, 1, v62
	v_cmp_lt_f32_e64 s25, v60, v63
	s_delay_alu instid0(VALU_DEP_4) | instskip(NEXT) | instid1(VALU_DEP_2)
	v_and_b32_e32 v58, 1, v58
	v_cndmask_b32_e64 v63, v64, v61, s25
	s_delay_alu instid0(VALU_DEP_4) | instskip(NEXT) | instid1(VALU_DEP_1)
	v_cmp_eq_u32_e64 s25, 1, v62
	v_cndmask_b32_e64 v60, v58, 1, s25
	v_cmp_eq_u16_e64 s25, 0, v65
	s_delay_alu instid0(VALU_DEP_2) | instskip(NEXT) | instid1(VALU_DEP_2)
	v_lshlrev_b32_e32 v62, 16, v60
	v_cndmask_b32_e64 v58, v61, v63, s25
	s_delay_alu instid0(VALU_DEP_1) | instskip(SKIP_1) | instid1(VALU_DEP_2)
	v_and_b32_e32 v63, 0xffff, v58
	v_mov_b32_e32 v61, v58
	v_or3_b32 v63, v62, v63, v56
	v_mov_b32_e32 v62, v60
.LBB103_132:
	s_or_b32 exec_lo, exec_lo, s26
	s_delay_alu instid0(VALU_DEP_2)
	v_mov_b32_dpp v64, v63 row_shr:8 row_mask:0xf bank_mask:0xf
	s_mov_b32 s26, exec_lo
	v_cmpx_lt_u32_e32 7, v59
	s_cbranch_execz .LBB103_134
; %bb.133:
	s_delay_alu instid0(VALU_DEP_2) | instskip(SKIP_4) | instid1(VALU_DEP_4)
	v_lshlrev_b32_e32 v59, 16, v64
	v_lshlrev_b32_e32 v60, 16, v61
	v_lshrrev_b32_e32 v58, 16, v64
	v_and_b32_e32 v63, 0xff, v62
	v_and_b32_e32 v62, 1, v62
	v_cmp_lt_f32_e64 s25, v59, v60
	s_delay_alu instid0(VALU_DEP_4) | instskip(NEXT) | instid1(VALU_DEP_2)
	v_and_b32_e32 v58, 1, v58
	v_cndmask_b32_e64 v59, v64, v61, s25
	s_delay_alu instid0(VALU_DEP_4) | instskip(NEXT) | instid1(VALU_DEP_1)
	v_cmp_eq_u32_e64 s25, 1, v62
	v_cndmask_b32_e64 v60, v58, 1, s25
	v_cmp_eq_u16_e64 s25, 0, v63
	s_delay_alu instid0(VALU_DEP_1) | instskip(NEXT) | instid1(VALU_DEP_3)
	v_cndmask_b32_e64 v58, v61, v59, s25
	v_lshlrev_b32_e32 v59, 16, v60
	s_delay_alu instid0(VALU_DEP_2) | instskip(NEXT) | instid1(VALU_DEP_1)
	v_dual_mov_b32 v61, v58 :: v_dual_and_b32 v62, 0xffff, v58
	v_or3_b32 v63, v59, v62, v56
	v_mov_b32_e32 v62, v60
.LBB103_134:
	s_or_b32 exec_lo, exec_lo, s26
	ds_swizzle_b32 v59, v63 offset:swizzle(BROADCAST,32,15)
	v_and_b32_e32 v63, 16, v57
	s_mov_b32 s26, exec_lo
	s_delay_alu instid0(VALU_DEP_1)
	v_cmpx_ne_u32_e32 0, v63
	s_cbranch_execz .LBB103_136
; %bb.135:
	s_waitcnt lgkmcnt(0)
	v_lshlrev_b32_e32 v60, 16, v59
	v_lshlrev_b32_e32 v63, 16, v61
	v_lshrrev_b32_e32 v58, 16, v59
	v_and_b32_e32 v64, 0xff, v62
	v_and_b32_e32 v62, 1, v62
	s_delay_alu instid0(VALU_DEP_4) | instskip(NEXT) | instid1(VALU_DEP_4)
	v_cmp_lt_f32_e64 s25, v60, v63
	v_and_b32_e32 v58, 1, v58
	s_delay_alu instid0(VALU_DEP_2) | instskip(NEXT) | instid1(VALU_DEP_4)
	v_cndmask_b32_e64 v59, v59, v61, s25
	v_cmp_eq_u32_e64 s25, 1, v62
	s_delay_alu instid0(VALU_DEP_1) | instskip(SKIP_1) | instid1(VALU_DEP_1)
	v_cndmask_b32_e64 v60, v58, 1, s25
	v_cmp_eq_u16_e64 s25, 0, v64
	v_cndmask_b32_e64 v58, v61, v59, s25
.LBB103_136:
	s_or_b32 exec_lo, exec_lo, s26
	s_waitcnt lgkmcnt(0)
	v_and_b32_e32 v59, 0xff, v60
	v_add_nc_u32_e32 v60, -1, v57
	v_and_b32_e32 v58, 0xffff, v58
	v_cmp_eq_u32_e64 s26, 0, v5
	s_delay_alu instid0(VALU_DEP_4) | instskip(NEXT) | instid1(VALU_DEP_4)
	v_lshlrev_b32_e32 v59, 16, v59
	v_cmp_gt_i32_e64 s25, 0, v60
	s_delay_alu instid0(VALU_DEP_2) | instskip(NEXT) | instid1(VALU_DEP_2)
	v_or3_b32 v56, v59, v58, v56
	v_cndmask_b32_e64 v57, v60, v57, s25
	v_and_b32_e32 v58, 0xff0000, v4
	s_delay_alu instid0(VALU_DEP_2) | instskip(SKIP_3) | instid1(VALU_DEP_1)
	v_lshlrev_b32_e32 v57, 2, v57
	ds_bpermute_b32 v56, v57, v56
	s_waitcnt lgkmcnt(0)
	v_lshlrev_b32_e32 v57, 16, v56
	v_cmp_lt_f32_e64 s25, v57, v6
	s_delay_alu instid0(VALU_DEP_1) | instskip(SKIP_1) | instid1(VALU_DEP_1)
	v_cndmask_b32_e64 v6, v56, v4, s25
	v_cmp_eq_u32_e64 s25, 0, v58
	v_cndmask_b32_e64 v4, v4, v6, s25
	v_cmp_eq_u32_e64 s25, 0, v0
	v_lshrrev_b32_e32 v6, 16, v56
	s_delay_alu instid0(VALU_DEP_2) | instskip(NEXT) | instid1(VALU_DEP_2)
	v_cndmask_b32_e64 v4, v4, v54, s25
	v_and_b32_e32 v6, 1, v6
	s_delay_alu instid0(VALU_DEP_2) | instskip(NEXT) | instid1(VALU_DEP_2)
	v_lshlrev_b32_e32 v56, 16, v4
	v_cndmask_b32_e64 v5, 1, v6, s26
	s_delay_alu instid0(VALU_DEP_2) | instskip(NEXT) | instid1(VALU_DEP_2)
	v_cmp_lt_f32_e64 s26, v56, v3
	v_cndmask_b32_e64 v5, v5, v55, s25
	s_delay_alu instid0(VALU_DEP_2) | instskip(NEXT) | instid1(VALU_DEP_1)
	v_cndmask_b32_e64 v3, v4, v2, s26
	v_cndmask_b32_e64 v2, v2, v3, s24
	s_delay_alu instid0(VALU_DEP_3)
	v_cndmask_b32_e64 v3, v5, 1, s23
	ds_store_b16 v1, v4
	ds_store_b8 v1, v5 offset:2
	ds_store_b16 v1, v2 offset:4
	ds_store_b8 v1, v3 offset:6
.LBB103_137:
	s_or_b32 exec_lo, exec_lo, s27
	v_cmp_eq_u32_e64 s24, 0, v0
	v_cmp_ne_u32_e64 s23, 0, v0
	s_waitcnt lgkmcnt(0)
	s_barrier
	buffer_gl0_inv
	s_and_saveexec_b32 s25, s23
	s_cbranch_execz .LBB103_139
; %bb.138:
	v_add_nc_u32_e32 v1, -1, v0
	s_delay_alu instid0(VALU_DEP_1) | instskip(NEXT) | instid1(VALU_DEP_1)
	v_lshrrev_b32_e32 v2, 5, v1
	v_add_lshl_u32 v1, v2, v1, 2
	ds_load_u16 v54, v1
	ds_load_u8 v55, v1 offset:2
.LBB103_139:
	s_or_b32 exec_lo, exec_lo, s25
	s_and_saveexec_b32 s34, vcc_lo
	s_cbranch_execz .LBB103_178
; %bb.140:
	v_mov_b32_e32 v3, 0
	v_mbcnt_lo_u32_b32 v65, -1, 0
	s_mov_b32 s27, 0
	ds_load_b32 v1, v3 offset:256
	v_cmp_eq_u32_e64 s25, 0, v65
	s_waitcnt lgkmcnt(0)
	v_readfirstlane_b32 s35, v1
	s_delay_alu instid0(VALU_DEP_2)
	s_and_saveexec_b32 s40, s25
	s_cbranch_execz .LBB103_142
; %bb.141:
	s_add_i32 s26, s15, 32
	s_delay_alu instid0(VALU_DEP_1) | instskip(SKIP_1) | instid1(SALU_CYCLE_1)
	v_dual_mov_b32 v1, s35 :: v_dual_mov_b32 v2, 1
	s_lshl_b64 s[26:27], s[26:27], 3
	s_add_u32 s26, s36, s26
	s_addc_u32 s27, s37, s27
	global_store_b64 v3, v[1:2], s[26:27]
.LBB103_142:
	s_or_b32 exec_lo, exec_lo, s40
	v_xad_u32 v1, v65, -1, s15
	s_mov_b32 s26, exec_lo
	s_delay_alu instid0(VALU_DEP_1) | instskip(NEXT) | instid1(VALU_DEP_1)
	v_add_nc_u32_e32 v2, 32, v1
	v_lshlrev_b64 v[2:3], 3, v[2:3]
	s_delay_alu instid0(VALU_DEP_1) | instskip(NEXT) | instid1(VALU_DEP_2)
	v_add_co_u32 v5, vcc_lo, s36, v2
	v_add_co_ci_u32_e32 v6, vcc_lo, s37, v3, vcc_lo
	global_load_b64 v[3:4], v[5:6], off glc
	s_waitcnt vmcnt(0)
	v_and_b32_e32 v2, 0xff, v4
	s_delay_alu instid0(VALU_DEP_1)
	v_cmpx_eq_u16_e32 0, v2
	s_cbranch_execz .LBB103_146
; %bb.143:
	s_mov_b32 s27, 0
.LBB103_144:                            ; =>This Inner Loop Header: Depth=1
	global_load_b64 v[3:4], v[5:6], off glc
	s_waitcnt vmcnt(0)
	v_and_b32_e32 v2, 0xff, v4
	s_delay_alu instid0(VALU_DEP_1) | instskip(SKIP_1) | instid1(SALU_CYCLE_1)
	v_cmp_ne_u16_e32 vcc_lo, 0, v2
	s_or_b32 s27, vcc_lo, s27
	s_and_not1_b32 exec_lo, exec_lo, s27
	s_cbranch_execnz .LBB103_144
; %bb.145:
	s_or_b32 exec_lo, exec_lo, s27
.LBB103_146:
	s_delay_alu instid0(SALU_CYCLE_1)
	s_or_b32 exec_lo, exec_lo, s26
	v_cmp_ne_u32_e32 vcc_lo, 31, v65
	v_and_b32_e32 v66, 0xffffff, v3
	v_and_b32_e32 v5, 0xff, v4
	v_lshlrev_b32_e64 v57, v65, -1
	v_add_nc_u32_e32 v58, 1, v65
	v_add_co_ci_u32_e32 v2, vcc_lo, 0, v65, vcc_lo
	s_delay_alu instid0(VALU_DEP_4) | instskip(SKIP_2) | instid1(VALU_DEP_4)
	v_cmp_eq_u16_e32 vcc_lo, 2, v5
	v_lshrrev_b32_e32 v5, 16, v3
	v_bfe_u32 v6, v3, 16, 8
	v_lshlrev_b32_e32 v56, 2, v2
	s_mov_b32 s26, exec_lo
	v_and_or_b32 v2, vcc_lo, v57, 0x80000000
	ds_bpermute_b32 v59, v56, v66
	v_ctz_i32_b32_e32 v2, v2
	s_delay_alu instid0(VALU_DEP_1)
	v_cmpx_le_u32_e64 v58, v2
	s_cbranch_execz .LBB103_148
; %bb.147:
	v_and_b32_e32 v6, 0xff0000, v3
	s_waitcnt lgkmcnt(0)
	v_lshlrev_b32_e32 v5, 16, v59
	v_lshlrev_b32_e32 v61, 16, v3
	v_lshrrev_b32_e32 v60, 16, v59
	s_delay_alu instid0(VALU_DEP_2) | instskip(SKIP_1) | instid1(VALU_DEP_3)
	v_cmp_lt_f32_e32 vcc_lo, v5, v61
	v_dual_cndmask_b32 v59, v59, v3 :: v_dual_and_b32 v62, 0x10000, v6
	v_and_b32_e32 v60, 1, v60
	s_delay_alu instid0(VALU_DEP_2) | instskip(NEXT) | instid1(VALU_DEP_2)
	v_cmp_ne_u32_e32 vcc_lo, 0, v62
	v_cndmask_b32_e64 v5, v60, 1, vcc_lo
	v_cmp_eq_u32_e32 vcc_lo, 0, v6
	s_delay_alu instid0(VALU_DEP_2) | instskip(NEXT) | instid1(VALU_DEP_1)
	v_dual_cndmask_b32 v3, v3, v59 :: v_dual_lshlrev_b32 v6, 16, v5
	v_and_b32_e32 v59, 0xffff, v3
	s_delay_alu instid0(VALU_DEP_1)
	v_or_b32_e32 v66, v6, v59
	v_mov_b32_e32 v6, v5
.LBB103_148:
	s_or_b32 exec_lo, exec_lo, s26
	v_cmp_gt_u32_e32 vcc_lo, 30, v65
	v_add_nc_u32_e32 v60, 2, v65
	s_mov_b32 s26, exec_lo
	s_waitcnt lgkmcnt(0)
	v_cndmask_b32_e64 v59, 0, 1, vcc_lo
	s_delay_alu instid0(VALU_DEP_1) | instskip(NEXT) | instid1(VALU_DEP_1)
	v_lshlrev_b32_e32 v59, 1, v59
	v_add_lshl_u32 v59, v59, v65, 2
	ds_bpermute_b32 v61, v59, v66
	v_cmpx_le_u32_e64 v60, v2
	s_cbranch_execz .LBB103_150
; %bb.149:
	s_waitcnt lgkmcnt(0)
	v_lshlrev_b32_e32 v5, 16, v61
	v_lshlrev_b32_e32 v63, 16, v3
	v_lshrrev_b32_e32 v62, 16, v61
	s_delay_alu instid0(VALU_DEP_2) | instskip(SKIP_1) | instid1(VALU_DEP_3)
	v_cmp_lt_f32_e32 vcc_lo, v5, v63
	v_dual_cndmask_b32 v61, v61, v3 :: v_dual_and_b32 v64, 1, v6
	v_and_b32_e32 v62, 1, v62
	s_delay_alu instid0(VALU_DEP_2) | instskip(NEXT) | instid1(VALU_DEP_2)
	v_cmp_eq_u32_e32 vcc_lo, 1, v64
	v_cndmask_b32_e64 v5, v62, 1, vcc_lo
	v_cmp_eq_u16_e32 vcc_lo, 0, v6
	s_delay_alu instid0(VALU_DEP_2) | instskip(SKIP_1) | instid1(VALU_DEP_1)
	v_lshlrev_b32_e32 v6, 16, v5
	v_cndmask_b32_e32 v3, v3, v61, vcc_lo
	v_and_b32_e32 v61, 0xffff, v3
	s_delay_alu instid0(VALU_DEP_1)
	v_or_b32_e32 v66, v6, v61
	v_mov_b32_e32 v6, v5
.LBB103_150:
	s_or_b32 exec_lo, exec_lo, s26
	v_cmp_gt_u32_e32 vcc_lo, 28, v65
	v_add_nc_u32_e32 v62, 4, v65
	s_mov_b32 s26, exec_lo
	s_waitcnt lgkmcnt(0)
	v_cndmask_b32_e64 v61, 0, 1, vcc_lo
	s_delay_alu instid0(VALU_DEP_1) | instskip(NEXT) | instid1(VALU_DEP_1)
	v_lshlrev_b32_e32 v61, 2, v61
	v_add_lshl_u32 v61, v61, v65, 2
	ds_bpermute_b32 v63, v61, v66
	v_cmpx_le_u32_e64 v62, v2
	s_cbranch_execz .LBB103_152
; %bb.151:
	s_waitcnt lgkmcnt(0)
	v_lshlrev_b32_e32 v5, 16, v63
	v_lshlrev_b32_e32 v66, 16, v3
	v_lshrrev_b32_e32 v64, 16, v63
	v_and_b32_e32 v67, 1, v6
	s_delay_alu instid0(VALU_DEP_3) | instskip(NEXT) | instid1(VALU_DEP_3)
	v_cmp_lt_f32_e32 vcc_lo, v5, v66
	v_dual_cndmask_b32 v63, v63, v3 :: v_dual_and_b32 v64, 1, v64
	s_delay_alu instid0(VALU_DEP_3) | instskip(NEXT) | instid1(VALU_DEP_2)
	v_cmp_eq_u32_e32 vcc_lo, 1, v67
	v_cndmask_b32_e64 v5, v64, 1, vcc_lo
	v_cmp_eq_u16_e32 vcc_lo, 0, v6
	s_delay_alu instid0(VALU_DEP_2) | instskip(NEXT) | instid1(VALU_DEP_1)
	v_dual_cndmask_b32 v3, v3, v63 :: v_dual_lshlrev_b32 v6, 16, v5
	v_and_b32_e32 v63, 0xffff, v3
	s_delay_alu instid0(VALU_DEP_1)
	v_or_b32_e32 v66, v6, v63
	v_mov_b32_e32 v6, v5
.LBB103_152:
	s_or_b32 exec_lo, exec_lo, s26
	v_cmp_gt_u32_e32 vcc_lo, 24, v65
	v_add_nc_u32_e32 v64, 8, v65
	s_mov_b32 s26, exec_lo
	s_waitcnt lgkmcnt(0)
	v_cndmask_b32_e64 v63, 0, 1, vcc_lo
	s_delay_alu instid0(VALU_DEP_1) | instskip(NEXT) | instid1(VALU_DEP_1)
	v_lshlrev_b32_e32 v63, 3, v63
	v_add_lshl_u32 v63, v63, v65, 2
	ds_bpermute_b32 v67, v63, v66
	v_cmpx_le_u32_e64 v64, v2
	s_cbranch_execz .LBB103_154
; %bb.153:
	s_waitcnt lgkmcnt(0)
	v_lshlrev_b32_e32 v5, 16, v67
	v_lshlrev_b32_e32 v68, 16, v3
	v_lshrrev_b32_e32 v66, 16, v67
	v_and_b32_e32 v69, 1, v6
	s_delay_alu instid0(VALU_DEP_3) | instskip(NEXT) | instid1(VALU_DEP_3)
	v_cmp_lt_f32_e32 vcc_lo, v5, v68
	v_dual_cndmask_b32 v67, v67, v3 :: v_dual_and_b32 v66, 1, v66
	s_delay_alu instid0(VALU_DEP_3) | instskip(NEXT) | instid1(VALU_DEP_2)
	v_cmp_eq_u32_e32 vcc_lo, 1, v69
	v_cndmask_b32_e64 v5, v66, 1, vcc_lo
	v_cmp_eq_u16_e32 vcc_lo, 0, v6
	s_delay_alu instid0(VALU_DEP_2) | instskip(NEXT) | instid1(VALU_DEP_1)
	v_dual_cndmask_b32 v3, v3, v67 :: v_dual_lshlrev_b32 v6, 16, v5
	v_and_b32_e32 v66, 0xffff, v3
	s_delay_alu instid0(VALU_DEP_1)
	v_or_b32_e32 v66, v6, v66
	v_mov_b32_e32 v6, v5
.LBB103_154:
	s_or_b32 exec_lo, exec_lo, s26
	v_cmp_gt_u32_e32 vcc_lo, 16, v65
	v_add_nc_u32_e32 v68, 16, v65
	s_mov_b32 s26, exec_lo
	s_waitcnt lgkmcnt(0)
	v_cndmask_b32_e64 v67, 0, 1, vcc_lo
	s_delay_alu instid0(VALU_DEP_1) | instskip(NEXT) | instid1(VALU_DEP_1)
	v_lshlrev_b32_e32 v67, 4, v67
	v_add_lshl_u32 v67, v67, v65, 2
	ds_bpermute_b32 v66, v67, v66
	v_cmpx_le_u32_e64 v68, v2
	s_cbranch_execz .LBB103_156
; %bb.155:
	s_waitcnt lgkmcnt(0)
	v_lshlrev_b32_e32 v2, 16, v66
	v_lshlrev_b32_e32 v5, 16, v3
	v_lshrrev_b32_e32 v65, 16, v66
	s_delay_alu instid0(VALU_DEP_2) | instskip(NEXT) | instid1(VALU_DEP_2)
	v_cmp_lt_f32_e32 vcc_lo, v2, v5
	v_and_b32_e32 v65, 1, v65
	v_dual_cndmask_b32 v2, v66, v3 :: v_dual_and_b32 v5, 1, v6
	v_cmp_eq_u16_e32 vcc_lo, 0, v6
	s_delay_alu instid0(VALU_DEP_2) | instskip(NEXT) | instid1(VALU_DEP_3)
	v_cndmask_b32_e32 v3, v3, v2, vcc_lo
	v_cmp_eq_u32_e32 vcc_lo, 1, v5
	v_cndmask_b32_e64 v5, v65, 1, vcc_lo
.LBB103_156:
	s_or_b32 exec_lo, exec_lo, s26
	v_mov_b32_e32 v2, 0
	s_branch .LBB103_158
.LBB103_157:                            ;   in Loop: Header=BB103_158 Depth=1
	s_or_b32 exec_lo, exec_lo, s26
	v_lshlrev_b32_e32 v5, 16, v3
	v_lshlrev_b32_e32 v6, 16, v66
	v_subrev_nc_u32_e32 v1, 32, v1
	s_delay_alu instid0(VALU_DEP_2) | instskip(SKIP_4) | instid1(VALU_DEP_3)
	v_cmp_lt_f32_e32 vcc_lo, v5, v6
	s_waitcnt lgkmcnt(0)
	v_and_b32_e32 v70, 0xff, v65
	v_and_b32_e32 v5, 1, v65
	v_dual_cndmask_b32 v3, v3, v66 :: v_dual_and_b32 v6, 1, v69
	v_cmp_eq_u16_e32 vcc_lo, 0, v70
	s_delay_alu instid0(VALU_DEP_2) | instskip(NEXT) | instid1(VALU_DEP_4)
	v_cndmask_b32_e32 v3, v66, v3, vcc_lo
	v_cmp_eq_u32_e32 vcc_lo, 1, v5
	s_delay_alu instid0(VALU_DEP_4)
	v_cndmask_b32_e64 v5, v6, 1, vcc_lo
.LBB103_158:                            ; =>This Loop Header: Depth=1
                                        ;     Child Loop BB103_161 Depth 2
	s_delay_alu instid0(VALU_DEP_1) | instskip(SKIP_2) | instid1(VALU_DEP_2)
	v_dual_mov_b32 v65, v5 :: v_dual_and_b32 v4, 0xff, v4
	s_waitcnt lgkmcnt(0)
	v_mov_b32_e32 v66, v3
	v_cmp_ne_u16_e32 vcc_lo, 2, v4
	v_cndmask_b32_e64 v4, 0, 1, vcc_lo
	;;#ASMSTART
	;;#ASMEND
	s_delay_alu instid0(VALU_DEP_1)
	v_cmp_ne_u32_e32 vcc_lo, 0, v4
	s_cmp_lg_u32 vcc_lo, exec_lo
	s_cbranch_scc1 .LBB103_173
; %bb.159:                              ;   in Loop: Header=BB103_158 Depth=1
	v_lshlrev_b64 v[3:4], 3, v[1:2]
	s_mov_b32 s26, exec_lo
	s_delay_alu instid0(VALU_DEP_1) | instskip(NEXT) | instid1(VALU_DEP_2)
	v_add_co_u32 v5, vcc_lo, s36, v3
	v_add_co_ci_u32_e32 v6, vcc_lo, s37, v4, vcc_lo
	global_load_b64 v[3:4], v[5:6], off glc
	s_waitcnt vmcnt(0)
	v_and_b32_e32 v69, 0xff, v4
	s_delay_alu instid0(VALU_DEP_1)
	v_cmpx_eq_u16_e32 0, v69
	s_cbranch_execz .LBB103_163
; %bb.160:                              ;   in Loop: Header=BB103_158 Depth=1
	s_mov_b32 s27, 0
.LBB103_161:                            ;   Parent Loop BB103_158 Depth=1
                                        ; =>  This Inner Loop Header: Depth=2
	global_load_b64 v[3:4], v[5:6], off glc
	s_waitcnt vmcnt(0)
	v_and_b32_e32 v69, 0xff, v4
	s_delay_alu instid0(VALU_DEP_1) | instskip(SKIP_1) | instid1(SALU_CYCLE_1)
	v_cmp_ne_u16_e32 vcc_lo, 0, v69
	s_or_b32 s27, vcc_lo, s27
	s_and_not1_b32 exec_lo, exec_lo, s27
	s_cbranch_execnz .LBB103_161
; %bb.162:                              ;   in Loop: Header=BB103_158 Depth=1
	s_or_b32 exec_lo, exec_lo, s27
.LBB103_163:                            ;   in Loop: Header=BB103_158 Depth=1
	s_delay_alu instid0(SALU_CYCLE_1)
	s_or_b32 exec_lo, exec_lo, s26
	v_and_b32_e32 v70, 0xffffff, v3
	v_and_b32_e32 v5, 0xff, v4
	v_lshrrev_b32_e32 v69, 16, v3
	v_bfe_u32 v6, v3, 16, 8
	s_mov_b32 s26, exec_lo
	ds_bpermute_b32 v71, v56, v70
	v_cmp_eq_u16_e32 vcc_lo, 2, v5
	v_and_or_b32 v5, vcc_lo, v57, 0x80000000
	s_delay_alu instid0(VALU_DEP_1) | instskip(NEXT) | instid1(VALU_DEP_1)
	v_ctz_i32_b32_e32 v5, v5
	v_cmpx_le_u32_e64 v58, v5
	s_cbranch_execz .LBB103_165
; %bb.164:                              ;   in Loop: Header=BB103_158 Depth=1
	v_and_b32_e32 v6, 0xff0000, v3
	s_waitcnt lgkmcnt(0)
	v_lshlrev_b32_e32 v69, 16, v71
	v_lshlrev_b32_e32 v72, 16, v3
	v_lshrrev_b32_e32 v70, 16, v71
	v_and_b32_e32 v73, 0x10000, v6
	s_delay_alu instid0(VALU_DEP_3) | instskip(NEXT) | instid1(VALU_DEP_3)
	v_cmp_lt_f32_e32 vcc_lo, v69, v72
	v_dual_cndmask_b32 v71, v71, v3 :: v_dual_and_b32 v70, 1, v70
	s_delay_alu instid0(VALU_DEP_3) | instskip(NEXT) | instid1(VALU_DEP_2)
	v_cmp_ne_u32_e32 vcc_lo, 0, v73
	v_cndmask_b32_e64 v69, v70, 1, vcc_lo
	v_cmp_eq_u32_e32 vcc_lo, 0, v6
	s_delay_alu instid0(VALU_DEP_2) | instskip(NEXT) | instid1(VALU_DEP_1)
	v_dual_cndmask_b32 v3, v3, v71 :: v_dual_lshlrev_b32 v6, 16, v69
	v_and_b32_e32 v70, 0xffff, v3
	s_delay_alu instid0(VALU_DEP_1)
	v_or_b32_e32 v70, v6, v70
	v_mov_b32_e32 v6, v69
.LBB103_165:                            ;   in Loop: Header=BB103_158 Depth=1
	s_or_b32 exec_lo, exec_lo, s26
	s_waitcnt lgkmcnt(0)
	ds_bpermute_b32 v71, v59, v70
	s_mov_b32 s26, exec_lo
	v_cmpx_le_u32_e64 v60, v5
	s_cbranch_execz .LBB103_167
; %bb.166:                              ;   in Loop: Header=BB103_158 Depth=1
	s_waitcnt lgkmcnt(0)
	v_lshlrev_b32_e32 v69, 16, v71
	v_lshlrev_b32_e32 v72, 16, v3
	v_lshrrev_b32_e32 v70, 16, v71
	v_and_b32_e32 v73, 1, v6
	s_delay_alu instid0(VALU_DEP_3) | instskip(NEXT) | instid1(VALU_DEP_3)
	v_cmp_lt_f32_e32 vcc_lo, v69, v72
	v_dual_cndmask_b32 v71, v71, v3 :: v_dual_and_b32 v70, 1, v70
	s_delay_alu instid0(VALU_DEP_3) | instskip(NEXT) | instid1(VALU_DEP_2)
	v_cmp_eq_u32_e32 vcc_lo, 1, v73
	v_cndmask_b32_e64 v69, v70, 1, vcc_lo
	v_cmp_eq_u16_e32 vcc_lo, 0, v6
	s_delay_alu instid0(VALU_DEP_2) | instskip(NEXT) | instid1(VALU_DEP_1)
	v_dual_cndmask_b32 v3, v3, v71 :: v_dual_lshlrev_b32 v6, 16, v69
	v_and_b32_e32 v70, 0xffff, v3
	s_delay_alu instid0(VALU_DEP_1)
	v_or_b32_e32 v70, v6, v70
	v_mov_b32_e32 v6, v69
.LBB103_167:                            ;   in Loop: Header=BB103_158 Depth=1
	s_or_b32 exec_lo, exec_lo, s26
	s_waitcnt lgkmcnt(0)
	ds_bpermute_b32 v71, v61, v70
	s_mov_b32 s26, exec_lo
	v_cmpx_le_u32_e64 v62, v5
	s_cbranch_execz .LBB103_169
; %bb.168:                              ;   in Loop: Header=BB103_158 Depth=1
	s_waitcnt lgkmcnt(0)
	v_lshlrev_b32_e32 v69, 16, v71
	v_lshlrev_b32_e32 v72, 16, v3
	v_lshrrev_b32_e32 v70, 16, v71
	v_and_b32_e32 v73, 1, v6
	s_delay_alu instid0(VALU_DEP_3) | instskip(NEXT) | instid1(VALU_DEP_3)
	v_cmp_lt_f32_e32 vcc_lo, v69, v72
	v_dual_cndmask_b32 v71, v71, v3 :: v_dual_and_b32 v70, 1, v70
	s_delay_alu instid0(VALU_DEP_3) | instskip(NEXT) | instid1(VALU_DEP_2)
	v_cmp_eq_u32_e32 vcc_lo, 1, v73
	v_cndmask_b32_e64 v69, v70, 1, vcc_lo
	v_cmp_eq_u16_e32 vcc_lo, 0, v6
	s_delay_alu instid0(VALU_DEP_2) | instskip(NEXT) | instid1(VALU_DEP_1)
	v_dual_cndmask_b32 v3, v3, v71 :: v_dual_lshlrev_b32 v6, 16, v69
	v_and_b32_e32 v70, 0xffff, v3
	s_delay_alu instid0(VALU_DEP_1)
	v_or_b32_e32 v70, v6, v70
	v_mov_b32_e32 v6, v69
.LBB103_169:                            ;   in Loop: Header=BB103_158 Depth=1
	;; [unrolled: 26-line block ×3, first 2 shown]
	s_or_b32 exec_lo, exec_lo, s26
	ds_bpermute_b32 v70, v67, v70
	s_mov_b32 s26, exec_lo
	v_cmpx_le_u32_e64 v68, v5
	s_cbranch_execz .LBB103_157
; %bb.172:                              ;   in Loop: Header=BB103_158 Depth=1
	s_waitcnt lgkmcnt(0)
	v_lshlrev_b32_e32 v5, 16, v70
	v_lshlrev_b32_e32 v69, 16, v3
	s_delay_alu instid0(VALU_DEP_1) | instskip(SKIP_4) | instid1(VALU_DEP_3)
	v_cmp_lt_f32_e32 vcc_lo, v5, v69
	v_and_b32_e32 v69, 1, v6
	v_cndmask_b32_e32 v5, v70, v3, vcc_lo
	v_cmp_eq_u16_e32 vcc_lo, 0, v6
	v_lshrrev_b32_e32 v70, 16, v70
	v_cndmask_b32_e32 v3, v3, v5, vcc_lo
	v_cmp_eq_u32_e32 vcc_lo, 1, v69
	s_delay_alu instid0(VALU_DEP_3)
	v_cndmask_b32_e64 v69, v70, 1, vcc_lo
	s_branch .LBB103_157
.LBB103_173:                            ;   in Loop: Header=BB103_158 Depth=1
                                        ; implicit-def: $vgpr5
                                        ; implicit-def: $vgpr3
	s_cbranch_execz .LBB103_158
; %bb.174:
	s_and_saveexec_b32 s26, s25
	s_cbranch_execz .LBB103_176
; %bb.175:
	s_and_b32 s25, s35, 0xff0000
	v_dual_mov_b32 v4, 0 :: v_dual_lshlrev_b32 v1, 16, v66
	s_cmp_eq_u32 s25, 0
	v_and_b32_e32 v2, 1, v65
	s_cselect_b32 vcc_lo, -1, 0
	s_lshl_b32 s25, s35, 16
	s_bitcmp0_b32 s35, 16
	v_cmp_gt_f32_e64 s25, s25, v1
	s_mov_b32 s41, 0
	v_lshlrev_b32_e32 v2, 16, v2
	s_delay_alu instid0(VALU_DEP_2) | instskip(NEXT) | instid1(VALU_DEP_1)
	v_cndmask_b32_e64 v1, v66, s35, s25
	v_cndmask_b32_e32 v1, s35, v1, vcc_lo
	s_cselect_b32 vcc_lo, -1, 0
	s_add_i32 s40, s15, 32
	v_cndmask_b32_e32 v3, 0x10000, v2, vcc_lo
	s_lshl_b64 s[40:41], s[40:41], 3
	v_dual_mov_b32 v2, 2 :: v_dual_and_b32 v1, 0xffff, v1
	s_add_u32 s40, s36, s40
	s_addc_u32 s41, s37, s41
	s_delay_alu instid0(VALU_DEP_1)
	v_or_b32_e32 v1, v3, v1
	global_store_b64 v4, v[1:2], s[40:41]
.LBB103_176:
	s_or_b32 exec_lo, exec_lo, s26
	s_delay_alu instid0(SALU_CYCLE_1)
	s_and_b32 exec_lo, exec_lo, s24
	s_cbranch_execz .LBB103_178
; %bb.177:
	v_mov_b32_e32 v1, 0
	ds_store_b16 v1, v66
	ds_store_b8 v1, v65 offset:2
.LBB103_178:
	s_or_b32 exec_lo, exec_lo, s34
	v_mov_b32_e32 v1, 0
	s_waitcnt lgkmcnt(0)
	s_waitcnt_vscnt null, 0x0
	s_barrier
	buffer_gl0_inv
	ds_load_b32 v1, v1
	s_and_saveexec_b32 s15, s23
	s_cbranch_execz .LBB103_180
; %bb.179:
	s_waitcnt lgkmcnt(0)
	v_lshlrev_b32_e32 v2, 16, v1
	v_lshlrev_b32_e32 v3, 16, v54
	s_delay_alu instid0(VALU_DEP_1) | instskip(SKIP_1) | instid1(VALU_DEP_1)
	v_cmp_lt_f32_e32 vcc_lo, v2, v3
	v_dual_cndmask_b32 v1, v1, v54 :: v_dual_and_b32 v4, 0xff, v55
	v_cmp_eq_u16_e32 vcc_lo, 0, v4
	s_delay_alu instid0(VALU_DEP_2)
	v_cndmask_b32_e32 v1, v54, v1, vcc_lo
.LBB103_180:
	s_or_b32 exec_lo, exec_lo, s15
	s_waitcnt lgkmcnt(0)
	s_delay_alu instid0(VALU_DEP_1) | instskip(NEXT) | instid1(VALU_DEP_1)
	v_lshlrev_b32_e32 v2, 16, v1
	v_cmp_lt_f32_e32 vcc_lo, v2, v30
	v_cndmask_b32_e32 v2, v1, v33, vcc_lo
	v_and_b32_e32 v3, 0xff0000, v33
	s_delay_alu instid0(VALU_DEP_1) | instskip(NEXT) | instid1(VALU_DEP_3)
	v_cmp_eq_u32_e32 vcc_lo, 0, v3
	v_cndmask_b32_e32 v2, v33, v2, vcc_lo
	s_delay_alu instid0(VALU_DEP_1) | instskip(NEXT) | instid1(VALU_DEP_1)
	v_lshlrev_b32_e32 v3, 16, v2
	v_cmp_lt_f32_e32 vcc_lo, v3, v26
	v_cndmask_b32_e32 v3, v2, v34, vcc_lo
	s_delay_alu instid0(VALU_DEP_1) | instskip(NEXT) | instid1(VALU_DEP_1)
	v_cndmask_b32_e64 v4, v34, v3, s22
	v_lshlrev_b32_e32 v3, 16, v4
	s_delay_alu instid0(VALU_DEP_1) | instskip(SKIP_1) | instid1(VALU_DEP_1)
	v_cmp_lt_f32_e32 vcc_lo, v3, v25
	v_cndmask_b32_e32 v3, v4, v35, vcc_lo
	v_cndmask_b32_e64 v5, v35, v3, s21
	s_delay_alu instid0(VALU_DEP_1) | instskip(NEXT) | instid1(VALU_DEP_1)
	v_lshlrev_b32_e32 v3, 16, v5
	v_cmp_lt_f32_e32 vcc_lo, v3, v24
	v_cndmask_b32_e32 v3, v5, v27, vcc_lo
	s_delay_alu instid0(VALU_DEP_1) | instskip(NEXT) | instid1(VALU_DEP_1)
	v_cndmask_b32_e64 v54, v27, v3, s20
	v_lshlrev_b32_e32 v3, 16, v54
	s_delay_alu instid0(VALU_DEP_1) | instskip(SKIP_1) | instid1(VALU_DEP_1)
	v_cmp_lt_f32_e32 vcc_lo, v3, v23
	v_cndmask_b32_e32 v3, v54, v36, vcc_lo
	v_cndmask_b32_e64 v55, v36, v3, s19
	;; [unrolled: 11-line block ×9, first 2 shown]
	s_delay_alu instid0(VALU_DEP_1) | instskip(NEXT) | instid1(VALU_DEP_1)
	v_lshlrev_b32_e32 v3, 16, v69
	v_cmp_lt_f32_e32 vcc_lo, v3, v8
	v_cndmask_b32_e32 v3, v69, v47, vcc_lo
	s_delay_alu instid0(VALU_DEP_1) | instskip(NEXT) | instid1(VALU_DEP_1)
	v_cndmask_b32_e64 v70, v47, v3, s3
	v_lshlrev_b32_e32 v3, 16, v70
	s_delay_alu instid0(VALU_DEP_1) | instskip(SKIP_1) | instid1(VALU_DEP_1)
	v_cmp_lt_f32_e32 vcc_lo, v3, v7
	v_dual_cndmask_b32 v6, v70, v48 :: v_dual_and_b32 v3, 0xffff, v1
	v_cndmask_b32_e64 v1, v48, v6, s2
	s_branch .LBB103_223
.LBB103_181:
	s_or_b32 exec_lo, exec_lo, s24
                                        ; implicit-def: $vgpr28
	s_and_saveexec_b32 s24, s2
	s_cbranch_execz .LBB103_49
.LBB103_182:
	global_load_u16 v28, v[21:22], off offset:128
	s_or_b32 exec_lo, exec_lo, s24
                                        ; implicit-def: $vgpr29
	s_and_saveexec_b32 s2, s3
	s_cbranch_execnz .LBB103_50
.LBB103_183:
	s_or_b32 exec_lo, exec_lo, s2
                                        ; implicit-def: $vgpr30
	s_and_saveexec_b32 s2, s4
	s_cbranch_execz .LBB103_51
.LBB103_184:
	global_load_u16 v30, v[21:22], off offset:384
	s_or_b32 exec_lo, exec_lo, s2
                                        ; implicit-def: $vgpr31
	s_and_saveexec_b32 s2, s5
	s_cbranch_execnz .LBB103_52
.LBB103_185:
	s_or_b32 exec_lo, exec_lo, s2
                                        ; implicit-def: $vgpr32
	s_and_saveexec_b32 s2, s6
	s_cbranch_execz .LBB103_53
.LBB103_186:
	global_load_u16 v32, v[21:22], off offset:640
	s_or_b32 exec_lo, exec_lo, s2
                                        ; implicit-def: $vgpr33
	s_and_saveexec_b32 s2, s7
	s_cbranch_execnz .LBB103_54
.LBB103_187:
	s_or_b32 exec_lo, exec_lo, s2
                                        ; implicit-def: $vgpr34
	s_and_saveexec_b32 s2, s8
	s_cbranch_execz .LBB103_55
.LBB103_188:
	global_load_u16 v34, v[21:22], off offset:896
	s_or_b32 exec_lo, exec_lo, s2
                                        ; implicit-def: $vgpr35
	s_and_saveexec_b32 s2, s9
	s_cbranch_execnz .LBB103_56
.LBB103_189:
	s_or_b32 exec_lo, exec_lo, s2
                                        ; implicit-def: $vgpr36
	s_and_saveexec_b32 s2, s10
	s_cbranch_execz .LBB103_57
.LBB103_190:
	global_load_u16 v36, v[21:22], off offset:1152
	s_or_b32 exec_lo, exec_lo, s2
                                        ; implicit-def: $vgpr37
	s_and_saveexec_b32 s2, s11
	s_cbranch_execnz .LBB103_58
.LBB103_191:
	s_or_b32 exec_lo, exec_lo, s2
                                        ; implicit-def: $vgpr38
	s_and_saveexec_b32 s2, s12
	s_cbranch_execz .LBB103_59
.LBB103_192:
	global_load_u16 v38, v[21:22], off offset:1408
	s_or_b32 exec_lo, exec_lo, s2
                                        ; implicit-def: $vgpr39
	s_and_saveexec_b32 s2, s13
	s_cbranch_execnz .LBB103_60
.LBB103_193:
	s_or_b32 exec_lo, exec_lo, s2
                                        ; implicit-def: $vgpr40
	s_and_saveexec_b32 s2, s14
	s_cbranch_execz .LBB103_61
.LBB103_194:
	global_load_u16 v40, v[21:22], off offset:1664
	s_or_b32 exec_lo, exec_lo, s2
                                        ; implicit-def: $vgpr41
	s_and_saveexec_b32 s2, s16
	s_cbranch_execnz .LBB103_62
.LBB103_195:
	s_or_b32 exec_lo, exec_lo, s2
                                        ; implicit-def: $vgpr42
	s_and_saveexec_b32 s2, s17
	s_cbranch_execz .LBB103_63
.LBB103_196:
	global_load_u16 v42, v[21:22], off offset:1920
	s_or_b32 exec_lo, exec_lo, s2
                                        ; implicit-def: $vgpr43
	s_and_saveexec_b32 s2, s18
	s_cbranch_execnz .LBB103_64
.LBB103_197:
	s_or_b32 exec_lo, exec_lo, s2
                                        ; implicit-def: $vgpr44
	s_and_saveexec_b32 s2, s19
	s_cbranch_execz .LBB103_65
.LBB103_198:
	global_load_u16 v44, v[21:22], off offset:2176
	s_or_b32 exec_lo, exec_lo, s2
                                        ; implicit-def: $vgpr45
	s_and_saveexec_b32 s2, s20
	s_cbranch_execnz .LBB103_66
.LBB103_199:
	s_or_b32 exec_lo, exec_lo, s2
                                        ; implicit-def: $vgpr46
	s_and_saveexec_b32 s2, s21
	s_cbranch_execz .LBB103_67
.LBB103_200:
	global_load_u16 v46, v[21:22], off offset:2432
	s_or_b32 exec_lo, exec_lo, s2
                                        ; implicit-def: $vgpr47
	s_and_saveexec_b32 s2, s22
	s_cbranch_execz .LBB103_69
	s_branch .LBB103_68
.LBB103_201:
                                        ; implicit-def: $vgpr3
                                        ; implicit-def: $vgpr2
                                        ; implicit-def: $vgpr4
                                        ; implicit-def: $vgpr5
                                        ; implicit-def: $vgpr54
                                        ; implicit-def: $vgpr55
                                        ; implicit-def: $vgpr56
                                        ; implicit-def: $vgpr57
                                        ; implicit-def: $vgpr58
                                        ; implicit-def: $vgpr59
                                        ; implicit-def: $vgpr60
                                        ; implicit-def: $vgpr61
                                        ; implicit-def: $vgpr62
                                        ; implicit-def: $vgpr63
                                        ; implicit-def: $vgpr64
                                        ; implicit-def: $vgpr65
                                        ; implicit-def: $vgpr66
                                        ; implicit-def: $vgpr67
                                        ; implicit-def: $vgpr68
                                        ; implicit-def: $vgpr69
                                        ; implicit-def: $vgpr70
                                        ; implicit-def: $vgpr1
	s_cbranch_execz .LBB103_223
; %bb.202:
	v_mov_b32_e32 v1, s44
	s_cmp_eq_u64 s[30:31], 0
	s_cbranch_scc1 .LBB103_204
; %bb.203:
	v_mov_b32_e32 v1, 0
	global_load_u16 v1, v1, s[30:31]
.LBB103_204:
	v_cmp_lt_f32_e32 vcc_lo, v30, v26
	v_cmp_gt_u32_e64 s19, 0x10000, v32
	v_cmp_gt_u32_e64 s20, 0x10000, v47
	v_add_lshl_u32 v5, v51, v0, 2
	s_mov_b32 s25, exec_lo
	v_cndmask_b32_e32 v2, v33, v34, vcc_lo
	v_cmp_gt_u32_e32 vcc_lo, 0x10000, v34
	s_delay_alu instid0(VALU_DEP_2) | instskip(NEXT) | instid1(VALU_DEP_1)
	v_cndmask_b32_e32 v2, v34, v2, vcc_lo
	v_lshlrev_b32_e32 v3, 16, v2
	s_delay_alu instid0(VALU_DEP_1) | instskip(NEXT) | instid1(VALU_DEP_1)
	v_cmp_lt_f32_e64 s2, v3, v25
	v_cndmask_b32_e64 v2, v2, v35, s2
	v_cmp_gt_u32_e64 s2, 0x10000, v35
	s_delay_alu instid0(VALU_DEP_1) | instskip(NEXT) | instid1(VALU_DEP_1)
	v_cndmask_b32_e64 v2, v35, v2, s2
	v_lshlrev_b32_e32 v3, 16, v2
	s_delay_alu instid0(VALU_DEP_1) | instskip(NEXT) | instid1(VALU_DEP_1)
	v_cmp_lt_f32_e64 s3, v3, v24
	v_cndmask_b32_e64 v2, v2, v27, s3
	v_cmp_gt_u32_e64 s3, 0x10000, v27
	s_delay_alu instid0(VALU_DEP_1) | instskip(NEXT) | instid1(VALU_DEP_1)
	v_cndmask_b32_e64 v2, v27, v2, s3
	;; [unrolled: 7-line block ×16, first 2 shown]
	v_lshlrev_b32_e32 v3, 16, v2
	s_delay_alu instid0(VALU_DEP_1) | instskip(SKIP_1) | instid1(VALU_DEP_2)
	v_cmp_lt_f32_e64 s18, v3, v9
	v_or3_b32 v3, v53, v29, v46
	v_cndmask_b32_e64 v2, v2, v32, s18
	s_delay_alu instid0(VALU_DEP_2) | instskip(NEXT) | instid1(VALU_DEP_2)
	v_or3_b32 v3, v3, v45, v44
	v_cndmask_b32_e64 v2, v32, v2, s19
	s_delay_alu instid0(VALU_DEP_2) | instskip(NEXT) | instid1(VALU_DEP_2)
	v_or3_b32 v3, v3, v43, v42
	v_lshlrev_b32_e32 v4, 16, v2
	s_delay_alu instid0(VALU_DEP_2) | instskip(NEXT) | instid1(VALU_DEP_2)
	v_or3_b32 v3, v3, v41, v40
	v_cmp_lt_f32_e64 s18, v4, v8
	s_delay_alu instid0(VALU_DEP_2) | instskip(NEXT) | instid1(VALU_DEP_2)
	v_or3_b32 v3, v3, v39, v38
	v_cndmask_b32_e64 v2, v2, v47, s18
	s_delay_alu instid0(VALU_DEP_2) | instskip(NEXT) | instid1(VALU_DEP_2)
	v_or3_b32 v3, v3, v37, v28
	v_cndmask_b32_e64 v2, v47, v2, s20
	s_delay_alu instid0(VALU_DEP_2) | instskip(NEXT) | instid1(VALU_DEP_2)
	v_or3_b32 v3, v3, v36, v27
	v_lshlrev_b32_e32 v4, 16, v2
	s_delay_alu instid0(VALU_DEP_2) | instskip(NEXT) | instid1(VALU_DEP_2)
	v_or3_b32 v3, v3, v35, v34
	v_cmp_lt_f32_e64 s18, v4, v7
	s_delay_alu instid0(VALU_DEP_1) | instskip(SKIP_1) | instid1(VALU_DEP_1)
	v_cndmask_b32_e64 v2, v2, v48, s18
	v_cmp_gt_u32_e64 s18, 0x10000, v48
	v_cndmask_b32_e64 v2, v48, v2, s18
	s_delay_alu instid0(VALU_DEP_1) | instskip(NEXT) | instid1(VALU_DEP_1)
	v_lshlrev_b32_e32 v4, 16, v2
	v_cmp_lt_f32_e64 s21, v4, v52
	v_and_b32_e32 v4, 0x10000, v3
	s_delay_alu instid0(VALU_DEP_2) | instskip(SKIP_1) | instid1(VALU_DEP_1)
	v_cndmask_b32_e64 v2, v2, v49, s21
	v_cmp_gt_u32_e64 s21, 0x10000, v49
	v_cndmask_b32_e64 v3, v49, v2, s21
	s_delay_alu instid0(VALU_DEP_4) | instskip(NEXT) | instid1(VALU_DEP_1)
	v_cmp_ne_u32_e64 s21, 0, v4
	v_cndmask_b32_e64 v2, v50, 1, s21
	ds_store_b16 v5, v3
	ds_store_b8 v5, v2 offset:2
	s_waitcnt vmcnt(0) lgkmcnt(0)
	s_barrier
	buffer_gl0_inv
	v_cmpx_gt_u32_e32 32, v0
	s_cbranch_execz .LBB103_216
; %bb.205:
	v_lshrrev_b32_e32 v4, 2, v0
	s_mov_b32 s24, exec_lo
	s_delay_alu instid0(VALU_DEP_1) | instskip(NEXT) | instid1(VALU_DEP_1)
	v_and_b32_e32 v4, 12, v4
	v_lshl_or_b32 v4, v0, 3, v4
	ds_load_b32 v49, v4
	ds_load_u16 v5, v4 offset:4
	ds_load_u8 v53, v4 offset:6
	s_waitcnt lgkmcnt(2)
	v_lshlrev_b32_e32 v51, 16, v49
	s_waitcnt lgkmcnt(1)
	v_lshlrev_b32_e32 v6, 16, v5
	s_waitcnt lgkmcnt(0)
	v_and_b32_e32 v54, 1, v53
	v_and_b32_e32 v50, 0x10000, v49
	v_cmp_eq_u16_e64 s22, 0, v53
	v_and_b32_e32 v52, 0xff000000, v49
	v_cmp_lt_f32_e64 s21, v51, v6
	v_mbcnt_lo_u32_b32 v53, -1, 0
	s_delay_alu instid0(VALU_DEP_2) | instskip(SKIP_1) | instid1(VALU_DEP_2)
	v_cndmask_b32_e64 v55, v49, v5, s21
	v_cmp_eq_u32_e64 s21, 1, v54
	v_cndmask_b32_e64 v54, v5, v55, s22
	s_delay_alu instid0(VALU_DEP_2) | instskip(SKIP_1) | instid1(VALU_DEP_3)
	v_cndmask_b32_e64 v56, v50, 0x10000, s21
	v_and_b32_e32 v55, 15, v53
	v_and_b32_e32 v58, 0xffff, v54
	s_delay_alu instid0(VALU_DEP_3) | instskip(NEXT) | instid1(VALU_DEP_1)
	v_or_b32_e32 v57, v56, v52
	v_or_b32_e32 v59, v57, v58
	v_lshrrev_b32_e32 v56, 16, v57
	s_delay_alu instid0(VALU_DEP_2)
	v_mov_b32_dpp v60, v59 row_shr:1 row_mask:0xf bank_mask:0xf
	v_cmpx_ne_u32_e32 0, v55
	s_cbranch_execz .LBB103_207
; %bb.206:
	s_delay_alu instid0(VALU_DEP_2) | instskip(SKIP_4) | instid1(VALU_DEP_4)
	v_lshlrev_b32_e32 v61, 16, v60
	v_lshlrev_b32_e32 v58, 16, v58
	v_lshrrev_b32_e32 v56, 16, v57
	v_lshrrev_b32_e32 v59, 16, v60
	v_and_b32_e32 v57, 0x10000, v57
	v_cmp_lt_f32_e64 s23, v61, v58
	s_delay_alu instid0(VALU_DEP_4) | instskip(NEXT) | instid1(VALU_DEP_4)
	v_and_b32_e32 v62, 0xff, v56
	v_and_b32_e32 v56, 1, v59
	s_delay_alu instid0(VALU_DEP_3) | instskip(SKIP_1) | instid1(VALU_DEP_1)
	v_cndmask_b32_e64 v58, v60, v54, s23
	v_cmp_ne_u32_e64 s23, 0, v57
	v_cndmask_b32_e64 v56, v56, 1, s23
	v_cmp_eq_u16_e64 s23, 0, v62
	s_delay_alu instid0(VALU_DEP_2) | instskip(NEXT) | instid1(VALU_DEP_2)
	v_lshlrev_b32_e32 v57, 16, v56
	v_cndmask_b32_e64 v54, v54, v58, s23
	s_delay_alu instid0(VALU_DEP_1) | instskip(NEXT) | instid1(VALU_DEP_1)
	v_and_b32_e32 v58, 0xffff, v54
	v_or3_b32 v59, v57, v58, v52
.LBB103_207:
	s_or_b32 exec_lo, exec_lo, s24
	s_delay_alu instid0(VALU_DEP_1)
	v_lshrrev_b32_e32 v58, 16, v59
	v_mov_b32_dpp v60, v59 row_shr:2 row_mask:0xf bank_mask:0xf
	v_mov_b32_e32 v57, v59
	s_mov_b32 s24, exec_lo
	v_cmpx_lt_u32_e32 1, v55
	s_cbranch_execz .LBB103_209
; %bb.208:
	v_lshlrev_b32_e32 v56, 16, v60
	v_lshlrev_b32_e32 v57, 16, v59
	v_lshrrev_b32_e32 v54, 16, v60
	v_and_b32_e32 v61, 0x10000, v59
	v_and_b32_e32 v58, 0xff, v58
	s_delay_alu instid0(VALU_DEP_4) | instskip(NEXT) | instid1(VALU_DEP_4)
	v_cmp_lt_f32_e64 s23, v56, v57
	v_and_b32_e32 v54, 1, v54
	s_delay_alu instid0(VALU_DEP_2) | instskip(SKIP_1) | instid1(VALU_DEP_1)
	v_cndmask_b32_e64 v57, v60, v59, s23
	v_cmp_ne_u32_e64 s23, 0, v61
	v_cndmask_b32_e64 v56, v54, 1, s23
	v_cmp_eq_u16_e64 s23, 0, v58
	s_delay_alu instid0(VALU_DEP_2) | instskip(NEXT) | instid1(VALU_DEP_2)
	v_lshlrev_b32_e32 v58, 16, v56
	v_cndmask_b32_e64 v54, v59, v57, s23
	s_delay_alu instid0(VALU_DEP_1) | instskip(SKIP_1) | instid1(VALU_DEP_2)
	v_and_b32_e32 v59, 0xffff, v54
	v_mov_b32_e32 v57, v54
	v_or3_b32 v59, v58, v59, v52
	v_mov_b32_e32 v58, v56
.LBB103_209:
	s_or_b32 exec_lo, exec_lo, s24
	s_delay_alu instid0(VALU_DEP_2)
	v_mov_b32_dpp v60, v59 row_shr:4 row_mask:0xf bank_mask:0xf
	s_mov_b32 s24, exec_lo
	v_cmpx_lt_u32_e32 3, v55
	s_cbranch_execz .LBB103_211
; %bb.210:
	s_delay_alu instid0(VALU_DEP_2) | instskip(SKIP_4) | instid1(VALU_DEP_4)
	v_lshlrev_b32_e32 v56, 16, v60
	v_lshlrev_b32_e32 v59, 16, v57
	v_lshrrev_b32_e32 v54, 16, v60
	v_and_b32_e32 v61, 0xff, v58
	v_and_b32_e32 v58, 1, v58
	v_cmp_lt_f32_e64 s23, v56, v59
	s_delay_alu instid0(VALU_DEP_4) | instskip(NEXT) | instid1(VALU_DEP_2)
	v_and_b32_e32 v54, 1, v54
	v_cndmask_b32_e64 v59, v60, v57, s23
	s_delay_alu instid0(VALU_DEP_4) | instskip(NEXT) | instid1(VALU_DEP_1)
	v_cmp_eq_u32_e64 s23, 1, v58
	v_cndmask_b32_e64 v56, v54, 1, s23
	v_cmp_eq_u16_e64 s23, 0, v61
	s_delay_alu instid0(VALU_DEP_2) | instskip(NEXT) | instid1(VALU_DEP_2)
	v_lshlrev_b32_e32 v58, 16, v56
	v_cndmask_b32_e64 v54, v57, v59, s23
	s_delay_alu instid0(VALU_DEP_1) | instskip(SKIP_1) | instid1(VALU_DEP_2)
	v_and_b32_e32 v59, 0xffff, v54
	v_mov_b32_e32 v57, v54
	v_or3_b32 v59, v58, v59, v52
	v_mov_b32_e32 v58, v56
.LBB103_211:
	s_or_b32 exec_lo, exec_lo, s24
	s_delay_alu instid0(VALU_DEP_2)
	v_mov_b32_dpp v60, v59 row_shr:8 row_mask:0xf bank_mask:0xf
	s_mov_b32 s24, exec_lo
	v_cmpx_lt_u32_e32 7, v55
	s_cbranch_execz .LBB103_213
; %bb.212:
	s_delay_alu instid0(VALU_DEP_2) | instskip(SKIP_4) | instid1(VALU_DEP_4)
	v_lshlrev_b32_e32 v55, 16, v60
	v_lshlrev_b32_e32 v56, 16, v57
	v_lshrrev_b32_e32 v54, 16, v60
	v_and_b32_e32 v59, 0xff, v58
	v_and_b32_e32 v58, 1, v58
	v_cmp_lt_f32_e64 s23, v55, v56
	s_delay_alu instid0(VALU_DEP_4) | instskip(NEXT) | instid1(VALU_DEP_2)
	v_and_b32_e32 v54, 1, v54
	v_cndmask_b32_e64 v55, v60, v57, s23
	s_delay_alu instid0(VALU_DEP_4) | instskip(NEXT) | instid1(VALU_DEP_1)
	v_cmp_eq_u32_e64 s23, 1, v58
	v_cndmask_b32_e64 v56, v54, 1, s23
	v_cmp_eq_u16_e64 s23, 0, v59
	s_delay_alu instid0(VALU_DEP_1) | instskip(NEXT) | instid1(VALU_DEP_3)
	v_cndmask_b32_e64 v54, v57, v55, s23
	v_lshlrev_b32_e32 v55, 16, v56
	s_delay_alu instid0(VALU_DEP_2) | instskip(NEXT) | instid1(VALU_DEP_1)
	v_dual_mov_b32 v57, v54 :: v_dual_and_b32 v58, 0xffff, v54
	v_or3_b32 v59, v55, v58, v52
	v_mov_b32_e32 v58, v56
.LBB103_213:
	s_or_b32 exec_lo, exec_lo, s24
	ds_swizzle_b32 v55, v59 offset:swizzle(BROADCAST,32,15)
	v_and_b32_e32 v59, 16, v53
	s_mov_b32 s24, exec_lo
	s_delay_alu instid0(VALU_DEP_1)
	v_cmpx_ne_u32_e32 0, v59
	s_cbranch_execz .LBB103_215
; %bb.214:
	s_waitcnt lgkmcnt(0)
	v_lshlrev_b32_e32 v56, 16, v55
	v_lshlrev_b32_e32 v59, 16, v57
	v_lshrrev_b32_e32 v54, 16, v55
	v_and_b32_e32 v60, 0xff, v58
	v_and_b32_e32 v58, 1, v58
	s_delay_alu instid0(VALU_DEP_4) | instskip(NEXT) | instid1(VALU_DEP_4)
	v_cmp_lt_f32_e64 s23, v56, v59
	v_and_b32_e32 v54, 1, v54
	s_delay_alu instid0(VALU_DEP_2) | instskip(NEXT) | instid1(VALU_DEP_4)
	v_cndmask_b32_e64 v55, v55, v57, s23
	v_cmp_eq_u32_e64 s23, 1, v58
	s_delay_alu instid0(VALU_DEP_1) | instskip(SKIP_1) | instid1(VALU_DEP_1)
	v_cndmask_b32_e64 v56, v54, 1, s23
	v_cmp_eq_u16_e64 s23, 0, v60
	v_cndmask_b32_e64 v54, v57, v55, s23
.LBB103_215:
	s_or_b32 exec_lo, exec_lo, s24
	s_waitcnt lgkmcnt(0)
	v_and_b32_e32 v55, 0xff, v56
	v_add_nc_u32_e32 v56, -1, v53
	v_and_b32_e32 v54, 0xffff, v54
	v_cmp_eq_u32_e64 s24, 0, v50
	s_delay_alu instid0(VALU_DEP_4) | instskip(NEXT) | instid1(VALU_DEP_4)
	v_lshlrev_b32_e32 v55, 16, v55
	v_cmp_gt_i32_e64 s23, 0, v56
	s_delay_alu instid0(VALU_DEP_2) | instskip(NEXT) | instid1(VALU_DEP_2)
	v_or3_b32 v52, v55, v54, v52
	v_cndmask_b32_e64 v53, v56, v53, s23
	v_and_b32_e32 v54, 0xff0000, v49
	s_delay_alu instid0(VALU_DEP_2) | instskip(SKIP_3) | instid1(VALU_DEP_1)
	v_lshlrev_b32_e32 v53, 2, v53
	ds_bpermute_b32 v52, v53, v52
	s_waitcnt lgkmcnt(0)
	v_lshlrev_b32_e32 v53, 16, v52
	v_cmp_lt_f32_e64 s23, v53, v51
	s_delay_alu instid0(VALU_DEP_1) | instskip(SKIP_1) | instid1(VALU_DEP_1)
	v_cndmask_b32_e64 v51, v52, v49, s23
	v_cmp_eq_u32_e64 s23, 0, v54
	v_cndmask_b32_e64 v49, v49, v51, s23
	v_cmp_eq_u32_e64 s23, 0, v0
	v_lshrrev_b32_e32 v51, 16, v52
	s_delay_alu instid0(VALU_DEP_2) | instskip(NEXT) | instid1(VALU_DEP_2)
	v_cndmask_b32_e64 v3, v49, v3, s23
	v_and_b32_e32 v49, 1, v51
	s_delay_alu instid0(VALU_DEP_2) | instskip(NEXT) | instid1(VALU_DEP_2)
	v_lshlrev_b32_e32 v51, 16, v3
	v_cndmask_b32_e64 v49, 1, v49, s24
	s_delay_alu instid0(VALU_DEP_2) | instskip(NEXT) | instid1(VALU_DEP_2)
	v_cmp_lt_f32_e64 s24, v51, v6
	v_cndmask_b32_e64 v2, v49, v2, s23
	s_delay_alu instid0(VALU_DEP_2) | instskip(NEXT) | instid1(VALU_DEP_1)
	v_cndmask_b32_e64 v6, v3, v5, s24
	v_cndmask_b32_e64 v5, v5, v6, s22
	s_delay_alu instid0(VALU_DEP_3)
	v_cndmask_b32_e64 v6, v2, 1, s21
	ds_store_b16 v4, v3
	ds_store_b8 v4, v2 offset:2
	ds_store_b16 v4, v5 offset:4
	ds_store_b8 v4, v6 offset:6
.LBB103_216:
	s_or_b32 exec_lo, exec_lo, s25
	v_and_b32_e32 v3, 0xffff, v1
	v_cmp_eq_u32_e64 s21, 0, v0
	s_mov_b32 s23, exec_lo
	s_waitcnt lgkmcnt(0)
	s_barrier
	v_lshlrev_b32_e32 v2, 16, v3
	buffer_gl0_inv
                                        ; implicit-def: $vgpr4
                                        ; implicit-def: $vgpr6
	v_cmpx_ne_u32_e32 0, v0
	s_xor_b32 s23, exec_lo, s23
	s_cbranch_execz .LBB103_218
; %bb.217:
	v_add_nc_u32_e32 v2, -1, v0
	v_lshlrev_b32_e32 v6, 16, v3
	s_delay_alu instid0(VALU_DEP_2) | instskip(NEXT) | instid1(VALU_DEP_1)
	v_lshrrev_b32_e32 v4, 5, v2
	v_add_lshl_u32 v2, v4, v2, 2
	ds_load_u16 v4, v2
	ds_load_u8 v2, v2 offset:2
	s_waitcnt lgkmcnt(1)
	v_lshlrev_b32_e32 v3, 16, v4
	s_delay_alu instid0(VALU_DEP_1) | instskip(NEXT) | instid1(VALU_DEP_1)
	v_cmp_lt_f32_e64 s22, v6, v3
	v_cndmask_b32_e64 v3, v1, v4, s22
	s_waitcnt lgkmcnt(0)
	v_cmp_eq_u16_e64 s22, 0, v2
	s_delay_alu instid0(VALU_DEP_1) | instskip(NEXT) | instid1(VALU_DEP_1)
	v_cndmask_b32_e64 v4, v4, v3, s22
	v_and_b32_e32 v3, 0xffff, v4
	v_lshlrev_b32_e32 v2, 16, v4
.LBB103_218:
	s_and_not1_saveexec_b32 s22, s23
; %bb.219:
	s_delay_alu instid0(VALU_DEP_1)
	v_mov_b32_e32 v6, v2
	v_mov_b32_e32 v4, v1
; %bb.220:
	s_or_b32 exec_lo, exec_lo, s22
	v_and_b32_e32 v5, 0xff0000, v33
	v_cmp_lt_f32_e64 s22, v2, v30
	s_delay_alu instid0(VALU_DEP_1) | instskip(NEXT) | instid1(VALU_DEP_3)
	v_cndmask_b32_e64 v2, v4, v33, s22
	v_cmp_eq_u32_e64 s22, 0, v5
	s_delay_alu instid0(VALU_DEP_1) | instskip(NEXT) | instid1(VALU_DEP_1)
	v_cndmask_b32_e64 v2, v33, v2, s22
	v_lshlrev_b32_e32 v4, 16, v2
	s_delay_alu instid0(VALU_DEP_1) | instskip(NEXT) | instid1(VALU_DEP_1)
	v_cmp_lt_f32_e64 s22, v4, v26
	v_cndmask_b32_e64 v4, v2, v34, s22
	s_delay_alu instid0(VALU_DEP_1) | instskip(NEXT) | instid1(VALU_DEP_1)
	v_cndmask_b32_e32 v4, v34, v4, vcc_lo
	v_lshlrev_b32_e32 v5, 16, v4
	s_delay_alu instid0(VALU_DEP_1) | instskip(SKIP_1) | instid1(VALU_DEP_1)
	v_cmp_lt_f32_e32 vcc_lo, v5, v25
	v_cndmask_b32_e32 v5, v4, v35, vcc_lo
	v_cndmask_b32_e64 v5, v35, v5, s2
	s_delay_alu instid0(VALU_DEP_1) | instskip(NEXT) | instid1(VALU_DEP_1)
	v_lshlrev_b32_e32 v25, 16, v5
	v_cmp_lt_f32_e32 vcc_lo, v25, v24
	v_cndmask_b32_e32 v24, v5, v27, vcc_lo
	s_delay_alu instid0(VALU_DEP_1) | instskip(NEXT) | instid1(VALU_DEP_1)
	v_cndmask_b32_e64 v54, v27, v24, s3
	v_lshlrev_b32_e32 v24, 16, v54
	s_delay_alu instid0(VALU_DEP_1) | instskip(SKIP_1) | instid1(VALU_DEP_1)
	v_cmp_lt_f32_e32 vcc_lo, v24, v23
	v_cndmask_b32_e32 v23, v54, v36, vcc_lo
	v_cndmask_b32_e64 v55, v36, v23, s4
	s_delay_alu instid0(VALU_DEP_1) | instskip(NEXT) | instid1(VALU_DEP_1)
	v_lshlrev_b32_e32 v23, 16, v55
	v_cmp_lt_f32_e32 vcc_lo, v23, v22
	v_cndmask_b32_e32 v22, v55, v28, vcc_lo
	s_delay_alu instid0(VALU_DEP_1) | instskip(NEXT) | instid1(VALU_DEP_1)
	v_cndmask_b32_e64 v56, v28, v22, s5
	;; [unrolled: 11-line block ×9, first 2 shown]
	v_lshlrev_b32_e32 v8, 16, v70
	s_delay_alu instid0(VALU_DEP_1)
	v_cmp_lt_f32_e32 vcc_lo, v8, v7
	v_cndmask_b32_e32 v7, v70, v48, vcc_lo
	s_and_saveexec_b32 s2, s21
	s_cbranch_execz .LBB103_222
; %bb.221:
	v_mov_b32_e32 v10, 0
	ds_load_u16 v8, v10 offset:256
	ds_load_u8 v9, v10 offset:258
	s_waitcnt lgkmcnt(1)
	v_lshlrev_b32_e32 v11, 16, v8
	s_delay_alu instid0(VALU_DEP_1) | instskip(SKIP_3) | instid1(VALU_DEP_2)
	v_cmp_lt_f32_e32 vcc_lo, v6, v11
	v_cndmask_b32_e32 v1, v1, v8, vcc_lo
	s_waitcnt lgkmcnt(0)
	v_cmp_eq_u32_e32 vcc_lo, 0, v9
	v_cndmask_b32_e32 v1, v8, v1, vcc_lo
	s_delay_alu instid0(VALU_DEP_1) | instskip(NEXT) | instid1(VALU_DEP_1)
	v_and_b32_e32 v1, 0xffff, v1
	v_lshl_or_b32 v8, v9, 16, v1
	v_mov_b32_e32 v9, 2
	global_store_b64 v10, v[8:9], s[36:37] offset:256
.LBB103_222:
	s_or_b32 exec_lo, exec_lo, s2
	s_delay_alu instid0(VALU_DEP_1)
	v_cndmask_b32_e64 v1, v48, v7, s18
.LBB103_223:
	s_load_b64 s[0:1], s[0:1], 0x18
	v_mul_u32_u24_e32 v10, 22, v0
	v_perm_b32 v5, v5, v4, 0x5040100
	v_perm_b32 v6, v2, v3, 0x5040100
	;; [unrolled: 1-line block ×11, first 2 shown]
	v_lshlrev_b32_e32 v4, 1, v0
	s_waitcnt lgkmcnt(0)
	s_add_u32 s0, s0, s28
	s_addc_u32 s1, s1, s29
	s_and_b32 vcc_lo, exec_lo, s39
	s_cbranch_vccz .LBB103_267
; %bb.224:
	v_lshlrev_b32_e32 v37, 1, v10
	s_waitcnt_vscnt null, 0x0
	s_barrier
	buffer_gl0_inv
	v_add_co_u32 v2, s2, s0, v4
	v_mad_i32_i24 v1, 0xffffffd6, v0, v37
	ds_store_2addr_b32 v37, v6, v5 offset1:1
	ds_store_2addr_b32 v37, v8, v7 offset0:2 offset1:3
	ds_store_2addr_b32 v37, v11, v9 offset0:4 offset1:5
	;; [unrolled: 1-line block ×4, first 2 shown]
	ds_store_b32 v37, v16 offset:40
	s_waitcnt lgkmcnt(0)
	s_barrier
	buffer_gl0_inv
	ds_load_u16 v38, v1 offset:128
	ds_load_u16 v36, v1 offset:256
	ds_load_u16 v35, v1 offset:384
	ds_load_u16 v34, v1 offset:512
	ds_load_u16 v33, v1 offset:640
	ds_load_u16 v32, v1 offset:768
	ds_load_u16 v31, v1 offset:896
	ds_load_u16 v30, v1 offset:1024
	ds_load_u16 v29, v1 offset:1152
	ds_load_u16 v28, v1 offset:1280
	ds_load_u16 v27, v1 offset:1408
	ds_load_u16 v26, v1 offset:1536
	ds_load_u16 v25, v1 offset:1664
	ds_load_u16 v24, v1 offset:1792
	ds_load_u16 v23, v1 offset:1920
	ds_load_u16 v22, v1 offset:2048
	ds_load_u16 v21, v1 offset:2176
	ds_load_u16 v20, v1 offset:2304
	ds_load_u16 v19, v1 offset:2432
	ds_load_u16 v18, v1 offset:2560
	ds_load_u16 v17, v1 offset:2688
	v_mov_b32_e32 v1, 0
	v_add_co_ci_u32_e64 v3, null, s1, 0, s2
	s_add_i32 s33, s33, s38
	s_mov_b32 s2, exec_lo
	v_cmpx_gt_u32_e64 s33, v0
	s_cbranch_execz .LBB103_226
; %bb.225:
	v_mul_i32_i24_e32 v39, 0xffffffd6, v0
	s_delay_alu instid0(VALU_DEP_1)
	v_add_nc_u32_e32 v37, v37, v39
	ds_load_u16 v37, v37
	s_waitcnt lgkmcnt(0)
	global_store_b16 v[2:3], v37, off
.LBB103_226:
	s_or_b32 exec_lo, exec_lo, s2
	v_or_b32_e32 v37, 64, v0
	s_mov_b32 s2, exec_lo
	s_delay_alu instid0(VALU_DEP_1)
	v_cmpx_gt_u32_e64 s33, v37
	s_cbranch_execz .LBB103_228
; %bb.227:
	s_waitcnt lgkmcnt(20)
	global_store_b16 v[2:3], v38, off offset:128
.LBB103_228:
	s_or_b32 exec_lo, exec_lo, s2
	v_or_b32_e32 v37, 0x80, v0
	s_mov_b32 s2, exec_lo
	s_delay_alu instid0(VALU_DEP_1)
	v_cmpx_gt_u32_e64 s33, v37
	s_cbranch_execz .LBB103_230
; %bb.229:
	s_waitcnt lgkmcnt(19)
	global_store_b16 v[2:3], v36, off offset:256
.LBB103_230:
	s_or_b32 exec_lo, exec_lo, s2
	s_waitcnt lgkmcnt(19)
	v_or_b32_e32 v36, 0xc0, v0
	s_mov_b32 s2, exec_lo
	s_delay_alu instid0(VALU_DEP_1)
	v_cmpx_gt_u32_e64 s33, v36
	s_cbranch_execz .LBB103_232
; %bb.231:
	s_waitcnt lgkmcnt(18)
	global_store_b16 v[2:3], v35, off offset:384
.LBB103_232:
	s_or_b32 exec_lo, exec_lo, s2
	s_waitcnt lgkmcnt(18)
	;; [unrolled: 11-line block ×18, first 2 shown]
	v_or_b32_e32 v19, 0x500, v0
	s_mov_b32 s2, exec_lo
	s_delay_alu instid0(VALU_DEP_1)
	v_cmpx_gt_u32_e64 s33, v19
	s_cbranch_execz .LBB103_266
; %bb.265:
	s_waitcnt lgkmcnt(1)
	global_store_b16 v[2:3], v18, off offset:2560
.LBB103_266:
	s_or_b32 exec_lo, exec_lo, s2
	v_or_b32_e32 v2, 0x540, v0
	s_delay_alu instid0(VALU_DEP_1)
	v_cmp_gt_u32_e64 s2, s33, v2
	s_branch .LBB103_269
.LBB103_267:
	s_mov_b32 s2, 0
                                        ; implicit-def: $vgpr17
	s_cbranch_execz .LBB103_269
; %bb.268:
	v_lshlrev_b32_e32 v1, 1, v10
	s_waitcnt lgkmcnt(0)
	s_waitcnt_vscnt null, 0x0
	s_barrier
	buffer_gl0_inv
	s_or_b32 s2, s2, exec_lo
	v_mad_i32_i24 v2, 0xffffffd6, v0, v1
	ds_store_2addr_b32 v1, v6, v5 offset1:1
	ds_store_2addr_b32 v1, v8, v7 offset0:2 offset1:3
	ds_store_2addr_b32 v1, v11, v9 offset0:4 offset1:5
	;; [unrolled: 1-line block ×4, first 2 shown]
	ds_store_b32 v1, v16 offset:40
	s_waitcnt lgkmcnt(0)
	s_barrier
	buffer_gl0_inv
	ds_load_u16 v3, v2
	ds_load_u16 v5, v2 offset:128
	ds_load_u16 v6, v2 offset:256
	;; [unrolled: 1-line block ×21, first 2 shown]
	v_mov_b32_e32 v1, 0
	s_waitcnt lgkmcnt(21)
	global_store_b16 v4, v3, s[0:1]
	s_waitcnt lgkmcnt(20)
	global_store_b16 v4, v5, s[0:1] offset:128
	s_waitcnt lgkmcnt(19)
	global_store_b16 v4, v6, s[0:1] offset:256
	;; [unrolled: 2-line block ×20, first 2 shown]
.LBB103_269:
	s_delay_alu instid0(VALU_DEP_1)
	s_and_saveexec_b32 s3, s2
	s_cbranch_execz .LBB103_271
; %bb.270:
	v_lshlrev_b64 v[0:1], 1, v[0:1]
	s_delay_alu instid0(VALU_DEP_1) | instskip(NEXT) | instid1(VALU_DEP_2)
	v_add_co_u32 v0, vcc_lo, s0, v0
	v_add_co_ci_u32_e32 v1, vcc_lo, s1, v1, vcc_lo
	s_waitcnt lgkmcnt(0)
	global_store_b16 v[0:1], v17, off offset:2688
	s_nop 0
	s_sendmsg sendmsg(MSG_DEALLOC_VGPRS)
	s_endpgm
.LBB103_271:
	s_nop 0
	s_sendmsg sendmsg(MSG_DEALLOC_VGPRS)
	s_endpgm
	.section	.rodata,"a",@progbits
	.p2align	6, 0x0
	.amdhsa_kernel _ZN7rocprim6detail25device_scan_by_key_kernelILNS0_25lookback_scan_determinismE0ELb1ENS0_26wrapped_scan_by_key_configINS_14default_configEi12hip_bfloat16EEPiN6hipcub22TransformInputIteratorIS5_NS8_6CastOpIS5_EEPS5_lEESC_S5_NS8_8EqualityENS8_3MaxENS0_19lookback_scan_stateINS_5tupleIJS5_bEEELb0ELb1EEES5_EEvT2_T3_T4_T5_T6_T7_T8_mmmPKNSH_IJT9_bEEE
		.amdhsa_group_segment_fixed_size 6144
		.amdhsa_private_segment_fixed_size 0
		.amdhsa_kernarg_size 80
		.amdhsa_user_sgpr_count 15
		.amdhsa_user_sgpr_dispatch_ptr 0
		.amdhsa_user_sgpr_queue_ptr 0
		.amdhsa_user_sgpr_kernarg_segment_ptr 1
		.amdhsa_user_sgpr_dispatch_id 0
		.amdhsa_user_sgpr_private_segment_size 0
		.amdhsa_wavefront_size32 1
		.amdhsa_uses_dynamic_stack 0
		.amdhsa_enable_private_segment 0
		.amdhsa_system_sgpr_workgroup_id_x 1
		.amdhsa_system_sgpr_workgroup_id_y 0
		.amdhsa_system_sgpr_workgroup_id_z 0
		.amdhsa_system_sgpr_workgroup_info 0
		.amdhsa_system_vgpr_workitem_id 0
		.amdhsa_next_free_vgpr 74
		.amdhsa_next_free_sgpr 45
		.amdhsa_reserve_vcc 1
		.amdhsa_float_round_mode_32 0
		.amdhsa_float_round_mode_16_64 0
		.amdhsa_float_denorm_mode_32 3
		.amdhsa_float_denorm_mode_16_64 3
		.amdhsa_dx10_clamp 1
		.amdhsa_ieee_mode 1
		.amdhsa_fp16_overflow 0
		.amdhsa_workgroup_processor_mode 1
		.amdhsa_memory_ordered 1
		.amdhsa_forward_progress 0
		.amdhsa_shared_vgpr_count 0
		.amdhsa_exception_fp_ieee_invalid_op 0
		.amdhsa_exception_fp_denorm_src 0
		.amdhsa_exception_fp_ieee_div_zero 0
		.amdhsa_exception_fp_ieee_overflow 0
		.amdhsa_exception_fp_ieee_underflow 0
		.amdhsa_exception_fp_ieee_inexact 0
		.amdhsa_exception_int_div_zero 0
	.end_amdhsa_kernel
	.section	.text._ZN7rocprim6detail25device_scan_by_key_kernelILNS0_25lookback_scan_determinismE0ELb1ENS0_26wrapped_scan_by_key_configINS_14default_configEi12hip_bfloat16EEPiN6hipcub22TransformInputIteratorIS5_NS8_6CastOpIS5_EEPS5_lEESC_S5_NS8_8EqualityENS8_3MaxENS0_19lookback_scan_stateINS_5tupleIJS5_bEEELb0ELb1EEES5_EEvT2_T3_T4_T5_T6_T7_T8_mmmPKNSH_IJT9_bEEE,"axG",@progbits,_ZN7rocprim6detail25device_scan_by_key_kernelILNS0_25lookback_scan_determinismE0ELb1ENS0_26wrapped_scan_by_key_configINS_14default_configEi12hip_bfloat16EEPiN6hipcub22TransformInputIteratorIS5_NS8_6CastOpIS5_EEPS5_lEESC_S5_NS8_8EqualityENS8_3MaxENS0_19lookback_scan_stateINS_5tupleIJS5_bEEELb0ELb1EEES5_EEvT2_T3_T4_T5_T6_T7_T8_mmmPKNSH_IJT9_bEEE,comdat
.Lfunc_end103:
	.size	_ZN7rocprim6detail25device_scan_by_key_kernelILNS0_25lookback_scan_determinismE0ELb1ENS0_26wrapped_scan_by_key_configINS_14default_configEi12hip_bfloat16EEPiN6hipcub22TransformInputIteratorIS5_NS8_6CastOpIS5_EEPS5_lEESC_S5_NS8_8EqualityENS8_3MaxENS0_19lookback_scan_stateINS_5tupleIJS5_bEEELb0ELb1EEES5_EEvT2_T3_T4_T5_T6_T7_T8_mmmPKNSH_IJT9_bEEE, .Lfunc_end103-_ZN7rocprim6detail25device_scan_by_key_kernelILNS0_25lookback_scan_determinismE0ELb1ENS0_26wrapped_scan_by_key_configINS_14default_configEi12hip_bfloat16EEPiN6hipcub22TransformInputIteratorIS5_NS8_6CastOpIS5_EEPS5_lEESC_S5_NS8_8EqualityENS8_3MaxENS0_19lookback_scan_stateINS_5tupleIJS5_bEEELb0ELb1EEES5_EEvT2_T3_T4_T5_T6_T7_T8_mmmPKNSH_IJT9_bEEE
                                        ; -- End function
	.section	.AMDGPU.csdata,"",@progbits
; Kernel info:
; codeLenInByte = 17796
; NumSgprs: 47
; NumVgprs: 74
; ScratchSize: 0
; MemoryBound: 0
; FloatMode: 240
; IeeeMode: 1
; LDSByteSize: 6144 bytes/workgroup (compile time only)
; SGPRBlocks: 5
; VGPRBlocks: 9
; NumSGPRsForWavesPerEU: 47
; NumVGPRsForWavesPerEU: 74
; Occupancy: 11
; WaveLimiterHint : 1
; COMPUTE_PGM_RSRC2:SCRATCH_EN: 0
; COMPUTE_PGM_RSRC2:USER_SGPR: 15
; COMPUTE_PGM_RSRC2:TRAP_HANDLER: 0
; COMPUTE_PGM_RSRC2:TGID_X_EN: 1
; COMPUTE_PGM_RSRC2:TGID_Y_EN: 0
; COMPUTE_PGM_RSRC2:TGID_Z_EN: 0
; COMPUTE_PGM_RSRC2:TIDIG_COMP_CNT: 0
	.section	.text._ZN7rocprim6detail25device_scan_by_key_kernelILNS0_25lookback_scan_determinismE0ELb1ENS0_26wrapped_scan_by_key_configINS_14default_configEiiEEPiN6hipcub22TransformInputIteratorIiNS7_6CastOpIiEES6_lEEPdiNS7_8EqualityENS7_3SumENS0_19lookback_scan_stateINS_5tupleIJibEEELb1ELb1EEEiEEvT2_T3_T4_T5_T6_T7_T8_mmmPKNSG_IJT9_bEEE,"axG",@progbits,_ZN7rocprim6detail25device_scan_by_key_kernelILNS0_25lookback_scan_determinismE0ELb1ENS0_26wrapped_scan_by_key_configINS_14default_configEiiEEPiN6hipcub22TransformInputIteratorIiNS7_6CastOpIiEES6_lEEPdiNS7_8EqualityENS7_3SumENS0_19lookback_scan_stateINS_5tupleIJibEEELb1ELb1EEEiEEvT2_T3_T4_T5_T6_T7_T8_mmmPKNSG_IJT9_bEEE,comdat
	.protected	_ZN7rocprim6detail25device_scan_by_key_kernelILNS0_25lookback_scan_determinismE0ELb1ENS0_26wrapped_scan_by_key_configINS_14default_configEiiEEPiN6hipcub22TransformInputIteratorIiNS7_6CastOpIiEES6_lEEPdiNS7_8EqualityENS7_3SumENS0_19lookback_scan_stateINS_5tupleIJibEEELb1ELb1EEEiEEvT2_T3_T4_T5_T6_T7_T8_mmmPKNSG_IJT9_bEEE ; -- Begin function _ZN7rocprim6detail25device_scan_by_key_kernelILNS0_25lookback_scan_determinismE0ELb1ENS0_26wrapped_scan_by_key_configINS_14default_configEiiEEPiN6hipcub22TransformInputIteratorIiNS7_6CastOpIiEES6_lEEPdiNS7_8EqualityENS7_3SumENS0_19lookback_scan_stateINS_5tupleIJibEEELb1ELb1EEEiEEvT2_T3_T4_T5_T6_T7_T8_mmmPKNSG_IJT9_bEEE
	.globl	_ZN7rocprim6detail25device_scan_by_key_kernelILNS0_25lookback_scan_determinismE0ELb1ENS0_26wrapped_scan_by_key_configINS_14default_configEiiEEPiN6hipcub22TransformInputIteratorIiNS7_6CastOpIiEES6_lEEPdiNS7_8EqualityENS7_3SumENS0_19lookback_scan_stateINS_5tupleIJibEEELb1ELb1EEEiEEvT2_T3_T4_T5_T6_T7_T8_mmmPKNSG_IJT9_bEEE
	.p2align	8
	.type	_ZN7rocprim6detail25device_scan_by_key_kernelILNS0_25lookback_scan_determinismE0ELb1ENS0_26wrapped_scan_by_key_configINS_14default_configEiiEEPiN6hipcub22TransformInputIteratorIiNS7_6CastOpIiEES6_lEEPdiNS7_8EqualityENS7_3SumENS0_19lookback_scan_stateINS_5tupleIJibEEELb1ELb1EEEiEEvT2_T3_T4_T5_T6_T7_T8_mmmPKNSG_IJT9_bEEE,@function
_ZN7rocprim6detail25device_scan_by_key_kernelILNS0_25lookback_scan_determinismE0ELb1ENS0_26wrapped_scan_by_key_configINS_14default_configEiiEEPiN6hipcub22TransformInputIteratorIiNS7_6CastOpIiEES6_lEEPdiNS7_8EqualityENS7_3SumENS0_19lookback_scan_stateINS_5tupleIJibEEELb1ELb1EEEiEEvT2_T3_T4_T5_T6_T7_T8_mmmPKNSG_IJT9_bEEE: ; @_ZN7rocprim6detail25device_scan_by_key_kernelILNS0_25lookback_scan_determinismE0ELb1ENS0_26wrapped_scan_by_key_configINS_14default_configEiiEEPiN6hipcub22TransformInputIteratorIiNS7_6CastOpIiEES6_lEEPdiNS7_8EqualityENS7_3SumENS0_19lookback_scan_stateINS_5tupleIJibEEELb1ELb1EEEiEEvT2_T3_T4_T5_T6_T7_T8_mmmPKNSG_IJT9_bEEE
; %bb.0:
	s_endpgm
	.section	.rodata,"a",@progbits
	.p2align	6, 0x0
	.amdhsa_kernel _ZN7rocprim6detail25device_scan_by_key_kernelILNS0_25lookback_scan_determinismE0ELb1ENS0_26wrapped_scan_by_key_configINS_14default_configEiiEEPiN6hipcub22TransformInputIteratorIiNS7_6CastOpIiEES6_lEEPdiNS7_8EqualityENS7_3SumENS0_19lookback_scan_stateINS_5tupleIJibEEELb1ELb1EEEiEEvT2_T3_T4_T5_T6_T7_T8_mmmPKNSG_IJT9_bEEE
		.amdhsa_group_segment_fixed_size 0
		.amdhsa_private_segment_fixed_size 0
		.amdhsa_kernarg_size 80
		.amdhsa_user_sgpr_count 15
		.amdhsa_user_sgpr_dispatch_ptr 0
		.amdhsa_user_sgpr_queue_ptr 0
		.amdhsa_user_sgpr_kernarg_segment_ptr 1
		.amdhsa_user_sgpr_dispatch_id 0
		.amdhsa_user_sgpr_private_segment_size 0
		.amdhsa_wavefront_size32 1
		.amdhsa_uses_dynamic_stack 0
		.amdhsa_enable_private_segment 0
		.amdhsa_system_sgpr_workgroup_id_x 1
		.amdhsa_system_sgpr_workgroup_id_y 0
		.amdhsa_system_sgpr_workgroup_id_z 0
		.amdhsa_system_sgpr_workgroup_info 0
		.amdhsa_system_vgpr_workitem_id 0
		.amdhsa_next_free_vgpr 1
		.amdhsa_next_free_sgpr 1
		.amdhsa_reserve_vcc 0
		.amdhsa_float_round_mode_32 0
		.amdhsa_float_round_mode_16_64 0
		.amdhsa_float_denorm_mode_32 3
		.amdhsa_float_denorm_mode_16_64 3
		.amdhsa_dx10_clamp 1
		.amdhsa_ieee_mode 1
		.amdhsa_fp16_overflow 0
		.amdhsa_workgroup_processor_mode 1
		.amdhsa_memory_ordered 1
		.amdhsa_forward_progress 0
		.amdhsa_shared_vgpr_count 0
		.amdhsa_exception_fp_ieee_invalid_op 0
		.amdhsa_exception_fp_denorm_src 0
		.amdhsa_exception_fp_ieee_div_zero 0
		.amdhsa_exception_fp_ieee_overflow 0
		.amdhsa_exception_fp_ieee_underflow 0
		.amdhsa_exception_fp_ieee_inexact 0
		.amdhsa_exception_int_div_zero 0
	.end_amdhsa_kernel
	.section	.text._ZN7rocprim6detail25device_scan_by_key_kernelILNS0_25lookback_scan_determinismE0ELb1ENS0_26wrapped_scan_by_key_configINS_14default_configEiiEEPiN6hipcub22TransformInputIteratorIiNS7_6CastOpIiEES6_lEEPdiNS7_8EqualityENS7_3SumENS0_19lookback_scan_stateINS_5tupleIJibEEELb1ELb1EEEiEEvT2_T3_T4_T5_T6_T7_T8_mmmPKNSG_IJT9_bEEE,"axG",@progbits,_ZN7rocprim6detail25device_scan_by_key_kernelILNS0_25lookback_scan_determinismE0ELb1ENS0_26wrapped_scan_by_key_configINS_14default_configEiiEEPiN6hipcub22TransformInputIteratorIiNS7_6CastOpIiEES6_lEEPdiNS7_8EqualityENS7_3SumENS0_19lookback_scan_stateINS_5tupleIJibEEELb1ELb1EEEiEEvT2_T3_T4_T5_T6_T7_T8_mmmPKNSG_IJT9_bEEE,comdat
.Lfunc_end104:
	.size	_ZN7rocprim6detail25device_scan_by_key_kernelILNS0_25lookback_scan_determinismE0ELb1ENS0_26wrapped_scan_by_key_configINS_14default_configEiiEEPiN6hipcub22TransformInputIteratorIiNS7_6CastOpIiEES6_lEEPdiNS7_8EqualityENS7_3SumENS0_19lookback_scan_stateINS_5tupleIJibEEELb1ELb1EEEiEEvT2_T3_T4_T5_T6_T7_T8_mmmPKNSG_IJT9_bEEE, .Lfunc_end104-_ZN7rocprim6detail25device_scan_by_key_kernelILNS0_25lookback_scan_determinismE0ELb1ENS0_26wrapped_scan_by_key_configINS_14default_configEiiEEPiN6hipcub22TransformInputIteratorIiNS7_6CastOpIiEES6_lEEPdiNS7_8EqualityENS7_3SumENS0_19lookback_scan_stateINS_5tupleIJibEEELb1ELb1EEEiEEvT2_T3_T4_T5_T6_T7_T8_mmmPKNSG_IJT9_bEEE
                                        ; -- End function
	.section	.AMDGPU.csdata,"",@progbits
; Kernel info:
; codeLenInByte = 4
; NumSgprs: 0
; NumVgprs: 0
; ScratchSize: 0
; MemoryBound: 0
; FloatMode: 240
; IeeeMode: 1
; LDSByteSize: 0 bytes/workgroup (compile time only)
; SGPRBlocks: 0
; VGPRBlocks: 0
; NumSGPRsForWavesPerEU: 1
; NumVGPRsForWavesPerEU: 1
; Occupancy: 16
; WaveLimiterHint : 0
; COMPUTE_PGM_RSRC2:SCRATCH_EN: 0
; COMPUTE_PGM_RSRC2:USER_SGPR: 15
; COMPUTE_PGM_RSRC2:TRAP_HANDLER: 0
; COMPUTE_PGM_RSRC2:TGID_X_EN: 1
; COMPUTE_PGM_RSRC2:TGID_Y_EN: 0
; COMPUTE_PGM_RSRC2:TGID_Z_EN: 0
; COMPUTE_PGM_RSRC2:TIDIG_COMP_CNT: 0
	.section	.text._ZN7rocprim6detail25device_scan_by_key_kernelILNS0_25lookback_scan_determinismE0ELb1ENS0_26wrapped_scan_by_key_configINS_14default_configEiiEEPiN6hipcub22TransformInputIteratorIiNS7_6CastOpIiEES6_lEEPdiNS7_8EqualityENS7_3SumENS0_19lookback_scan_stateINS_5tupleIJibEEELb0ELb1EEEiEEvT2_T3_T4_T5_T6_T7_T8_mmmPKNSG_IJT9_bEEE,"axG",@progbits,_ZN7rocprim6detail25device_scan_by_key_kernelILNS0_25lookback_scan_determinismE0ELb1ENS0_26wrapped_scan_by_key_configINS_14default_configEiiEEPiN6hipcub22TransformInputIteratorIiNS7_6CastOpIiEES6_lEEPdiNS7_8EqualityENS7_3SumENS0_19lookback_scan_stateINS_5tupleIJibEEELb0ELb1EEEiEEvT2_T3_T4_T5_T6_T7_T8_mmmPKNSG_IJT9_bEEE,comdat
	.protected	_ZN7rocprim6detail25device_scan_by_key_kernelILNS0_25lookback_scan_determinismE0ELb1ENS0_26wrapped_scan_by_key_configINS_14default_configEiiEEPiN6hipcub22TransformInputIteratorIiNS7_6CastOpIiEES6_lEEPdiNS7_8EqualityENS7_3SumENS0_19lookback_scan_stateINS_5tupleIJibEEELb0ELb1EEEiEEvT2_T3_T4_T5_T6_T7_T8_mmmPKNSG_IJT9_bEEE ; -- Begin function _ZN7rocprim6detail25device_scan_by_key_kernelILNS0_25lookback_scan_determinismE0ELb1ENS0_26wrapped_scan_by_key_configINS_14default_configEiiEEPiN6hipcub22TransformInputIteratorIiNS7_6CastOpIiEES6_lEEPdiNS7_8EqualityENS7_3SumENS0_19lookback_scan_stateINS_5tupleIJibEEELb0ELb1EEEiEEvT2_T3_T4_T5_T6_T7_T8_mmmPKNSG_IJT9_bEEE
	.globl	_ZN7rocprim6detail25device_scan_by_key_kernelILNS0_25lookback_scan_determinismE0ELb1ENS0_26wrapped_scan_by_key_configINS_14default_configEiiEEPiN6hipcub22TransformInputIteratorIiNS7_6CastOpIiEES6_lEEPdiNS7_8EqualityENS7_3SumENS0_19lookback_scan_stateINS_5tupleIJibEEELb0ELb1EEEiEEvT2_T3_T4_T5_T6_T7_T8_mmmPKNSG_IJT9_bEEE
	.p2align	8
	.type	_ZN7rocprim6detail25device_scan_by_key_kernelILNS0_25lookback_scan_determinismE0ELb1ENS0_26wrapped_scan_by_key_configINS_14default_configEiiEEPiN6hipcub22TransformInputIteratorIiNS7_6CastOpIiEES6_lEEPdiNS7_8EqualityENS7_3SumENS0_19lookback_scan_stateINS_5tupleIJibEEELb0ELb1EEEiEEvT2_T3_T4_T5_T6_T7_T8_mmmPKNSG_IJT9_bEEE,@function
_ZN7rocprim6detail25device_scan_by_key_kernelILNS0_25lookback_scan_determinismE0ELb1ENS0_26wrapped_scan_by_key_configINS_14default_configEiiEEPiN6hipcub22TransformInputIteratorIiNS7_6CastOpIiEES6_lEEPdiNS7_8EqualityENS7_3SumENS0_19lookback_scan_stateINS_5tupleIJibEEELb0ELb1EEEiEEvT2_T3_T4_T5_T6_T7_T8_mmmPKNSG_IJT9_bEEE: ; @_ZN7rocprim6detail25device_scan_by_key_kernelILNS0_25lookback_scan_determinismE0ELb1ENS0_26wrapped_scan_by_key_configINS_14default_configEiiEEPiN6hipcub22TransformInputIteratorIiNS7_6CastOpIiEES6_lEEPdiNS7_8EqualityENS7_3SumENS0_19lookback_scan_stateINS_5tupleIJibEEELb0ELb1EEEiEEvT2_T3_T4_T5_T6_T7_T8_mmmPKNSG_IJT9_bEEE
; %bb.0:
	s_clause 0x1
	s_load_b128 s[4:7], s[0:1], 0x0
	s_load_b256 s[16:23], s[0:1], 0x28
	s_mov_b32 s13, 0
	s_mul_i32 s12, s15, 0x900
	s_clause 0x1
	s_load_b32 s33, s[0:1], 0x20
	s_load_b64 s[28:29], s[0:1], 0x48
	s_lshl_b64 s[2:3], s[12:13], 2
	v_lshlrev_b32_e32 v13, 2, v0
	s_waitcnt lgkmcnt(0)
	s_add_u32 s34, s4, s2
	s_addc_u32 s35, s5, s3
	s_add_u32 s30, s6, s2
	s_addc_u32 s31, s7, s3
	;; [unrolled: 2-line block ×3, first 2 shown]
	s_add_u32 s4, s22, -1
	s_addc_u32 s5, s23, -1
	s_mul_i32 s14, s4, 0xfffff700
	v_cmp_ge_u64_e64 s19, s[2:3], s[4:5]
	s_delay_alu instid0(VALU_DEP_1)
	s_and_b32 vcc_lo, exec_lo, s19
	s_cbranch_vccz .LBB105_29
; %bb.1:
	s_load_b32 s10, s[34:35], 0x0
	s_add_i32 s36, s14, s18
	v_add_co_u32 v1, s2, s34, v13
	s_delay_alu instid0(VALU_DEP_1)
	v_add_co_ci_u32_e64 v2, null, s35, 0, s2
	v_cmp_gt_u32_e32 vcc_lo, s36, v0
	s_waitcnt lgkmcnt(0)
	v_mov_b32_e32 v3, s10
	s_and_saveexec_b32 s2, vcc_lo
	s_cbranch_execz .LBB105_3
; %bb.2:
	global_load_b32 v3, v[1:2], off
.LBB105_3:
	s_or_b32 exec_lo, exec_lo, s2
	v_or_b32_e32 v4, 0x100, v0
	s_delay_alu instid0(VALU_DEP_1) | instskip(SKIP_1) | instid1(VALU_DEP_2)
	v_cmp_gt_u32_e64 s2, s36, v4
	v_mov_b32_e32 v4, s10
	s_and_saveexec_b32 s3, s2
	s_cbranch_execz .LBB105_5
; %bb.4:
	global_load_b32 v4, v[1:2], off offset:1024
.LBB105_5:
	s_or_b32 exec_lo, exec_lo, s3
	v_or_b32_e32 v5, 0x200, v0
	s_delay_alu instid0(VALU_DEP_1) | instskip(SKIP_1) | instid1(VALU_DEP_2)
	v_cmp_gt_u32_e64 s3, s36, v5
	v_mov_b32_e32 v5, s10
	s_and_saveexec_b32 s4, s3
	s_cbranch_execz .LBB105_7
; %bb.6:
	global_load_b32 v5, v[1:2], off offset:2048
.LBB105_7:
	s_or_b32 exec_lo, exec_lo, s4
	v_or_b32_e32 v6, 0x300, v0
	s_delay_alu instid0(VALU_DEP_1) | instskip(SKIP_1) | instid1(VALU_DEP_2)
	v_cmp_gt_u32_e64 s4, s36, v6
	v_mov_b32_e32 v6, s10
	s_and_saveexec_b32 s5, s4
	s_cbranch_execz .LBB105_9
; %bb.8:
	global_load_b32 v6, v[1:2], off offset:3072
.LBB105_9:
	s_or_b32 exec_lo, exec_lo, s5
	v_or_b32_e32 v7, 0x400, v0
	s_delay_alu instid0(VALU_DEP_1) | instskip(SKIP_1) | instid1(VALU_DEP_2)
	v_cmp_gt_u32_e64 s5, s36, v7
	v_mov_b32_e32 v7, s10
	s_and_saveexec_b32 s7, s5
	s_cbranch_execz .LBB105_11
; %bb.10:
	v_add_co_u32 v7, s6, 0x1000, v1
	s_delay_alu instid0(VALU_DEP_1)
	v_add_co_ci_u32_e64 v8, s6, 0, v2, s6
	global_load_b32 v7, v[7:8], off
.LBB105_11:
	s_or_b32 exec_lo, exec_lo, s7
	v_or_b32_e32 v8, 0x500, v0
	s_delay_alu instid0(VALU_DEP_1) | instskip(SKIP_1) | instid1(VALU_DEP_2)
	v_cmp_gt_u32_e64 s6, s36, v8
	v_mov_b32_e32 v8, s10
	s_and_saveexec_b32 s8, s6
	s_cbranch_execz .LBB105_13
; %bb.12:
	v_add_co_u32 v8, s7, 0x1000, v1
	s_delay_alu instid0(VALU_DEP_1)
	v_add_co_ci_u32_e64 v9, s7, 0, v2, s7
	global_load_b32 v8, v[8:9], off offset:1024
.LBB105_13:
	s_or_b32 exec_lo, exec_lo, s8
	v_or_b32_e32 v9, 0x600, v0
	s_delay_alu instid0(VALU_DEP_1) | instskip(SKIP_1) | instid1(VALU_DEP_2)
	v_cmp_gt_u32_e64 s7, s36, v9
	v_mov_b32_e32 v9, s10
	s_and_saveexec_b32 s9, s7
	s_cbranch_execz .LBB105_15
; %bb.14:
	v_add_co_u32 v9, s8, 0x1000, v1
	s_delay_alu instid0(VALU_DEP_1)
	v_add_co_ci_u32_e64 v10, s8, 0, v2, s8
	global_load_b32 v9, v[9:10], off offset:2048
.LBB105_15:
	;; [unrolled: 13-line block ×3, first 2 shown]
	s_or_b32 exec_lo, exec_lo, s11
	v_or_b32_e32 v11, 0x800, v0
	s_delay_alu instid0(VALU_DEP_1) | instskip(SKIP_1) | instid1(VALU_DEP_2)
	v_cmp_gt_u32_e64 s9, s36, v11
	v_mov_b32_e32 v11, s10
	s_and_saveexec_b32 s11, s9
	s_cbranch_execz .LBB105_19
; %bb.18:
	v_add_co_u32 v1, s10, 0x2000, v1
	s_delay_alu instid0(VALU_DEP_1)
	v_add_co_ci_u32_e64 v2, s10, 0, v2, s10
	global_load_b32 v11, v[1:2], off
.LBB105_19:
	s_or_b32 exec_lo, exec_lo, s11
	s_waitcnt vmcnt(0)
	ds_store_2addr_stride64_b32 v13, v3, v4 offset1:4
	ds_store_2addr_stride64_b32 v13, v5, v6 offset0:8 offset1:12
	ds_store_2addr_stride64_b32 v13, v7, v8 offset0:16 offset1:20
	;; [unrolled: 1-line block ×3, first 2 shown]
	ds_store_b32 v13, v11 offset:8192
	s_waitcnt lgkmcnt(0)
	s_barrier
	buffer_gl0_inv
	s_load_b32 s11, s[34:35], 0x0
	v_lshl_add_u32 v30, v0, 5, v13
	ds_load_b32 v27, v30
	ds_load_2addr_b32 v[25:26], v30 offset0:1 offset1:2
	ds_load_2addr_b32 v[22:23], v30 offset0:3 offset1:4
	;; [unrolled: 1-line block ×4, first 2 shown]
	s_waitcnt lgkmcnt(0)
	v_mov_b32_e32 v29, s11
	s_mov_b32 s11, exec_lo
	ds_store_b32 v13, v27 offset:10240
	s_waitcnt lgkmcnt(0)
	s_barrier
	buffer_gl0_inv
	v_cmpx_ne_u32_e32 0xff, v0
	s_cbranch_execz .LBB105_21
; %bb.20:
	ds_load_b32 v29, v13 offset:10244
.LBB105_21:
	s_or_b32 exec_lo, exec_lo, s11
	v_add_co_u32 v1, s10, s30, v13
	s_delay_alu instid0(VALU_DEP_1)
	v_add_co_ci_u32_e64 v2, null, s31, 0, s10
	s_waitcnt lgkmcnt(0)
	s_barrier
	buffer_gl0_inv
                                        ; implicit-def: $vgpr3
	s_and_saveexec_b32 s10, vcc_lo
	s_cbranch_execz .LBB105_30
; %bb.22:
	global_load_b32 v3, v[1:2], off
	s_or_b32 exec_lo, exec_lo, s10
                                        ; implicit-def: $vgpr4
	s_and_saveexec_b32 s10, s2
	s_cbranch_execnz .LBB105_31
.LBB105_23:
	s_or_b32 exec_lo, exec_lo, s10
                                        ; implicit-def: $vgpr5
	s_and_saveexec_b32 s2, s3
	s_cbranch_execz .LBB105_32
.LBB105_24:
	global_load_b32 v5, v[1:2], off offset:2048
	s_or_b32 exec_lo, exec_lo, s2
                                        ; implicit-def: $vgpr6
	s_and_saveexec_b32 s2, s4
	s_cbranch_execnz .LBB105_33
.LBB105_25:
	s_or_b32 exec_lo, exec_lo, s2
                                        ; implicit-def: $vgpr7
	s_and_saveexec_b32 s2, s5
	s_cbranch_execz .LBB105_34
.LBB105_26:
	v_add_co_u32 v7, vcc_lo, 0x1000, v1
	v_add_co_ci_u32_e32 v8, vcc_lo, 0, v2, vcc_lo
	global_load_b32 v7, v[7:8], off
	s_or_b32 exec_lo, exec_lo, s2
                                        ; implicit-def: $vgpr8
	s_and_saveexec_b32 s2, s6
	s_cbranch_execnz .LBB105_35
.LBB105_27:
	s_or_b32 exec_lo, exec_lo, s2
                                        ; implicit-def: $vgpr14
	s_and_saveexec_b32 s2, s7
	s_cbranch_execz .LBB105_36
.LBB105_28:
	v_add_co_u32 v14, vcc_lo, 0x1000, v1
	v_add_co_ci_u32_e32 v15, vcc_lo, 0, v2, vcc_lo
	global_load_b32 v14, v[14:15], off offset:2048
	s_or_b32 exec_lo, exec_lo, s2
                                        ; implicit-def: $vgpr15
	s_and_saveexec_b32 s2, s8
	s_cbranch_execz .LBB105_38
	s_branch .LBB105_37
.LBB105_29:
	s_mov_b32 s5, s13
                                        ; implicit-def: $sgpr2
                                        ; implicit-def: $vgpr1_vgpr2_vgpr3_vgpr4_vgpr5_vgpr6_vgpr7_vgpr8
                                        ; implicit-def: $vgpr24
                                        ; implicit-def: $vgpr14_vgpr15
                                        ; implicit-def: $vgpr16_vgpr17
                                        ; implicit-def: $vgpr18_vgpr19
                                        ; implicit-def: $vgpr20_vgpr21
                                        ; implicit-def: $sgpr6_sgpr7
	s_cbranch_execz .LBB105_64
	s_branch .LBB105_59
.LBB105_30:
	s_or_b32 exec_lo, exec_lo, s10
                                        ; implicit-def: $vgpr4
	s_and_saveexec_b32 s10, s2
	s_cbranch_execz .LBB105_23
.LBB105_31:
	global_load_b32 v4, v[1:2], off offset:1024
	s_or_b32 exec_lo, exec_lo, s10
                                        ; implicit-def: $vgpr5
	s_and_saveexec_b32 s2, s3
	s_cbranch_execnz .LBB105_24
.LBB105_32:
	s_or_b32 exec_lo, exec_lo, s2
                                        ; implicit-def: $vgpr6
	s_and_saveexec_b32 s2, s4
	s_cbranch_execz .LBB105_25
.LBB105_33:
	global_load_b32 v6, v[1:2], off offset:3072
	s_or_b32 exec_lo, exec_lo, s2
                                        ; implicit-def: $vgpr7
	s_and_saveexec_b32 s2, s5
	s_cbranch_execnz .LBB105_26
.LBB105_34:
	s_or_b32 exec_lo, exec_lo, s2
                                        ; implicit-def: $vgpr8
	s_and_saveexec_b32 s2, s6
	s_cbranch_execz .LBB105_27
.LBB105_35:
	v_add_co_u32 v14, vcc_lo, 0x1000, v1
	v_add_co_ci_u32_e32 v15, vcc_lo, 0, v2, vcc_lo
	global_load_b32 v8, v[14:15], off offset:1024
	s_or_b32 exec_lo, exec_lo, s2
                                        ; implicit-def: $vgpr14
	s_and_saveexec_b32 s2, s7
	s_cbranch_execnz .LBB105_28
.LBB105_36:
	s_or_b32 exec_lo, exec_lo, s2
                                        ; implicit-def: $vgpr15
	s_and_saveexec_b32 s2, s8
	s_cbranch_execz .LBB105_38
.LBB105_37:
	v_add_co_u32 v15, vcc_lo, 0x1000, v1
	v_add_co_ci_u32_e32 v16, vcc_lo, 0, v2, vcc_lo
	global_load_b32 v15, v[15:16], off offset:3072
.LBB105_38:
	s_or_b32 exec_lo, exec_lo, s2
	v_mul_u32_u24_e32 v31, 9, v0
                                        ; implicit-def: $vgpr16
	s_and_saveexec_b32 s2, s9
	s_cbranch_execz .LBB105_40
; %bb.39:
	v_add_co_u32 v1, vcc_lo, 0x2000, v1
	v_add_co_ci_u32_e32 v2, vcc_lo, 0, v2, vcc_lo
	global_load_b32 v16, v[1:2], off
.LBB105_40:
	s_or_b32 exec_lo, exec_lo, s2
	s_mov_b32 s4, 0
	s_waitcnt vmcnt(0)
	ds_store_2addr_stride64_b32 v13, v3, v4 offset1:4
	ds_store_2addr_stride64_b32 v13, v5, v6 offset0:8 offset1:12
	ds_store_2addr_stride64_b32 v13, v7, v8 offset0:16 offset1:20
	;; [unrolled: 1-line block ×3, first 2 shown]
	ds_store_b32 v13, v16 offset:8192
	s_mov_b32 s5, s4
	s_mov_b32 s6, s4
	;; [unrolled: 1-line block ×7, first 2 shown]
	v_dual_mov_b32 v14, 0 :: v_dual_mov_b32 v1, s4
	v_dual_mov_b32 v15, 0 :: v_dual_mov_b32 v2, s5
	;; [unrolled: 1-line block ×5, first 2 shown]
	s_delay_alu instid0(VALU_DEP_4)
	v_dual_mov_b32 v17, v15 :: v_dual_mov_b32 v16, v14
	v_dual_mov_b32 v19, v15 :: v_dual_mov_b32 v18, v14
	;; [unrolled: 1-line block ×3, first 2 shown]
	s_mov_b64 s[6:7], 0
	s_mov_b32 s5, 0
	s_mov_b32 s3, exec_lo
	s_waitcnt lgkmcnt(0)
	s_barrier
	buffer_gl0_inv
                                        ; implicit-def: $sgpr2
                                        ; implicit-def: $vgpr24
	v_cmpx_gt_u32_e64 s36, v31
	s_cbranch_execz .LBB105_58
; %bb.41:
	ds_load_b32 v14, v30
	s_mov_b32 s20, 0
	v_add_nc_u32_e32 v18, 1, v31
	s_mov_b32 s21, s20
	s_mov_b32 s22, s20
	s_mov_b32 s23, s20
	s_mov_b32 s24, s20
	s_mov_b32 s25, s20
	s_mov_b32 s26, s20
	s_mov_b32 s27, s20
	v_dual_mov_b32 v16, 0 :: v_dual_mov_b32 v1, s20
	v_mov_b32_e32 v17, 0
	v_cmp_ne_u32_e32 vcc_lo, v27, v25
	v_cmp_eq_u32_e64 s2, v27, v25
	v_mov_b32_e32 v8, s27
	v_dual_mov_b32 v2, s21 :: v_dual_mov_b32 v3, s22
	v_cndmask_b32_e64 v15, 0, 1, vcc_lo
	v_cmp_gt_u32_e32 vcc_lo, s36, v18
	v_dual_mov_b32 v19, v17 :: v_dual_mov_b32 v18, v16
	v_dual_mov_b32 v21, v17 :: v_dual_mov_b32 v4, s23
	;; [unrolled: 1-line block ×3, first 2 shown]
	v_mov_b32_e32 v7, s26
	s_waitcnt lgkmcnt(0)
	v_cndmask_b32_e64 v14, s33, v14, s2
	v_mov_b32_e32 v20, v16
                                        ; implicit-def: $sgpr2
                                        ; implicit-def: $vgpr24
	s_and_saveexec_b32 s5, vcc_lo
	s_cbranch_execz .LBB105_57
; %bb.42:
	ds_load_2addr_b32 v[27:28], v30 offset0:1 offset1:2
	s_mov_b32 s21, s20
	s_mov_b32 s22, s20
	;; [unrolled: 1-line block ×7, first 2 shown]
	v_dual_mov_b32 v18, 0 :: v_dual_mov_b32 v1, s20
	v_dual_mov_b32 v19, 0 :: v_dual_add_nc_u32 v16, 2, v31
	v_cmp_ne_u32_e32 vcc_lo, v25, v26
	v_cmp_eq_u32_e64 s2, v25, v26
	v_mov_b32_e32 v8, s27
	v_dual_mov_b32 v2, s21 :: v_dual_mov_b32 v3, s22
	v_mov_b32_e32 v21, v19
	v_cndmask_b32_e64 v17, 0, 1, vcc_lo
	v_dual_mov_b32 v4, s23 :: v_dual_mov_b32 v5, s24
	v_dual_mov_b32 v6, s25 :: v_dual_mov_b32 v7, s26
	v_cmp_gt_u32_e32 vcc_lo, s36, v16
	s_waitcnt lgkmcnt(0)
	v_cndmask_b32_e64 v16, s33, v27, s2
	v_mov_b32_e32 v20, v18
                                        ; implicit-def: $sgpr2
                                        ; implicit-def: $vgpr24
	s_and_saveexec_b32 s8, vcc_lo
	s_cbranch_execz .LBB105_56
; %bb.43:
	v_cmp_eq_u32_e32 vcc_lo, v26, v22
	v_add_nc_u32_e32 v1, 3, v31
	s_mov_b32 s21, s20
	s_mov_b32 s22, s20
	;; [unrolled: 1-line block ×3, first 2 shown]
	v_cndmask_b32_e32 v18, s33, v28, vcc_lo
	v_cmp_ne_u32_e32 vcc_lo, v26, v22
	s_mov_b32 s24, s20
	s_mov_b32 s25, s20
	;; [unrolled: 1-line block ×4, first 2 shown]
	v_cndmask_b32_e64 v19, 0, 1, vcc_lo
	v_cmp_gt_u32_e32 vcc_lo, s36, v1
	v_dual_mov_b32 v20, 0 :: v_dual_mov_b32 v1, s20
	v_dual_mov_b32 v21, 0 :: v_dual_mov_b32 v2, s21
	;; [unrolled: 1-line block ×5, first 2 shown]
                                        ; implicit-def: $sgpr2
                                        ; implicit-def: $vgpr24
	s_and_saveexec_b32 s9, vcc_lo
	s_cbranch_execz .LBB105_55
; %bb.44:
	ds_load_2addr_b32 v[24:25], v30 offset0:3 offset1:4
	v_cmp_ne_u32_e32 vcc_lo, v22, v23
	s_mov_b32 s21, s20
	s_mov_b32 s22, s20
	;; [unrolled: 1-line block ×7, first 2 shown]
	v_add_nc_u32_e32 v1, 4, v31
	v_cmp_eq_u32_e64 s2, v22, v23
	v_cndmask_b32_e64 v21, 0, 1, vcc_lo
                                        ; implicit-def: $sgpr11
	s_delay_alu instid0(VALU_DEP_3)
	v_cmp_gt_u32_e32 vcc_lo, s36, v1
	v_dual_mov_b32 v1, s20 :: v_dual_mov_b32 v4, s23
	v_dual_mov_b32 v2, s21 :: v_dual_mov_b32 v3, s22
	v_mov_b32_e32 v6, s25
	s_waitcnt lgkmcnt(0)
	v_cndmask_b32_e64 v20, s33, v24, s2
	v_dual_mov_b32 v5, s24 :: v_dual_mov_b32 v8, s27
	v_mov_b32_e32 v7, s26
                                        ; implicit-def: $vgpr24
	s_and_saveexec_b32 s10, vcc_lo
	s_cbranch_execz .LBB105_54
; %bb.45:
	v_cmp_eq_u32_e32 vcc_lo, v23, v11
	v_mov_b32_e32 v5, 0
	v_add_nc_u32_e32 v3, 5, v31
	s_mov_b32 s2, 0
                                        ; implicit-def: $sgpr21
                                        ; implicit-def: $vgpr24
	s_delay_alu instid0(VALU_DEP_2)
	v_dual_cndmask_b32 v1, s33, v25 :: v_dual_mov_b32 v6, v5
	v_cmp_ne_u32_e32 vcc_lo, v23, v11
	v_mov_b32_e32 v4, v5
	v_mov_b32_e32 v7, v5
	;; [unrolled: 1-line block ×3, first 2 shown]
	v_cndmask_b32_e64 v2, 0, 1, vcc_lo
	v_cmp_gt_u32_e32 vcc_lo, s36, v3
	v_mov_b32_e32 v3, v5
	s_and_saveexec_b32 s11, vcc_lo
	s_cbranch_execz .LBB105_53
; %bb.46:
	ds_load_2addr_b32 v[22:23], v30 offset0:5 offset1:6
	v_dual_mov_b32 v6, v5 :: v_dual_add_nc_u32 v3, 6, v31
	v_cmp_ne_u32_e32 vcc_lo, v11, v12
	v_cmp_eq_u32_e64 s2, v11, v12
	v_mov_b32_e32 v7, v5
	v_mov_b32_e32 v8, v5
                                        ; implicit-def: $sgpr22
                                        ; implicit-def: $vgpr24
	v_cndmask_b32_e64 v4, 0, 1, vcc_lo
	v_cmp_gt_u32_e32 vcc_lo, s36, v3
	s_waitcnt lgkmcnt(0)
	v_cndmask_b32_e64 v3, s33, v22, s2
	s_and_saveexec_b32 s2, vcc_lo
	s_cbranch_execz .LBB105_52
; %bb.47:
	v_cmp_eq_u32_e32 vcc_lo, v12, v9
	s_mov_b32 s21, 0
	s_delay_alu instid0(SALU_CYCLE_1) | instskip(SKIP_3) | instid1(VALU_DEP_4)
	v_dual_mov_b32 v8, s21 :: v_dual_add_nc_u32 v7, 7, v31
                                        ; implicit-def: $sgpr22
                                        ; implicit-def: $vgpr24
	v_cndmask_b32_e32 v5, s33, v23, vcc_lo
	v_cmp_ne_u32_e32 vcc_lo, v12, v9
	v_cndmask_b32_e64 v6, 0, 1, vcc_lo
	v_cmp_gt_u32_e32 vcc_lo, s36, v7
	v_mov_b32_e32 v7, s21
	s_and_saveexec_b32 s20, vcc_lo
	s_cbranch_execz .LBB105_51
; %bb.48:
	ds_load_2addr_b32 v[11:12], v30 offset0:7 offset1:8
	v_cmp_ne_u32_e32 vcc_lo, v9, v10
	v_add_nc_u32_e32 v22, 8, v31
	s_mov_b32 s23, exec_lo
                                        ; implicit-def: $sgpr22
                                        ; implicit-def: $vgpr24
	v_cndmask_b32_e64 v8, 0, 1, vcc_lo
	v_cmp_eq_u32_e32 vcc_lo, v9, v10
	s_waitcnt lgkmcnt(0)
	v_cndmask_b32_e32 v7, s33, v11, vcc_lo
	v_cmpx_gt_u32_e64 s36, v22
	s_xor_b32 s23, exec_lo, s23
; %bb.49:
	v_cmp_ne_u32_e32 vcc_lo, v10, v29
	s_mov_b32 s21, exec_lo
	v_cndmask_b32_e64 v24, v12, s33, vcc_lo
	s_and_b32 s22, vcc_lo, exec_lo
; %bb.50:
	s_or_b32 exec_lo, exec_lo, s23
	s_delay_alu instid0(SALU_CYCLE_1)
	s_and_b32 s22, s22, exec_lo
	s_and_b32 s21, s21, exec_lo
.LBB105_51:
	s_or_b32 exec_lo, exec_lo, s20
	s_delay_alu instid0(SALU_CYCLE_1)
	s_and_b32 s22, s22, exec_lo
	s_and_b32 s20, s21, exec_lo
.LBB105_52:
	s_or_b32 exec_lo, exec_lo, s2
	s_delay_alu instid0(SALU_CYCLE_1)
	s_and_b32 s21, s22, exec_lo
	s_and_b32 s2, s20, exec_lo
.LBB105_53:
	s_or_b32 exec_lo, exec_lo, s11
	s_delay_alu instid0(SALU_CYCLE_1)
	s_and_b32 s11, s21, exec_lo
	s_and_b32 s20, s2, exec_lo
.LBB105_54:
	s_or_b32 exec_lo, exec_lo, s10
	s_delay_alu instid0(SALU_CYCLE_1)
	s_and_b32 s2, s11, exec_lo
	s_and_b32 s20, s20, exec_lo
.LBB105_55:
	s_or_b32 exec_lo, exec_lo, s9
	s_delay_alu instid0(SALU_CYCLE_1)
	s_and_b32 s2, s2, exec_lo
	s_and_b32 s20, s20, exec_lo
.LBB105_56:
	s_or_b32 exec_lo, exec_lo, s8
	s_delay_alu instid0(SALU_CYCLE_1)
	s_and_b32 s2, s2, exec_lo
	s_and_b32 s20, s20, exec_lo
.LBB105_57:
	s_or_b32 exec_lo, exec_lo, s5
	s_delay_alu instid0(SALU_CYCLE_1)
	s_and_b32 s2, s2, exec_lo
	s_and_b32 s5, s20, exec_lo
.LBB105_58:
	s_or_b32 exec_lo, exec_lo, s3
	s_delay_alu instid0(SALU_CYCLE_1)
	s_and_b32 vcc_lo, exec_lo, s4
	s_cbranch_vccz .LBB105_64
.LBB105_59:
	v_add_co_u32 v3, s2, s34, v13
	s_delay_alu instid0(VALU_DEP_1)
	v_add_co_ci_u32_e64 v4, null, s35, 0, s2
	s_clause 0x1
	global_load_b32 v5, v13, s[34:35] offset:1024
	global_load_b32 v6, v13, s[34:35] offset:2048
	v_add_co_u32 v1, vcc_lo, 0x1000, v3
	v_add_co_ci_u32_e32 v2, vcc_lo, 0, v4, vcc_lo
	v_add_co_u32 v3, vcc_lo, v3, 0x2000
	v_add_co_ci_u32_e32 v4, vcc_lo, 0, v4, vcc_lo
	s_clause 0x6
	global_load_b32 v7, v13, s[34:35] offset:3072
	global_load_b32 v8, v[1:2], off offset:1024
	global_load_b32 v9, v[1:2], off offset:2048
	global_load_b32 v10, v13, s[34:35]
	global_load_b32 v11, v[3:4], off
	global_load_b32 v3, v[3:4], off offset:-4096
	global_load_b32 v1, v[1:2], off offset:3072
	v_lshl_add_u32 v16, v0, 5, v13
	s_mov_b32 s2, 0
	s_waitcnt vmcnt(3)
	ds_store_2addr_stride64_b32 v13, v10, v5 offset1:4
	ds_store_2addr_stride64_b32 v13, v6, v7 offset0:8 offset1:12
	s_waitcnt vmcnt(1)
	ds_store_2addr_stride64_b32 v13, v3, v8 offset0:16 offset1:20
	s_waitcnt vmcnt(0)
	ds_store_2addr_stride64_b32 v13, v9, v1 offset0:24 offset1:28
	ds_store_b32 v13, v11 offset:8192
	s_waitcnt lgkmcnt(0)
	s_barrier
	buffer_gl0_inv
	s_load_b32 s3, s[34:35], 0x2400
	ds_load_2addr_b32 v[3:4], v16 offset1:1
	ds_load_2addr_b32 v[1:2], v16 offset0:2 offset1:3
	ds_load_2addr_b32 v[11:12], v16 offset0:6 offset1:7
	;; [unrolled: 1-line block ×3, first 2 shown]
	ds_load_b32 v25, v16 offset:32
	s_waitcnt lgkmcnt(0)
	ds_store_b32 v13, v3 offset:10240
	s_waitcnt lgkmcnt(0)
	s_barrier
	v_mov_b32_e32 v26, s3
	s_mov_b32 s3, exec_lo
	buffer_gl0_inv
	v_cmpx_ne_u32_e32 0xff, v0
	s_cbranch_execz .LBB105_61
; %bb.60:
	ds_load_b32 v26, v13 offset:10244
.LBB105_61:
	s_or_b32 exec_lo, exec_lo, s3
	v_add_co_u32 v7, s3, s30, v13
	s_delay_alu instid0(VALU_DEP_1) | instskip(SKIP_1) | instid1(VALU_DEP_2)
	v_add_co_ci_u32_e64 v8, null, s31, 0, s3
	s_waitcnt lgkmcnt(0)
	v_add_co_u32 v5, vcc_lo, 0x1000, v7
	s_delay_alu instid0(VALU_DEP_2)
	v_add_co_ci_u32_e32 v6, vcc_lo, 0, v8, vcc_lo
	v_add_co_u32 v7, vcc_lo, v7, 0x2000
	v_add_co_ci_u32_e32 v8, vcc_lo, 0, v8, vcc_lo
	s_barrier
	buffer_gl0_inv
	s_clause 0x8
	global_load_b32 v14, v13, s[30:31] offset:1024
	global_load_b32 v15, v13, s[30:31] offset:2048
	;; [unrolled: 1-line block ×3, first 2 shown]
	global_load_b32 v18, v[5:6], off offset:1024
	global_load_b32 v19, v[5:6], off offset:2048
	global_load_b32 v20, v13, s[30:31]
	global_load_b32 v21, v[7:8], off
	global_load_b32 v7, v[7:8], off offset:-4096
	global_load_b32 v5, v[5:6], off offset:3072
	s_mov_b32 s3, 1
	v_cmp_eq_u32_e32 vcc_lo, v3, v4
	v_mov_b32_e32 v3, s33
	s_waitcnt vmcnt(3)
	ds_store_2addr_stride64_b32 v13, v20, v14 offset1:4
	ds_store_2addr_stride64_b32 v13, v15, v17 offset0:8 offset1:12
	s_waitcnt vmcnt(1)
	ds_store_2addr_stride64_b32 v13, v7, v18 offset0:16 offset1:20
	s_waitcnt vmcnt(0)
	ds_store_2addr_stride64_b32 v13, v19, v5 offset0:24 offset1:28
	ds_store_b32 v13, v21 offset:8192
	s_waitcnt lgkmcnt(0)
	s_barrier
	buffer_gl0_inv
	ds_load_2addr_b32 v[7:8], v16 offset0:1 offset1:2
	ds_load_2addr_b32 v[21:22], v16 offset0:3 offset1:8
	;; [unrolled: 1-line block ×4, first 2 shown]
	v_dual_mov_b32 v15, s3 :: v_dual_mov_b32 v14, s2
	s_and_saveexec_b32 s2, vcc_lo
	s_cbranch_execz .LBB105_63
; %bb.62:
	ds_load_b32 v3, v16
	v_mov_b32_e32 v14, 0
	v_mov_b32_e32 v15, 0
.LBB105_63:
	s_or_b32 exec_lo, exec_lo, s2
	v_cmp_eq_u32_e32 vcc_lo, v4, v1
	s_waitcnt lgkmcnt(0)
	v_or_b32_e32 v14, v14, v3
	v_cmp_ne_u32_e64 s2, v25, v26
	s_mov_b32 s5, -1
                                        ; implicit-def: $sgpr6_sgpr7
	v_cndmask_b32_e32 v16, s33, v7, vcc_lo
	v_cmp_ne_u32_e32 vcc_lo, v4, v1
	v_cndmask_b32_e64 v17, 0, 1, vcc_lo
	v_cmp_eq_u32_e32 vcc_lo, v1, v2
	v_cndmask_b32_e32 v18, s33, v8, vcc_lo
	v_cmp_ne_u32_e32 vcc_lo, v1, v2
	v_cndmask_b32_e64 v19, 0, 1, vcc_lo
	v_cmp_eq_u32_e32 vcc_lo, v2, v9
	;; [unrolled: 4-line block ×3, first 2 shown]
	v_cndmask_b32_e32 v7, s33, v6, vcc_lo
	v_cmp_eq_u32_e32 vcc_lo, v11, v12
	v_cndmask_b32_e32 v5, s33, v5, vcc_lo
	v_cmp_eq_u32_e32 vcc_lo, v10, v11
	v_cndmask_b32_e32 v3, s33, v24, vcc_lo
	v_cmp_eq_u32_e32 vcc_lo, v9, v10
	v_cndmask_b32_e64 v24, v22, s33, s2
	v_cndmask_b32_e32 v1, s33, v23, vcc_lo
	v_cmp_ne_u32_e32 vcc_lo, v12, v25
	v_cndmask_b32_e64 v8, 0, 1, vcc_lo
	v_cmp_ne_u32_e32 vcc_lo, v11, v12
	v_cndmask_b32_e64 v6, 0, 1, vcc_lo
	;; [unrolled: 2-line block ×4, first 2 shown]
.LBB105_64:
	v_dual_mov_b32 v23, s7 :: v_dual_mov_b32 v22, s6
	s_and_saveexec_b32 s3, s5
; %bb.65:
	v_cndmask_b32_e64 v25, 0, 1, s2
	s_delay_alu instid0(VALU_DEP_1)
	v_dual_mov_b32 v22, v24 :: v_dual_mov_b32 v23, v25
; %bb.66:
	s_or_b32 exec_lo, exec_lo, s3
	v_mbcnt_lo_u32_b32 v28, -1, 0
	s_cmp_lg_u32 s15, 0
	s_mov_b32 s10, 0
	s_barrier
	buffer_gl0_inv
	s_cbranch_scc0 .LBB105_102
; %bb.67:
	v_or_b32_e32 v10, v23, v8
	s_mov_b32 s11, 1
	s_delay_alu instid0(SALU_CYCLE_1) | instskip(SKIP_1) | instid1(VALU_DEP_3)
	v_cmp_gt_u64_e64 s2, s[10:11], v[16:17]
	v_cmp_gt_u64_e64 s3, s[10:11], v[18:19]
	v_or3_b32 v10, v10, v6, v4
	v_cmp_gt_u64_e64 s4, s[10:11], v[20:21]
	v_cmp_gt_u64_e64 s5, s[10:11], v[1:2]
	;; [unrolled: 1-line block ×3, first 2 shown]
	v_cndmask_b32_e64 v9, 0, v14, s2
	v_or3_b32 v10, v10, v2, v21
	v_cmp_gt_u64_e64 s7, s[10:11], v[5:6]
	v_cmp_gt_u64_e64 s8, s[10:11], v[7:8]
	s_delay_alu instid0(VALU_DEP_3) | instskip(NEXT) | instid1(VALU_DEP_1)
	v_or3_b32 v10, v10, v19, v17
	v_and_b32_e32 v10, 1, v10
	s_delay_alu instid0(VALU_DEP_1) | instskip(SKIP_4) | instid1(VALU_DEP_3)
	v_cmp_eq_u32_e32 vcc_lo, 1, v10
	v_cndmask_b32_e64 v10, v15, 1, vcc_lo
	v_add_nc_u32_e32 v9, v9, v16
	v_cmp_gt_u64_e32 vcc_lo, s[10:11], v[22:23]
	s_mov_b32 s10, exec_lo
	v_and_b32_e32 v11, 0xff, v10
	s_delay_alu instid0(VALU_DEP_3) | instskip(SKIP_1) | instid1(VALU_DEP_3)
	v_cndmask_b32_e64 v9, 0, v9, s3
	v_and_b32_e32 v13, 1, v10
	v_mov_b32_dpp v12, v11 row_shr:1 row_mask:0xf bank_mask:0xf
	s_delay_alu instid0(VALU_DEP_3) | instskip(NEXT) | instid1(VALU_DEP_1)
	v_add_nc_u32_e32 v9, v9, v18
	v_cndmask_b32_e64 v9, 0, v9, s4
	s_delay_alu instid0(VALU_DEP_1) | instskip(NEXT) | instid1(VALU_DEP_1)
	v_add_nc_u32_e32 v9, v9, v20
	v_cndmask_b32_e64 v9, 0, v9, s5
	s_delay_alu instid0(VALU_DEP_1) | instskip(NEXT) | instid1(VALU_DEP_1)
	;; [unrolled: 3-line block ×5, first 2 shown]
	v_add_nc_u32_e32 v9, v9, v7
	v_cndmask_b32_e32 v9, 0, v9, vcc_lo
	v_cmp_eq_u32_e32 vcc_lo, 1, v13
	s_delay_alu instid0(VALU_DEP_2) | instskip(NEXT) | instid1(VALU_DEP_1)
	v_add_nc_u32_e32 v9, v9, v22
	v_mov_b32_dpp v25, v9 row_shr:1 row_mask:0xf bank_mask:0xf
	v_and_b32_e32 v24, 1, v12
	s_delay_alu instid0(VALU_DEP_1) | instskip(SKIP_1) | instid1(VALU_DEP_4)
	v_cndmask_b32_e64 v24, v24, 1, vcc_lo
	v_cmp_eq_u16_e32 vcc_lo, 0, v11
	v_cndmask_b32_e32 v13, 0, v25, vcc_lo
	s_delay_alu instid0(VALU_DEP_3) | instskip(SKIP_1) | instid1(VALU_DEP_1)
	v_and_b32_e32 v25, 0xffff, v24
	v_and_b32_e32 v12, 15, v28
	v_cmp_eq_u32_e32 vcc_lo, 0, v12
	s_delay_alu instid0(VALU_DEP_3) | instskip(SKIP_2) | instid1(VALU_DEP_3)
	v_cndmask_b32_e32 v11, v25, v11, vcc_lo
	v_cndmask_b32_e64 v13, v13, 0, vcc_lo
	v_cndmask_b32_e32 v10, v24, v10, vcc_lo
	v_mov_b32_dpp v26, v11 row_shr:2 row_mask:0xf bank_mask:0xf
	s_delay_alu instid0(VALU_DEP_3) | instskip(SKIP_1) | instid1(VALU_DEP_2)
	v_add_nc_u32_e32 v9, v13, v9
	v_mov_b32_e32 v13, v11
	v_mov_b32_dpp v25, v9 row_shr:2 row_mask:0xf bank_mask:0xf
	v_cmpx_lt_u32_e32 1, v12
; %bb.68:
	v_cmp_eq_u16_e32 vcc_lo, 0, v24
	v_and_b32_e32 v10, 1, v24
	v_and_b32_e32 v11, 1, v26
	v_cndmask_b32_e32 v13, 0, v25, vcc_lo
	s_delay_alu instid0(VALU_DEP_3) | instskip(NEXT) | instid1(VALU_DEP_2)
	v_cmp_eq_u32_e32 vcc_lo, 1, v10
	v_add_nc_u32_e32 v9, v13, v9
	s_delay_alu instid0(VALU_DEP_4) | instskip(NEXT) | instid1(VALU_DEP_1)
	v_cndmask_b32_e64 v10, v11, 1, vcc_lo
	v_and_b32_e32 v13, 0xffff, v10
	v_mov_b32_e32 v11, v10
; %bb.69:
	s_or_b32 exec_lo, exec_lo, s10
	v_mov_b32_dpp v24, v9 row_shr:4 row_mask:0xf bank_mask:0xf
	s_delay_alu instid0(VALU_DEP_3)
	v_mov_b32_dpp v25, v13 row_shr:4 row_mask:0xf bank_mask:0xf
	s_mov_b32 s9, exec_lo
	v_cmpx_lt_u32_e32 3, v12
; %bb.70:
	v_cmp_eq_u16_e32 vcc_lo, 0, v11
	v_and_b32_e32 v10, 1, v11
	v_and_b32_e32 v13, 1, v25
	v_cndmask_b32_e32 v11, 0, v24, vcc_lo
	s_delay_alu instid0(VALU_DEP_3) | instskip(NEXT) | instid1(VALU_DEP_2)
	v_cmp_eq_u32_e32 vcc_lo, 1, v10
	v_add_nc_u32_e32 v9, v11, v9
	s_delay_alu instid0(VALU_DEP_4) | instskip(NEXT) | instid1(VALU_DEP_1)
	v_cndmask_b32_e64 v10, v13, 1, vcc_lo
	v_and_b32_e32 v13, 0xffff, v10
	v_mov_b32_e32 v11, v10
; %bb.71:
	s_or_b32 exec_lo, exec_lo, s9
	v_mov_b32_dpp v24, v9 row_shr:8 row_mask:0xf bank_mask:0xf
	s_delay_alu instid0(VALU_DEP_3)
	v_mov_b32_dpp v25, v13 row_shr:8 row_mask:0xf bank_mask:0xf
	s_mov_b32 s9, exec_lo
	v_cmpx_lt_u32_e32 7, v12
; %bb.72:
	v_cmp_eq_u16_e32 vcc_lo, 0, v11
	v_and_b32_e32 v10, 1, v11
	v_dual_cndmask_b32 v11, 0, v24 :: v_dual_and_b32 v12, 1, v25
	s_delay_alu instid0(VALU_DEP_2) | instskip(NEXT) | instid1(VALU_DEP_2)
	v_cmp_eq_u32_e32 vcc_lo, 1, v10
	v_add_nc_u32_e32 v9, v11, v9
	s_delay_alu instid0(VALU_DEP_3) | instskip(NEXT) | instid1(VALU_DEP_1)
	v_cndmask_b32_e64 v10, v12, 1, vcc_lo
	v_mov_b32_e32 v11, v10
	v_and_b32_e32 v13, 0xffff, v10
; %bb.73:
	s_or_b32 exec_lo, exec_lo, s9
	ds_swizzle_b32 v12, v9 offset:swizzle(BROADCAST,32,15)
	ds_swizzle_b32 v13, v13 offset:swizzle(BROADCAST,32,15)
	v_cmp_eq_u16_e32 vcc_lo, 0, v11
	v_bfe_i32 v24, v28, 4, 1
	v_and_b32_e32 v25, 16, v28
	v_or_b32_e32 v26, 31, v0
	s_mov_b32 s9, exec_lo
	s_waitcnt lgkmcnt(1)
	v_dual_cndmask_b32 v12, 0, v12 :: v_dual_and_b32 v11, 1, v11
	s_waitcnt lgkmcnt(0)
	v_and_b32_e32 v13, 1, v13
	s_delay_alu instid0(VALU_DEP_2) | instskip(NEXT) | instid1(VALU_DEP_3)
	v_cmp_eq_u32_e32 vcc_lo, 1, v11
	v_and_b32_e32 v12, v24, v12
	s_delay_alu instid0(VALU_DEP_3) | instskip(SKIP_2) | instid1(VALU_DEP_4)
	v_cndmask_b32_e64 v24, v13, 1, vcc_lo
	v_cmp_eq_u32_e32 vcc_lo, 0, v25
	v_lshrrev_b32_e32 v13, 5, v0
	v_add_nc_u32_e32 v11, v12, v9
	s_delay_alu instid0(VALU_DEP_4)
	v_cndmask_b32_e32 v12, v24, v10, vcc_lo
	v_cmpx_eq_u32_e64 v26, v0
	s_cbranch_execz .LBB105_75
; %bb.74:
	v_lshlrev_b32_e32 v9, 3, v13
	ds_store_b32 v9, v11
	ds_store_b8 v9, v12 offset:4
.LBB105_75:
	s_or_b32 exec_lo, exec_lo, s9
	s_delay_alu instid0(SALU_CYCLE_1)
	s_mov_b32 s10, exec_lo
	s_waitcnt lgkmcnt(0)
	s_barrier
	buffer_gl0_inv
	v_cmpx_gt_u32_e32 8, v0
	s_cbranch_execz .LBB105_81
; %bb.76:
	v_lshlrev_b32_e32 v24, 3, v0
	v_and_b32_e32 v25, 7, v28
	s_mov_b32 s9, exec_lo
	ds_load_b64 v[9:10], v24
	s_waitcnt lgkmcnt(0)
	v_dual_mov_b32 v27, v10 :: v_dual_and_b32 v26, 0xffffff00, v10
	v_mov_b32_dpp v29, v9 row_shr:1 row_mask:0xf bank_mask:0xf
	v_mov_b32_dpp v30, v10 row_shr:1 row_mask:0xf bank_mask:0xf
	v_cmpx_ne_u32_e32 0, v25
; %bb.77:
	v_and_b32_e32 v27, 1, v10
	s_delay_alu instid0(VALU_DEP_3) | instskip(SKIP_1) | instid1(VALU_DEP_3)
	v_and_b32_e32 v30, 1, v30
	v_and_b32_e32 v31, 0xff, v10
	v_cmp_eq_u32_e32 vcc_lo, 1, v27
	s_delay_alu instid0(VALU_DEP_3) | instskip(NEXT) | instid1(VALU_DEP_3)
	v_cndmask_b32_e64 v10, v30, 1, vcc_lo
	v_cmp_eq_u16_e32 vcc_lo, 0, v31
	v_cndmask_b32_e32 v27, 0, v29, vcc_lo
	s_delay_alu instid0(VALU_DEP_3) | instskip(NEXT) | instid1(VALU_DEP_2)
	v_and_b32_e32 v29, 0xffff, v10
	v_add_nc_u32_e32 v9, v27, v9
	s_delay_alu instid0(VALU_DEP_2)
	v_or_b32_e32 v27, v26, v29
; %bb.78:
	s_or_b32 exec_lo, exec_lo, s9
	s_delay_alu instid0(VALU_DEP_2) | instskip(NEXT) | instid1(VALU_DEP_2)
	v_mov_b32_dpp v29, v9 row_shr:2 row_mask:0xf bank_mask:0xf
	v_mov_b32_dpp v31, v27 row_shr:2 row_mask:0xf bank_mask:0xf
	v_mov_b32_e32 v30, v27
	s_mov_b32 s9, exec_lo
	v_cmpx_lt_u32_e32 1, v25
; %bb.79:
	v_and_b32_e32 v10, 1, v27
	v_and_b32_e32 v30, 1, v31
	s_delay_alu instid0(VALU_DEP_2) | instskip(NEXT) | instid1(VALU_DEP_2)
	v_cmp_eq_u32_e32 vcc_lo, 1, v10
	v_cndmask_b32_e64 v10, v30, 1, vcc_lo
	s_delay_alu instid0(VALU_DEP_1) | instskip(NEXT) | instid1(VALU_DEP_1)
	v_dual_mov_b32 v30, v10 :: v_dual_and_b32 v27, 0xff, v27
	v_cmp_eq_u16_e32 vcc_lo, 0, v27
	v_cndmask_b32_e32 v27, 0, v29, vcc_lo
	v_and_b32_e32 v29, 0xffff, v10
	s_delay_alu instid0(VALU_DEP_2) | instskip(NEXT) | instid1(VALU_DEP_2)
	v_add_nc_u32_e32 v9, v27, v9
	v_or_b32_e32 v27, v26, v29
; %bb.80:
	s_or_b32 exec_lo, exec_lo, s9
	s_delay_alu instid0(VALU_DEP_1) | instskip(SKIP_2) | instid1(VALU_DEP_3)
	v_mov_b32_dpp v26, v27 row_shr:4 row_mask:0xf bank_mask:0xf
	v_and_b32_e32 v29, 1, v30
	v_and_b32_e32 v27, 0xff, v30
	;; [unrolled: 1-line block ×3, first 2 shown]
	s_delay_alu instid0(VALU_DEP_3) | instskip(NEXT) | instid1(VALU_DEP_3)
	v_cmp_eq_u32_e64 s9, 1, v29
	v_cmp_eq_u16_e32 vcc_lo, 0, v27
	s_delay_alu instid0(VALU_DEP_2) | instskip(SKIP_2) | instid1(VALU_DEP_2)
	v_cndmask_b32_e64 v26, v26, 1, s9
	v_cmp_lt_u32_e64 s9, 3, v25
	v_mov_b32_dpp v25, v9 row_shr:4 row_mask:0xf bank_mask:0xf
	s_and_b32 vcc_lo, s9, vcc_lo
	s_delay_alu instid0(VALU_DEP_3) | instskip(NEXT) | instid1(VALU_DEP_2)
	v_cndmask_b32_e64 v10, v10, v26, s9
	v_cndmask_b32_e32 v25, 0, v25, vcc_lo
	s_delay_alu instid0(VALU_DEP_1)
	v_add_nc_u32_e32 v9, v25, v9
	ds_store_b32 v24, v9
	ds_store_b8 v24, v10 offset:4
.LBB105_81:
	s_or_b32 exec_lo, exec_lo, s10
	v_cmp_gt_u32_e32 vcc_lo, 32, v0
	v_dual_mov_b32 v29, 0 :: v_dual_mov_b32 v30, 0
	s_mov_b32 s10, exec_lo
	s_waitcnt lgkmcnt(0)
	s_barrier
	buffer_gl0_inv
	v_cmpx_lt_u32_e32 31, v0
	s_cbranch_execz .LBB105_83
; %bb.82:
	v_lshl_add_u32 v9, v13, 3, -8
	v_and_b32_e32 v10, 1, v12
	ds_load_b32 v29, v9
	ds_load_u8 v30, v9 offset:4
	v_and_b32_e32 v9, 0xff, v12
	s_delay_alu instid0(VALU_DEP_1) | instskip(SKIP_1) | instid1(VALU_DEP_1)
	v_cmp_eq_u16_e64 s9, 0, v9
	s_waitcnt lgkmcnt(1)
	v_cndmask_b32_e64 v9, 0, v29, s9
	v_cmp_eq_u32_e64 s9, 1, v10
	s_delay_alu instid0(VALU_DEP_2) | instskip(SKIP_1) | instid1(VALU_DEP_2)
	v_add_nc_u32_e32 v11, v9, v11
	s_waitcnt lgkmcnt(0)
	v_cndmask_b32_e64 v12, v30, 1, s9
.LBB105_83:
	s_or_b32 exec_lo, exec_lo, s10
	v_add_nc_u32_e32 v9, -1, v28
	s_delay_alu instid0(VALU_DEP_2) | instskip(NEXT) | instid1(VALU_DEP_2)
	v_and_b32_e32 v10, 0xff, v12
	v_cmp_gt_i32_e64 s9, 0, v9
	s_delay_alu instid0(VALU_DEP_1) | instskip(SKIP_1) | instid1(VALU_DEP_2)
	v_cndmask_b32_e64 v9, v9, v28, s9
	v_cmp_eq_u32_e64 s9, 0, v28
	v_lshlrev_b32_e32 v9, 2, v9
	ds_bpermute_b32 v31, v9, v11
	ds_bpermute_b32 v32, v9, v10
	s_and_saveexec_b32 s11, vcc_lo
	s_cbranch_execz .LBB105_101
; %bb.84:
	v_mov_b32_e32 v12, 0
	ds_load_b64 v[9:10], v12 offset:56
	s_waitcnt lgkmcnt(0)
	v_readfirstlane_b32 s22, v10
	s_and_saveexec_b32 s10, s9
	s_cbranch_execz .LBB105_86
; %bb.85:
	s_add_i32 s20, s15, 32
	s_mov_b32 s21, 0
	v_mov_b32_e32 v11, 1
	s_lshl_b64 s[24:25], s[20:21], 4
	s_mov_b32 s26, s21
	s_add_u32 s24, s16, s24
	s_addc_u32 s25, s17, s25
	s_and_b32 s27, s22, 0xff000000
	s_and_b32 s31, s22, 0xff0000
	s_mov_b32 s30, s21
	v_dual_mov_b32 v24, s24 :: v_dual_mov_b32 v25, s25
	s_or_b64 s[26:27], s[30:31], s[26:27]
	s_and_b32 s31, s22, 0xff00
	s_delay_alu instid0(SALU_CYCLE_1) | instskip(SKIP_1) | instid1(SALU_CYCLE_1)
	s_or_b64 s[26:27], s[26:27], s[30:31]
	s_and_b32 s31, s22, 0xff
	s_or_b64 s[20:21], s[26:27], s[30:31]
	s_delay_alu instid0(SALU_CYCLE_1)
	v_mov_b32_e32 v10, s21
	;;#ASMSTART
	global_store_dwordx4 v[24:25], v[9:12] off	
s_waitcnt vmcnt(0)
	;;#ASMEND
.LBB105_86:
	s_or_b32 exec_lo, exec_lo, s10
	v_xad_u32 v24, v28, -1, s15
	s_mov_b32 s20, 0
	s_mov_b32 s10, exec_lo
	s_delay_alu instid0(VALU_DEP_1) | instskip(NEXT) | instid1(VALU_DEP_1)
	v_add_nc_u32_e32 v11, 32, v24
	v_lshlrev_b64 v[10:11], 4, v[11:12]
	s_delay_alu instid0(VALU_DEP_1) | instskip(NEXT) | instid1(VALU_DEP_2)
	v_add_co_u32 v25, vcc_lo, s16, v10
	v_add_co_ci_u32_e32 v26, vcc_lo, s17, v11, vcc_lo
	;;#ASMSTART
	global_load_dwordx4 v[10:13], v[25:26] off glc	
s_waitcnt vmcnt(0)
	;;#ASMEND
	v_and_b32_e32 v13, 0xff, v12
	s_delay_alu instid0(VALU_DEP_1)
	v_cmpx_eq_u16_e32 0, v13
	s_cbranch_execz .LBB105_89
.LBB105_87:                             ; =>This Inner Loop Header: Depth=1
	;;#ASMSTART
	global_load_dwordx4 v[10:13], v[25:26] off glc	
s_waitcnt vmcnt(0)
	;;#ASMEND
	v_and_b32_e32 v13, 0xff, v12
	s_delay_alu instid0(VALU_DEP_1) | instskip(SKIP_1) | instid1(SALU_CYCLE_1)
	v_cmp_ne_u16_e32 vcc_lo, 0, v13
	s_or_b32 s20, vcc_lo, s20
	s_and_not1_b32 exec_lo, exec_lo, s20
	s_cbranch_execnz .LBB105_87
; %bb.88:
	s_or_b32 exec_lo, exec_lo, s20
.LBB105_89:
	s_delay_alu instid0(SALU_CYCLE_1)
	s_or_b32 exec_lo, exec_lo, s10
	v_cmp_ne_u32_e32 vcc_lo, 31, v28
	v_and_b32_e32 v26, 0xff, v11
	v_and_b32_e32 v25, 0xff, v12
	v_lshlrev_b32_e64 v34, v28, -1
	v_and_b32_e32 v11, 1, v11
	v_add_co_ci_u32_e32 v13, vcc_lo, 0, v28, vcc_lo
	s_delay_alu instid0(VALU_DEP_4) | instskip(SKIP_2) | instid1(VALU_DEP_3)
	v_cmp_eq_u16_e32 vcc_lo, 2, v25
	v_add_nc_u32_e32 v35, 1, v28
	s_mov_b32 s20, 0
	v_lshlrev_b32_e32 v33, 2, v13
	s_mov_b32 s21, 1
	v_and_or_b32 v25, vcc_lo, v34, 0x80000000
	v_cmp_gt_u32_e32 vcc_lo, 30, v28
	v_add_nc_u32_e32 v45, 16, v28
	ds_bpermute_b32 v13, v33, v26
	ds_bpermute_b32 v37, v33, v10
	v_cndmask_b32_e64 v27, 0, 1, vcc_lo
	v_cmp_eq_u32_e32 vcc_lo, 1, v11
	s_waitcnt lgkmcnt(1)
	v_and_b32_e32 v13, 1, v13
	s_delay_alu instid0(VALU_DEP_1) | instskip(SKIP_2) | instid1(VALU_DEP_3)
	v_cndmask_b32_e64 v11, v13, 1, vcc_lo
	v_ctz_i32_b32_e32 v13, v25
	v_lshlrev_b32_e32 v25, 1, v27
	v_and_b32_e32 v27, 0xffff, v11
	s_delay_alu instid0(VALU_DEP_3) | instskip(NEXT) | instid1(VALU_DEP_3)
	v_cmp_gt_u32_e32 vcc_lo, v35, v13
	v_add_lshl_u32 v36, v25, v28, 2
	v_mov_b32_e32 v25, v10
	v_cndmask_b32_e32 v11, v11, v26, vcc_lo
	v_cndmask_b32_e32 v27, v27, v26, vcc_lo
	s_delay_alu instid0(VALU_DEP_3) | instskip(NEXT) | instid1(VALU_DEP_3)
	v_cmp_gt_u64_e64 s10, s[20:21], v[25:26]
	v_and_b32_e32 v26, 1, v11
	ds_bpermute_b32 v38, v36, v27
	s_waitcnt lgkmcnt(1)
	v_cndmask_b32_e64 v25, 0, v37, s10
	v_cmp_eq_u16_e64 s10, 0, v11
	s_delay_alu instid0(VALU_DEP_2)
	v_cndmask_b32_e64 v25, v25, 0, vcc_lo
	v_cmp_gt_u32_e32 vcc_lo, 28, v28
	s_waitcnt lgkmcnt(0)
	v_and_b32_e32 v37, 1, v38
	v_cndmask_b32_e64 v38, 0, 1, vcc_lo
	v_cmp_eq_u32_e32 vcc_lo, 1, v26
	s_delay_alu instid0(VALU_DEP_2) | instskip(NEXT) | instid1(VALU_DEP_4)
	v_lshlrev_b32_e32 v38, 2, v38
	v_cndmask_b32_e64 v26, v37, 1, vcc_lo
	v_add_nc_u32_e32 v37, 2, v28
	s_delay_alu instid0(VALU_DEP_3) | instskip(NEXT) | instid1(VALU_DEP_3)
	v_add_lshl_u32 v38, v38, v28, 2
	v_and_b32_e32 v39, 0xffff, v26
	s_delay_alu instid0(VALU_DEP_3) | instskip(NEXT) | instid1(VALU_DEP_2)
	v_cmp_gt_u32_e32 vcc_lo, v37, v13
	v_dual_cndmask_b32 v27, v39, v27 :: v_dual_add_nc_u32 v10, v25, v10
	ds_bpermute_b32 v25, v36, v10
	v_dual_cndmask_b32 v26, v26, v11 :: v_dual_add_nc_u32 v39, 4, v28
	s_delay_alu instid0(VALU_DEP_1)
	v_and_b32_e32 v40, 1, v26
	s_waitcnt lgkmcnt(0)
	v_cndmask_b32_e64 v11, 0, v25, s10
	ds_bpermute_b32 v25, v38, v27
	v_cmp_eq_u16_e64 s10, 0, v26
	v_cndmask_b32_e64 v11, v11, 0, vcc_lo
	v_cmp_gt_u32_e32 vcc_lo, 24, v28
	s_delay_alu instid0(VALU_DEP_2)
	v_add_nc_u32_e32 v10, v11, v10
	v_cndmask_b32_e64 v41, 0, 1, vcc_lo
	v_cmp_eq_u32_e32 vcc_lo, 1, v40
	ds_bpermute_b32 v11, v38, v10
	v_lshlrev_b32_e32 v40, 3, v41
	s_waitcnt lgkmcnt(1)
	v_and_b32_e32 v25, 1, v25
	s_delay_alu instid0(VALU_DEP_2) | instskip(NEXT) | instid1(VALU_DEP_2)
	v_add_lshl_u32 v40, v40, v28, 2
	v_cndmask_b32_e64 v25, v25, 1, vcc_lo
	v_cmp_gt_u32_e32 vcc_lo, v39, v13
	s_delay_alu instid0(VALU_DEP_2) | instskip(SKIP_3) | instid1(VALU_DEP_3)
	v_and_b32_e32 v41, 0xffff, v25
	v_cndmask_b32_e32 v25, v25, v26, vcc_lo
	s_waitcnt lgkmcnt(0)
	v_cndmask_b32_e64 v11, 0, v11, s10
	v_cndmask_b32_e32 v26, v41, v27, vcc_lo
	s_delay_alu instid0(VALU_DEP_3) | instskip(SKIP_1) | instid1(VALU_DEP_4)
	v_and_b32_e32 v42, 1, v25
	v_add_nc_u32_e32 v41, 8, v28
	v_cndmask_b32_e64 v11, v11, 0, vcc_lo
	ds_bpermute_b32 v27, v40, v26
	v_cmp_gt_u32_e32 vcc_lo, 16, v28
	v_add_nc_u32_e32 v10, v11, v10
	v_cndmask_b32_e64 v43, 0, 1, vcc_lo
	v_cmp_eq_u32_e32 vcc_lo, 1, v42
	ds_bpermute_b32 v11, v40, v10
	v_lshlrev_b32_e32 v42, 4, v43
	s_delay_alu instid0(VALU_DEP_1) | instskip(SKIP_2) | instid1(VALU_DEP_1)
	v_add_lshl_u32 v44, v42, v28, 2
	s_waitcnt lgkmcnt(1)
	v_and_b32_e32 v27, 1, v27
	v_cndmask_b32_e64 v27, v27, 1, vcc_lo
	v_cmp_eq_u16_e32 vcc_lo, 0, v25
	s_delay_alu instid0(VALU_DEP_2) | instskip(SKIP_3) | instid1(VALU_DEP_2)
	v_and_b32_e32 v43, 0xffff, v27
	s_waitcnt lgkmcnt(0)
	v_cndmask_b32_e32 v11, 0, v11, vcc_lo
	v_cmp_gt_u32_e32 vcc_lo, v41, v13
	v_cndmask_b32_e64 v11, v11, 0, vcc_lo
	v_cndmask_b32_e32 v26, v43, v26, vcc_lo
	v_cndmask_b32_e32 v25, v27, v25, vcc_lo
	s_delay_alu instid0(VALU_DEP_3)
	v_add_nc_u32_e32 v10, v11, v10
	ds_bpermute_b32 v11, v44, v26
	v_and_b32_e32 v27, 0xff, v25
	v_and_b32_e32 v42, 1, v25
	ds_bpermute_b32 v26, v44, v10
	v_cmp_eq_u16_e32 vcc_lo, 0, v27
	s_waitcnt lgkmcnt(0)
	v_dual_cndmask_b32 v26, 0, v26 :: v_dual_and_b32 v11, 1, v11
	v_cmp_eq_u32_e32 vcc_lo, 1, v42
	s_delay_alu instid0(VALU_DEP_2) | instskip(SKIP_1) | instid1(VALU_DEP_4)
	v_cndmask_b32_e64 v11, v11, 1, vcc_lo
	v_cmp_gt_u32_e32 vcc_lo, v45, v13
	v_cndmask_b32_e64 v13, v26, 0, vcc_lo
	s_delay_alu instid0(VALU_DEP_3) | instskip(NEXT) | instid1(VALU_DEP_2)
	v_cndmask_b32_e32 v11, v11, v25, vcc_lo
	v_dual_mov_b32 v25, 0 :: v_dual_add_nc_u32 v10, v13, v10
	s_branch .LBB105_91
.LBB105_90:                             ;   in Loop: Header=BB105_91 Depth=1
	s_or_b32 exec_lo, exec_lo, s10
	v_and_b32_e32 v27, 0xff, v11
	v_and_b32_e32 v26, 0xff, v12
	;; [unrolled: 1-line block ×3, first 2 shown]
	ds_bpermute_b32 v46, v33, v10
	v_subrev_nc_u32_e32 v24, 32, v24
	ds_bpermute_b32 v13, v33, v27
	v_cmp_eq_u16_e32 vcc_lo, 2, v26
	v_and_or_b32 v26, vcc_lo, v34, 0x80000000
	v_cmp_eq_u32_e32 vcc_lo, 1, v11
	s_waitcnt lgkmcnt(0)
	v_and_b32_e32 v13, 1, v13
	s_delay_alu instid0(VALU_DEP_1) | instskip(SKIP_1) | instid1(VALU_DEP_2)
	v_cndmask_b32_e64 v11, v13, 1, vcc_lo
	v_ctz_i32_b32_e32 v13, v26
	v_dual_mov_b32 v26, v10 :: v_dual_and_b32 v47, 0xffff, v11
	s_delay_alu instid0(VALU_DEP_2) | instskip(NEXT) | instid1(VALU_DEP_2)
	v_cmp_gt_u32_e32 vcc_lo, v35, v13
	v_cmp_gt_u64_e64 s10, s[20:21], v[26:27]
	v_cndmask_b32_e32 v11, v11, v27, vcc_lo
	s_delay_alu instid0(VALU_DEP_2) | instskip(NEXT) | instid1(VALU_DEP_2)
	v_cndmask_b32_e64 v26, 0, v46, s10
	v_and_b32_e32 v46, 1, v11
	v_cmp_eq_u16_e64 s10, 0, v11
	s_delay_alu instid0(VALU_DEP_3) | instskip(SKIP_1) | instid1(VALU_DEP_4)
	v_cndmask_b32_e64 v26, v26, 0, vcc_lo
	v_cndmask_b32_e32 v47, v47, v27, vcc_lo
	v_cmp_eq_u32_e32 vcc_lo, 1, v46
	s_delay_alu instid0(VALU_DEP_3)
	v_add_nc_u32_e32 v10, v26, v10
	ds_bpermute_b32 v27, v36, v47
	ds_bpermute_b32 v26, v36, v10
	s_waitcnt lgkmcnt(1)
	v_and_b32_e32 v27, 1, v27
	s_waitcnt lgkmcnt(0)
	v_cndmask_b32_e64 v26, 0, v26, s10
	s_delay_alu instid0(VALU_DEP_2) | instskip(SKIP_1) | instid1(VALU_DEP_2)
	v_cndmask_b32_e64 v27, v27, 1, vcc_lo
	v_cmp_gt_u32_e32 vcc_lo, v37, v13
	v_and_b32_e32 v46, 0xffff, v27
	s_delay_alu instid0(VALU_DEP_4) | instskip(SKIP_1) | instid1(VALU_DEP_3)
	v_cndmask_b32_e64 v26, v26, 0, vcc_lo
	v_cndmask_b32_e32 v11, v27, v11, vcc_lo
	v_cndmask_b32_e32 v27, v46, v47, vcc_lo
	s_delay_alu instid0(VALU_DEP_3) | instskip(NEXT) | instid1(VALU_DEP_3)
	v_add_nc_u32_e32 v10, v26, v10
	v_and_b32_e32 v47, 1, v11
	ds_bpermute_b32 v46, v38, v27
	ds_bpermute_b32 v26, v38, v10
	v_cmp_eq_u32_e32 vcc_lo, 1, v47
	s_waitcnt lgkmcnt(1)
	v_and_b32_e32 v46, 1, v46
	s_delay_alu instid0(VALU_DEP_1) | instskip(SKIP_1) | instid1(VALU_DEP_2)
	v_cndmask_b32_e64 v46, v46, 1, vcc_lo
	v_cmp_eq_u16_e32 vcc_lo, 0, v11
	v_and_b32_e32 v47, 0xffff, v46
	s_waitcnt lgkmcnt(0)
	v_cndmask_b32_e32 v26, 0, v26, vcc_lo
	v_cmp_gt_u32_e32 vcc_lo, v39, v13
	s_delay_alu instid0(VALU_DEP_2) | instskip(NEXT) | instid1(VALU_DEP_1)
	v_cndmask_b32_e64 v26, v26, 0, vcc_lo
	v_dual_cndmask_b32 v27, v47, v27 :: v_dual_add_nc_u32 v10, v26, v10
	ds_bpermute_b32 v26, v40, v27
	v_cndmask_b32_e32 v11, v46, v11, vcc_lo
	ds_bpermute_b32 v46, v40, v10
	s_waitcnt lgkmcnt(1)
	v_and_b32_e32 v26, 1, v26
	v_and_b32_e32 v47, 1, v11
	v_cmp_eq_u16_e32 vcc_lo, 0, v11
	s_waitcnt lgkmcnt(0)
	v_cndmask_b32_e32 v46, 0, v46, vcc_lo
	s_delay_alu instid0(VALU_DEP_3) | instskip(SKIP_2) | instid1(VALU_DEP_4)
	v_cmp_eq_u32_e32 vcc_lo, 1, v47
	v_cndmask_b32_e64 v26, v26, 1, vcc_lo
	v_cmp_gt_u32_e32 vcc_lo, v41, v13
	v_cndmask_b32_e64 v46, v46, 0, vcc_lo
	s_delay_alu instid0(VALU_DEP_3) | instskip(NEXT) | instid1(VALU_DEP_2)
	v_dual_cndmask_b32 v11, v26, v11 :: v_dual_and_b32 v26, 0xffff, v26
	v_add_nc_u32_e32 v10, v46, v10
	s_delay_alu instid0(VALU_DEP_2) | instskip(NEXT) | instid1(VALU_DEP_3)
	v_and_b32_e32 v46, 0xff, v11
	v_cndmask_b32_e32 v26, v26, v27, vcc_lo
	v_and_b32_e32 v47, 1, v11
	ds_bpermute_b32 v27, v44, v10
	v_cmp_eq_u16_e32 vcc_lo, 0, v46
	ds_bpermute_b32 v26, v44, v26
	s_waitcnt lgkmcnt(1)
	v_cndmask_b32_e32 v27, 0, v27, vcc_lo
	v_cmp_eq_u32_e32 vcc_lo, 1, v47
	s_waitcnt lgkmcnt(0)
	v_cndmask_b32_e64 v26, v26, 1, vcc_lo
	v_cmp_gt_u32_e32 vcc_lo, v45, v13
	s_delay_alu instid0(VALU_DEP_2) | instskip(SKIP_1) | instid1(VALU_DEP_2)
	v_dual_cndmask_b32 v11, v26, v11 :: v_dual_and_b32 v26, 0xff, v42
	v_cndmask_b32_e64 v13, v27, 0, vcc_lo
	v_and_b32_e32 v11, 1, v11
	s_delay_alu instid0(VALU_DEP_3) | instskip(NEXT) | instid1(VALU_DEP_3)
	v_cmp_eq_u16_e32 vcc_lo, 0, v26
	v_add_nc_u32_e32 v10, v13, v10
	v_and_b32_e32 v13, 1, v42
	s_delay_alu instid0(VALU_DEP_2) | instskip(NEXT) | instid1(VALU_DEP_2)
	v_cndmask_b32_e32 v10, 0, v10, vcc_lo
	v_cmp_eq_u32_e32 vcc_lo, 1, v13
	s_delay_alu instid0(VALU_DEP_2)
	v_add_nc_u32_e32 v10, v10, v43
	v_cndmask_b32_e64 v11, v11, 1, vcc_lo
.LBB105_91:                             ; =>This Loop Header: Depth=1
                                        ;     Child Loop BB105_94 Depth 2
	s_delay_alu instid0(VALU_DEP_1) | instskip(NEXT) | instid1(VALU_DEP_2)
	v_dual_mov_b32 v43, v10 :: v_dual_and_b32 v12, 0xff, v12
	v_mov_b32_e32 v42, v11
	s_delay_alu instid0(VALU_DEP_2) | instskip(SKIP_2) | instid1(VALU_DEP_1)
	v_cmp_ne_u16_e32 vcc_lo, 2, v12
	v_cndmask_b32_e64 v12, 0, 1, vcc_lo
	;;#ASMSTART
	;;#ASMEND
	v_cmp_ne_u32_e32 vcc_lo, 0, v12
	s_cmp_lg_u32 vcc_lo, exec_lo
	s_cbranch_scc1 .LBB105_96
; %bb.92:                               ;   in Loop: Header=BB105_91 Depth=1
	v_lshlrev_b64 v[10:11], 4, v[24:25]
	s_mov_b32 s10, exec_lo
	s_delay_alu instid0(VALU_DEP_1) | instskip(NEXT) | instid1(VALU_DEP_2)
	v_add_co_u32 v26, vcc_lo, s16, v10
	v_add_co_ci_u32_e32 v27, vcc_lo, s17, v11, vcc_lo
	;;#ASMSTART
	global_load_dwordx4 v[10:13], v[26:27] off glc	
s_waitcnt vmcnt(0)
	;;#ASMEND
	v_and_b32_e32 v13, 0xff, v12
	s_delay_alu instid0(VALU_DEP_1)
	v_cmpx_eq_u16_e32 0, v13
	s_cbranch_execz .LBB105_90
; %bb.93:                               ;   in Loop: Header=BB105_91 Depth=1
	s_mov_b32 s23, 0
.LBB105_94:                             ;   Parent Loop BB105_91 Depth=1
                                        ; =>  This Inner Loop Header: Depth=2
	;;#ASMSTART
	global_load_dwordx4 v[10:13], v[26:27] off glc	
s_waitcnt vmcnt(0)
	;;#ASMEND
	v_and_b32_e32 v13, 0xff, v12
	s_delay_alu instid0(VALU_DEP_1) | instskip(SKIP_1) | instid1(SALU_CYCLE_1)
	v_cmp_ne_u16_e32 vcc_lo, 0, v13
	s_or_b32 s23, vcc_lo, s23
	s_and_not1_b32 exec_lo, exec_lo, s23
	s_cbranch_execnz .LBB105_94
; %bb.95:                               ;   in Loop: Header=BB105_91 Depth=1
	s_or_b32 exec_lo, exec_lo, s23
	s_branch .LBB105_90
.LBB105_96:                             ;   in Loop: Header=BB105_91 Depth=1
                                        ; implicit-def: $vgpr11
                                        ; implicit-def: $vgpr10
                                        ; implicit-def: $vgpr12
	s_cbranch_execz .LBB105_91
; %bb.97:
	s_and_saveexec_b32 s10, s9
	s_cbranch_execz .LBB105_99
; %bb.98:
	s_and_b32 s20, s22, 0xff
	s_mov_b32 s21, 0
	s_cmp_eq_u32 s20, 0
	v_and_b32_e32 v11, 1, v42
	s_cselect_b32 vcc_lo, -1, 0
	s_bitcmp1_b32 s22, 0
	v_cndmask_b32_e32 v10, 0, v43, vcc_lo
	s_cselect_b32 s22, -1, 0
	s_add_i32 s20, s15, 32
	v_mov_b32_e32 v12, 0
	s_lshl_b64 s[20:21], s[20:21], 4
	v_add_nc_u32_e32 v9, v10, v9
	s_add_u32 s20, s16, s20
	s_addc_u32 s21, s17, s21
	v_cndmask_b32_e64 v10, v11, 1, s22
	v_mov_b32_e32 v25, s21
	v_dual_mov_b32 v11, 2 :: v_dual_mov_b32 v24, s20
	;;#ASMSTART
	global_store_dwordx4 v[24:25], v[9:12] off	
s_waitcnt vmcnt(0)
	;;#ASMEND
.LBB105_99:
	s_or_b32 exec_lo, exec_lo, s10
	v_cmp_eq_u32_e32 vcc_lo, 0, v0
	s_and_b32 exec_lo, exec_lo, vcc_lo
	s_cbranch_execz .LBB105_101
; %bb.100:
	v_mov_b32_e32 v9, 0
	ds_store_b32 v9, v43 offset:56
	ds_store_b8 v9, v42 offset:60
.LBB105_101:
	s_or_b32 exec_lo, exec_lo, s11
	s_waitcnt lgkmcnt(0)
	v_cndmask_b32_e64 v10, v32, v30, s9
	v_mov_b32_e32 v9, 0
	s_barrier
	buffer_gl0_inv
	v_and_b32_e32 v10, 0xff, v10
	ds_load_b32 v11, v9 offset:56
	v_cndmask_b32_e64 v12, v31, v29, s9
	v_cmp_eq_u16_e32 vcc_lo, 0, v10
	s_waitcnt lgkmcnt(0)
	v_cndmask_b32_e32 v10, 0, v11, vcc_lo
	v_cmp_eq_u32_e32 vcc_lo, 0, v0
	s_delay_alu instid0(VALU_DEP_2) | instskip(SKIP_1) | instid1(VALU_DEP_2)
	v_add_nc_u32_e32 v12, v10, v12
	v_and_b32_e32 v10, 0xff, v15
	v_cndmask_b32_e32 v25, v12, v11, vcc_lo
	s_delay_alu instid0(VALU_DEP_2) | instskip(NEXT) | instid1(VALU_DEP_2)
	v_cmp_eq_u64_e32 vcc_lo, 0, v[9:10]
	v_cndmask_b32_e32 v9, 0, v25, vcc_lo
	s_delay_alu instid0(VALU_DEP_1) | instskip(NEXT) | instid1(VALU_DEP_1)
	v_add_nc_u32_e32 v12, v9, v14
	v_cndmask_b32_e64 v9, 0, v12, s2
	s_delay_alu instid0(VALU_DEP_1) | instskip(NEXT) | instid1(VALU_DEP_1)
	v_add_nc_u32_e32 v13, v9, v16
	v_cndmask_b32_e64 v9, 0, v13, s3
	s_delay_alu instid0(VALU_DEP_1) | instskip(NEXT) | instid1(VALU_DEP_1)
	v_add_nc_u32_e32 v24, v9, v18
	v_cndmask_b32_e64 v9, 0, v24, s4
	s_delay_alu instid0(VALU_DEP_1) | instskip(NEXT) | instid1(VALU_DEP_1)
	v_add_nc_u32_e32 v26, v9, v20
	v_cndmask_b32_e64 v9, 0, v26, s5
	s_delay_alu instid0(VALU_DEP_1) | instskip(NEXT) | instid1(VALU_DEP_1)
	v_add_nc_u32_e32 v27, v9, v1
	v_cndmask_b32_e64 v9, 0, v27, s6
	s_delay_alu instid0(VALU_DEP_1) | instskip(NEXT) | instid1(VALU_DEP_1)
	v_add_nc_u32_e32 v29, v9, v3
	v_cndmask_b32_e64 v9, 0, v29, s7
	s_delay_alu instid0(VALU_DEP_1) | instskip(NEXT) | instid1(VALU_DEP_1)
	v_add_nc_u32_e32 v30, v9, v5
	v_cndmask_b32_e64 v9, 0, v30, s8
	s_delay_alu instid0(VALU_DEP_1)
	v_add_nc_u32_e32 v31, v9, v7
	s_branch .LBB105_124
.LBB105_102:
                                        ; implicit-def: $vgpr25
                                        ; implicit-def: $vgpr12
                                        ; implicit-def: $vgpr13
                                        ; implicit-def: $vgpr24
                                        ; implicit-def: $vgpr26
                                        ; implicit-def: $vgpr27
                                        ; implicit-def: $vgpr29
                                        ; implicit-def: $vgpr30
                                        ; implicit-def: $vgpr31
	s_cbranch_execz .LBB105_124
; %bb.103:
	s_cmp_eq_u64 s[28:29], 0
	s_cbranch_scc1 .LBB105_105
; %bb.104:
	s_load_b32 s33, s[28:29], 0x0
.LBB105_105:
	s_mov_b32 s10, 0
	s_mov_b32 s11, 1
	v_and_b32_e32 v10, 1, v2
	v_cmp_gt_u64_e32 vcc_lo, s[10:11], v[16:17]
	v_cmp_gt_u64_e64 s2, s[10:11], v[18:19]
	v_cmp_gt_u64_e64 s5, s[10:11], v[3:4]
	;; [unrolled: 1-line block ×3, first 2 shown]
	v_and_b32_e32 v12, 1, v4
	v_or3_b32 v4, v23, v21, v19
	s_delay_alu instid0(VALU_DEP_1) | instskip(NEXT) | instid1(VALU_DEP_1)
	v_dual_cndmask_b32 v9, 0, v14 :: v_dual_and_b32 v4, 1, v4
	v_add_nc_u32_e32 v11, v9, v16
	v_mov_b32_e32 v9, 0
	v_and_b32_e32 v25, 1, v8
	v_and_b32_e32 v27, 1, v6
	;; [unrolled: 1-line block ×3, first 2 shown]
	v_cndmask_b32_e64 v13, 0, v11, s2
	v_mov_b32_e32 v26, v9
	v_cmp_ne_u64_e64 s3, 0, v[9:10]
	v_mov_b32_e32 v11, v9
	v_mov_b32_e32 v24, v9
	v_add_nc_u32_e32 v13, v13, v18
	v_cmp_eq_u32_e64 s7, 1, v4
	v_cmp_eq_u32_e64 s9, 1, v6
	v_cndmask_b32_e64 v9, 0, 1, s3
	v_cmp_gt_u64_e64 s3, s[10:11], v[20:21]
	s_delay_alu instid0(VALU_DEP_1) | instskip(NEXT) | instid1(VALU_DEP_1)
	v_cndmask_b32_e64 v10, 0, v13, s3
	v_add_nc_u32_e32 v10, v10, v20
	v_cmp_ne_u64_e64 s4, 0, v[11:12]
	s_delay_alu instid0(VALU_DEP_1) | instskip(SKIP_1) | instid1(VALU_DEP_2)
	v_cndmask_b32_e64 v11, 0, 1, s4
	v_cmp_ne_u64_e64 s4, 0, v[26:27]
	v_lshlrev_b16 v11, 1, v11
	s_delay_alu instid0(VALU_DEP_2) | instskip(SKIP_1) | instid1(VALU_DEP_3)
	v_cndmask_b32_e64 v12, 0, 1, s4
	v_cmp_ne_u64_e64 s4, 0, v[24:25]
	v_or_b32_e32 v9, v9, v11
	s_delay_alu instid0(VALU_DEP_2) | instskip(SKIP_1) | instid1(VALU_DEP_3)
	v_cndmask_b32_e64 v13, 0, 1, s4
	v_cmp_gt_u64_e64 s4, s[10:11], v[1:2]
	v_and_b32_e32 v9, 3, v9
	s_delay_alu instid0(VALU_DEP_2) | instskip(SKIP_2) | instid1(VALU_DEP_3)
	v_cndmask_b32_e64 v2, 0, v10, s4
	v_lshlrev_b16 v10, 2, v12
	v_lshlrev_b16 v12, 3, v13
	v_add_nc_u32_e32 v2, v2, v1
	s_delay_alu instid0(VALU_DEP_2) | instskip(NEXT) | instid1(VALU_DEP_2)
	v_or_b32_e32 v10, v12, v10
	v_cndmask_b32_e64 v2, 0, v2, s5
	s_delay_alu instid0(VALU_DEP_2) | instskip(NEXT) | instid1(VALU_DEP_2)
	v_or_b32_e32 v9, v9, v10
	v_add_nc_u32_e32 v2, v2, v3
	s_delay_alu instid0(VALU_DEP_2) | instskip(NEXT) | instid1(VALU_DEP_2)
	v_and_b32_e32 v9, 15, v9
	v_cndmask_b32_e64 v2, 0, v2, s6
	s_delay_alu instid0(VALU_DEP_2) | instskip(NEXT) | instid1(VALU_DEP_2)
	v_cmp_ne_u16_e64 s8, 0, v9
	v_add_nc_u32_e32 v2, v2, v5
	s_delay_alu instid0(VALU_DEP_2) | instskip(SKIP_2) | instid1(SALU_CYCLE_1)
	s_or_b32 s8, s7, s8
	v_cmp_gt_u64_e64 s7, s[10:11], v[7:8]
	s_or_b32 s8, s8, s9
	v_cndmask_b32_e64 v4, v15, 1, s8
	v_cmp_gt_u64_e64 s8, s[10:11], v[22:23]
	s_mov_b32 s10, exec_lo
	s_delay_alu instid0(VALU_DEP_3) | instskip(NEXT) | instid1(VALU_DEP_3)
	v_cndmask_b32_e64 v2, 0, v2, s7
	v_and_b32_e32 v6, 0xff, v4
	v_and_b32_e32 v9, 1, v4
	s_delay_alu instid0(VALU_DEP_3) | instskip(NEXT) | instid1(VALU_DEP_3)
	v_add_nc_u32_e32 v2, v2, v7
	v_mov_b32_dpp v8, v6 row_shr:1 row_mask:0xf bank_mask:0xf
	s_delay_alu instid0(VALU_DEP_2) | instskip(NEXT) | instid1(VALU_DEP_4)
	v_cndmask_b32_e64 v2, 0, v2, s8
	v_cmp_eq_u32_e64 s8, 1, v9
	s_delay_alu instid0(VALU_DEP_3) | instskip(SKIP_1) | instid1(VALU_DEP_4)
	v_and_b32_e32 v10, 1, v8
	v_and_b32_e32 v8, 15, v28
	v_add_nc_u32_e32 v2, v2, v22
	s_delay_alu instid0(VALU_DEP_3) | instskip(SKIP_1) | instid1(VALU_DEP_3)
	v_cndmask_b32_e64 v10, v10, 1, s8
	v_cmp_eq_u16_e64 s8, 0, v6
	v_mov_b32_dpp v11, v2 row_shr:1 row_mask:0xf bank_mask:0xf
	s_delay_alu instid0(VALU_DEP_1) | instskip(SKIP_2) | instid1(VALU_DEP_2)
	v_cndmask_b32_e64 v9, 0, v11, s8
	v_cmp_eq_u32_e64 s8, 0, v8
	v_and_b32_e32 v11, 0xffff, v10
	v_cndmask_b32_e64 v9, v9, 0, s8
	s_delay_alu instid0(VALU_DEP_2) | instskip(SKIP_1) | instid1(VALU_DEP_3)
	v_cndmask_b32_e64 v6, v11, v6, s8
	v_cndmask_b32_e64 v4, v10, v4, s8
	v_add_nc_u32_e32 v2, v9, v2
	s_delay_alu instid0(VALU_DEP_3) | instskip(SKIP_1) | instid1(VALU_DEP_3)
	v_mov_b32_dpp v12, v6 row_shr:2 row_mask:0xf bank_mask:0xf
	v_mov_b32_e32 v9, v6
	v_mov_b32_dpp v11, v2 row_shr:2 row_mask:0xf bank_mask:0xf
	v_cmpx_lt_u32_e32 1, v8
; %bb.106:
	v_and_b32_e32 v4, 1, v10
	v_cmp_eq_u16_e64 s8, 0, v10
	v_and_b32_e32 v6, 1, v12
	s_delay_alu instid0(VALU_DEP_2) | instskip(NEXT) | instid1(VALU_DEP_4)
	v_cndmask_b32_e64 v9, 0, v11, s8
	v_cmp_eq_u32_e64 s8, 1, v4
	s_delay_alu instid0(VALU_DEP_2) | instskip(NEXT) | instid1(VALU_DEP_2)
	v_add_nc_u32_e32 v2, v9, v2
	v_cndmask_b32_e64 v4, v6, 1, s8
	s_delay_alu instid0(VALU_DEP_1)
	v_dual_mov_b32 v6, v4 :: v_dual_and_b32 v9, 0xffff, v4
; %bb.107:
	s_or_b32 exec_lo, exec_lo, s10
	s_delay_alu instid0(VALU_DEP_3) | instskip(NEXT) | instid1(VALU_DEP_2)
	v_mov_b32_dpp v10, v2 row_shr:4 row_mask:0xf bank_mask:0xf
	v_mov_b32_dpp v11, v9 row_shr:4 row_mask:0xf bank_mask:0xf
	s_mov_b32 s9, exec_lo
	v_cmpx_lt_u32_e32 3, v8
; %bb.108:
	v_and_b32_e32 v4, 1, v6
	v_cmp_eq_u16_e64 s8, 0, v6
	v_and_b32_e32 v9, 1, v11
	s_delay_alu instid0(VALU_DEP_2) | instskip(NEXT) | instid1(VALU_DEP_4)
	v_cndmask_b32_e64 v6, 0, v10, s8
	v_cmp_eq_u32_e64 s8, 1, v4
	s_delay_alu instid0(VALU_DEP_2) | instskip(NEXT) | instid1(VALU_DEP_2)
	v_add_nc_u32_e32 v2, v6, v2
	v_cndmask_b32_e64 v4, v9, 1, s8
	s_delay_alu instid0(VALU_DEP_1)
	v_dual_mov_b32 v6, v4 :: v_dual_and_b32 v9, 0xffff, v4
; %bb.109:
	s_or_b32 exec_lo, exec_lo, s9
	s_delay_alu instid0(VALU_DEP_3) | instskip(NEXT) | instid1(VALU_DEP_2)
	v_mov_b32_dpp v10, v2 row_shr:8 row_mask:0xf bank_mask:0xf
	v_mov_b32_dpp v11, v9 row_shr:8 row_mask:0xf bank_mask:0xf
	s_mov_b32 s9, exec_lo
	v_cmpx_lt_u32_e32 7, v8
; %bb.110:
	v_and_b32_e32 v4, 1, v6
	v_cmp_eq_u16_e64 s8, 0, v6
	v_and_b32_e32 v8, 1, v11
	s_delay_alu instid0(VALU_DEP_2) | instskip(NEXT) | instid1(VALU_DEP_4)
	v_cndmask_b32_e64 v6, 0, v10, s8
	v_cmp_eq_u32_e64 s8, 1, v4
	s_delay_alu instid0(VALU_DEP_2) | instskip(NEXT) | instid1(VALU_DEP_2)
	v_add_nc_u32_e32 v2, v6, v2
	v_cndmask_b32_e64 v4, v8, 1, s8
	s_delay_alu instid0(VALU_DEP_1)
	v_dual_mov_b32 v6, v4 :: v_dual_and_b32 v9, 0xffff, v4
; %bb.111:
	s_or_b32 exec_lo, exec_lo, s9
	ds_swizzle_b32 v8, v2 offset:swizzle(BROADCAST,32,15)
	ds_swizzle_b32 v9, v9 offset:swizzle(BROADCAST,32,15)
	v_cmp_eq_u16_e64 s8, 0, v6
	v_and_b32_e32 v6, 1, v6
	v_bfe_i32 v10, v28, 4, 1
	v_and_b32_e32 v11, 16, v28
	s_mov_b32 s9, exec_lo
	s_waitcnt lgkmcnt(0)
	v_cndmask_b32_e64 v8, 0, v8, s8
	v_and_b32_e32 v9, 1, v9
	v_cmp_eq_u32_e64 s8, 1, v6
	v_lshrrev_b32_e32 v6, 5, v0
	s_delay_alu instid0(VALU_DEP_4) | instskip(SKIP_1) | instid1(VALU_DEP_4)
	v_and_b32_e32 v8, v10, v8
	v_or_b32_e32 v10, 31, v0
	v_cndmask_b32_e64 v9, v9, 1, s8
	v_cmp_eq_u32_e64 s8, 0, v11
	s_delay_alu instid0(VALU_DEP_4) | instskip(NEXT) | instid1(VALU_DEP_2)
	v_add_nc_u32_e32 v2, v8, v2
	v_cndmask_b32_e64 v4, v9, v4, s8
	v_cmpx_eq_u32_e64 v10, v0
	s_cbranch_execz .LBB105_113
; %bb.112:
	v_lshlrev_b32_e32 v8, 3, v6
	ds_store_b32 v8, v2
	ds_store_b8 v8, v4 offset:4
.LBB105_113:
	s_or_b32 exec_lo, exec_lo, s9
	s_delay_alu instid0(SALU_CYCLE_1)
	s_mov_b32 s10, exec_lo
	s_waitcnt lgkmcnt(0)
	s_barrier
	buffer_gl0_inv
	v_cmpx_gt_u32_e32 8, v0
	s_cbranch_execz .LBB105_119
; %bb.114:
	v_lshlrev_b32_e32 v10, 3, v0
	v_and_b32_e32 v11, 7, v28
	s_mov_b32 s9, exec_lo
	ds_load_b64 v[8:9], v10
	s_waitcnt lgkmcnt(0)
	v_dual_mov_b32 v13, v9 :: v_dual_and_b32 v12, 0xffffff00, v9
	v_mov_b32_dpp v17, v8 row_shr:1 row_mask:0xf bank_mask:0xf
	v_mov_b32_dpp v19, v9 row_shr:1 row_mask:0xf bank_mask:0xf
	v_cmpx_ne_u32_e32 0, v11
; %bb.115:
	v_and_b32_e32 v13, 1, v9
	s_delay_alu instid0(VALU_DEP_3) | instskip(SKIP_1) | instid1(VALU_DEP_3)
	v_and_b32_e32 v19, 1, v19
	v_and_b32_e32 v21, 0xff, v9
	v_cmp_eq_u32_e64 s8, 1, v13
	s_delay_alu instid0(VALU_DEP_1) | instskip(NEXT) | instid1(VALU_DEP_3)
	v_cndmask_b32_e64 v9, v19, 1, s8
	v_cmp_eq_u16_e64 s8, 0, v21
	s_delay_alu instid0(VALU_DEP_1) | instskip(NEXT) | instid1(VALU_DEP_3)
	v_cndmask_b32_e64 v13, 0, v17, s8
	v_and_b32_e32 v17, 0xffff, v9
	s_delay_alu instid0(VALU_DEP_2) | instskip(NEXT) | instid1(VALU_DEP_2)
	v_add_nc_u32_e32 v8, v13, v8
	v_or_b32_e32 v13, v12, v17
; %bb.116:
	s_or_b32 exec_lo, exec_lo, s9
	s_delay_alu instid0(VALU_DEP_2) | instskip(NEXT) | instid1(VALU_DEP_2)
	v_mov_b32_dpp v17, v8 row_shr:2 row_mask:0xf bank_mask:0xf
	v_mov_b32_dpp v21, v13 row_shr:2 row_mask:0xf bank_mask:0xf
	v_mov_b32_e32 v19, v13
	s_mov_b32 s9, exec_lo
	v_cmpx_lt_u32_e32 1, v11
; %bb.117:
	v_and_b32_e32 v9, 1, v13
	v_and_b32_e32 v19, 1, v21
	;; [unrolled: 1-line block ×3, first 2 shown]
	s_delay_alu instid0(VALU_DEP_3) | instskip(NEXT) | instid1(VALU_DEP_1)
	v_cmp_eq_u32_e64 s8, 1, v9
	v_cndmask_b32_e64 v9, v19, 1, s8
	s_delay_alu instid0(VALU_DEP_3) | instskip(NEXT) | instid1(VALU_DEP_2)
	v_cmp_eq_u16_e64 s8, 0, v13
	v_mov_b32_e32 v19, v9
	s_delay_alu instid0(VALU_DEP_2) | instskip(SKIP_1) | instid1(VALU_DEP_2)
	v_cndmask_b32_e64 v13, 0, v17, s8
	v_and_b32_e32 v17, 0xffff, v9
	v_add_nc_u32_e32 v8, v13, v8
	s_delay_alu instid0(VALU_DEP_2)
	v_or_b32_e32 v13, v12, v17
; %bb.118:
	s_or_b32 exec_lo, exec_lo, s9
	s_delay_alu instid0(VALU_DEP_1) | instskip(SKIP_2) | instid1(VALU_DEP_3)
	v_mov_b32_dpp v12, v13 row_shr:4 row_mask:0xf bank_mask:0xf
	v_and_b32_e32 v17, 1, v19
	v_and_b32_e32 v13, 0xff, v19
	;; [unrolled: 1-line block ×3, first 2 shown]
	s_delay_alu instid0(VALU_DEP_3) | instskip(NEXT) | instid1(VALU_DEP_3)
	v_cmp_eq_u32_e64 s9, 1, v17
	v_cmp_eq_u16_e64 s8, 0, v13
	s_delay_alu instid0(VALU_DEP_2) | instskip(SKIP_2) | instid1(VALU_DEP_2)
	v_cndmask_b32_e64 v12, v12, 1, s9
	v_cmp_lt_u32_e64 s9, 3, v11
	v_mov_b32_dpp v11, v8 row_shr:4 row_mask:0xf bank_mask:0xf
	s_and_b32 s8, s9, s8
	s_delay_alu instid0(VALU_DEP_3) | instskip(NEXT) | instid1(VALU_DEP_2)
	v_cndmask_b32_e64 v9, v9, v12, s9
	v_cndmask_b32_e64 v11, 0, v11, s8
	s_delay_alu instid0(VALU_DEP_1)
	v_add_nc_u32_e32 v8, v11, v8
	ds_store_b32 v10, v8
	ds_store_b8 v10, v9 offset:4
.LBB105_119:
	s_or_b32 exec_lo, exec_lo, s10
	v_mov_b32_e32 v8, s33
	s_mov_b32 s9, exec_lo
	s_waitcnt lgkmcnt(0)
	s_barrier
	buffer_gl0_inv
	v_cmpx_lt_u32_e32 31, v0
	s_cbranch_execz .LBB105_121
; %bb.120:
	v_lshl_add_u32 v6, v6, 3, -8
	ds_load_u8 v8, v6 offset:4
	ds_load_b32 v6, v6
	s_waitcnt lgkmcnt(1)
	v_cmp_eq_u16_e64 s8, 0, v8
	s_delay_alu instid0(VALU_DEP_1) | instskip(SKIP_1) | instid1(VALU_DEP_1)
	v_cndmask_b32_e64 v8, 0, s33, s8
	s_waitcnt lgkmcnt(0)
	v_add_nc_u32_e32 v8, v8, v6
.LBB105_121:
	s_or_b32 exec_lo, exec_lo, s9
	v_and_b32_e32 v4, 0xff, v4
	v_add_nc_u32_e32 v6, -1, v28
	v_and_b32_e32 v9, 0xff, v15
	s_delay_alu instid0(VALU_DEP_3) | instskip(NEXT) | instid1(VALU_DEP_1)
	v_cmp_eq_u16_e64 s8, 0, v4
	v_cndmask_b32_e64 v4, 0, v8, s8
	s_delay_alu instid0(VALU_DEP_4) | instskip(NEXT) | instid1(VALU_DEP_2)
	v_cmp_gt_i32_e64 s8, 0, v6
	v_add_nc_u32_e32 v2, v4, v2
	s_delay_alu instid0(VALU_DEP_2) | instskip(SKIP_1) | instid1(VALU_DEP_2)
	v_cndmask_b32_e64 v6, v6, v28, s8
	v_cmp_eq_u32_e64 s8, 0, v28
	v_lshlrev_b32_e32 v4, 2, v6
	ds_bpermute_b32 v2, v4, v2
	s_waitcnt lgkmcnt(0)
	v_cndmask_b32_e64 v25, v2, v8, s8
	v_mov_b32_e32 v8, 0
	v_cmp_eq_u32_e64 s8, 0, v0
	s_delay_alu instid0(VALU_DEP_2) | instskip(NEXT) | instid1(VALU_DEP_2)
	v_cmp_eq_u64_e64 s9, 0, v[8:9]
	v_cndmask_b32_e64 v2, v25, s33, s8
	s_delay_alu instid0(VALU_DEP_1) | instskip(NEXT) | instid1(VALU_DEP_1)
	v_cndmask_b32_e64 v2, 0, v2, s9
	v_add_nc_u32_e32 v12, v2, v14
	s_delay_alu instid0(VALU_DEP_1) | instskip(NEXT) | instid1(VALU_DEP_1)
	v_cndmask_b32_e32 v2, 0, v12, vcc_lo
	v_add_nc_u32_e32 v13, v2, v16
	s_delay_alu instid0(VALU_DEP_1) | instskip(NEXT) | instid1(VALU_DEP_1)
	v_cndmask_b32_e64 v2, 0, v13, s2
	v_add_nc_u32_e32 v24, v2, v18
	s_delay_alu instid0(VALU_DEP_1) | instskip(NEXT) | instid1(VALU_DEP_1)
	v_cndmask_b32_e64 v2, 0, v24, s3
	;; [unrolled: 3-line block ×5, first 2 shown]
	v_add_nc_u32_e32 v30, v1, v5
	s_delay_alu instid0(VALU_DEP_1)
	v_cndmask_b32_e64 v1, 0, v30, s7
	s_and_saveexec_b32 s2, s8
	s_cbranch_execz .LBB105_123
; %bb.122:
	ds_load_u8 v2, v8 offset:60
	ds_load_b32 v5, v8 offset:56
	v_dual_mov_b32 v25, s33 :: v_dual_mov_b32 v4, 2
	s_waitcnt lgkmcnt(1)
	v_and_b32_e32 v3, 0xffff, v2
	v_cmp_eq_u16_e32 vcc_lo, 0, v2
	s_and_b32 s3, vcc_lo, exec_lo
	s_cselect_b32 s3, s33, 0
	s_add_u32 s4, s16, 0x200
	s_addc_u32 s5, s17, 0
	s_waitcnt lgkmcnt(0)
	v_dual_mov_b32 v5, v8 :: v_dual_add_nc_u32 v2, s3, v5
	v_dual_mov_b32 v9, s5 :: v_dual_mov_b32 v8, s4
	;;#ASMSTART
	global_store_dwordx4 v[8:9], v[2:5] off	
s_waitcnt vmcnt(0)
	;;#ASMEND
.LBB105_123:
	s_or_b32 exec_lo, exec_lo, s2
	s_delay_alu instid0(VALU_DEP_1)
	v_add_nc_u32_e32 v31, v1, v7
.LBB105_124:
	s_load_b64 s[0:1], s[0:1], 0x18
	s_lshl_b64 s[2:3], s[12:13], 3
	v_mul_u32_u24_e32 v15, 36, v0
	v_lshlrev_b32_e32 v16, 5, v0
	v_lshlrev_b32_e32 v14, 3, v0
	s_waitcnt lgkmcnt(0)
	s_add_u32 s0, s0, s2
	s_addc_u32 s1, s1, s3
	s_and_b32 vcc_lo, exec_lo, s19
	s_cbranch_vccz .LBB105_142
; %bb.125:
	v_sub_nc_u32_e32 v1, v15, v16
	s_barrier
	buffer_gl0_inv
	ds_store_2addr_b32 v15, v25, v12 offset1:1
	ds_store_2addr_b32 v15, v13, v24 offset0:2 offset1:3
	ds_store_2addr_b32 v15, v26, v27 offset0:4 offset1:5
	;; [unrolled: 1-line block ×3, first 2 shown]
	ds_store_b32 v15, v31 offset:32
	s_waitcnt lgkmcnt(0)
	s_barrier
	buffer_gl0_inv
	ds_load_2addr_stride64_b32 v[10:11], v1 offset0:4 offset1:8
	ds_load_2addr_stride64_b32 v[8:9], v1 offset0:12 offset1:16
	;; [unrolled: 1-line block ×4, first 2 shown]
	v_add_co_u32 v4, s2, s0, v14
	v_mov_b32_e32 v1, 0
	v_add_co_ci_u32_e64 v5, null, s1, 0, s2
	s_add_i32 s14, s14, s18
	s_mov_b32 s2, exec_lo
	v_cmpx_gt_u32_e64 s14, v0
	s_cbranch_execz .LBB105_127
; %bb.126:
	v_sub_nc_u32_e32 v17, 0, v16
	s_delay_alu instid0(VALU_DEP_1)
	v_add_nc_u32_e32 v17, v15, v17
	ds_load_b32 v17, v17
	s_waitcnt lgkmcnt(0)
	v_cvt_f64_i32_e32 v[17:18], v17
	global_store_b64 v[4:5], v[17:18], off
.LBB105_127:
	s_or_b32 exec_lo, exec_lo, s2
	v_or_b32_e32 v17, 0x100, v0
	s_mov_b32 s2, exec_lo
	s_delay_alu instid0(VALU_DEP_1)
	v_cmpx_gt_u32_e64 s14, v17
	s_cbranch_execz .LBB105_129
; %bb.128:
	s_waitcnt lgkmcnt(3)
	v_cvt_f64_i32_e32 v[17:18], v10
	global_store_b64 v[4:5], v[17:18], off offset:2048
.LBB105_129:
	s_or_b32 exec_lo, exec_lo, s2
	s_waitcnt lgkmcnt(3)
	v_or_b32_e32 v10, 0x200, v0
	s_mov_b32 s2, exec_lo
	s_delay_alu instid0(VALU_DEP_1)
	v_cmpx_gt_u32_e64 s14, v10
	s_cbranch_execz .LBB105_131
; %bb.130:
	v_cvt_f64_i32_e32 v[10:11], v11
	v_add_co_u32 v17, vcc_lo, 0x1000, v4
	v_add_co_ci_u32_e32 v18, vcc_lo, 0, v5, vcc_lo
	global_store_b64 v[17:18], v[10:11], off
.LBB105_131:
	s_or_b32 exec_lo, exec_lo, s2
	v_or_b32_e32 v10, 0x300, v0
	s_mov_b32 s2, exec_lo
	s_delay_alu instid0(VALU_DEP_1)
	v_cmpx_gt_u32_e64 s14, v10
	s_cbranch_execz .LBB105_133
; %bb.132:
	s_waitcnt lgkmcnt(2)
	v_cvt_f64_i32_e32 v[10:11], v8
	v_add_co_u32 v17, vcc_lo, 0x1000, v4
	v_add_co_ci_u32_e32 v18, vcc_lo, 0, v5, vcc_lo
	global_store_b64 v[17:18], v[10:11], off offset:2048
.LBB105_133:
	s_or_b32 exec_lo, exec_lo, s2
	s_waitcnt lgkmcnt(2)
	v_or_b32_e32 v8, 0x400, v0
	s_mov_b32 s2, exec_lo
	s_delay_alu instid0(VALU_DEP_1)
	v_cmpx_gt_u32_e64 s14, v8
	s_cbranch_execz .LBB105_135
; %bb.134:
	v_cvt_f64_i32_e32 v[8:9], v9
	v_add_co_u32 v10, vcc_lo, 0x2000, v4
	v_add_co_ci_u32_e32 v11, vcc_lo, 0, v5, vcc_lo
	global_store_b64 v[10:11], v[8:9], off
.LBB105_135:
	s_or_b32 exec_lo, exec_lo, s2
	v_or_b32_e32 v8, 0x500, v0
	s_mov_b32 s2, exec_lo
	s_delay_alu instid0(VALU_DEP_1)
	v_cmpx_gt_u32_e64 s14, v8
	s_cbranch_execz .LBB105_137
; %bb.136:
	s_waitcnt lgkmcnt(1)
	v_cvt_f64_i32_e32 v[8:9], v6
	v_add_co_u32 v10, vcc_lo, 0x2000, v4
	v_add_co_ci_u32_e32 v11, vcc_lo, 0, v5, vcc_lo
	global_store_b64 v[10:11], v[8:9], off offset:2048
.LBB105_137:
	;; [unrolled: 26-line block ×3, first 2 shown]
	s_or_b32 exec_lo, exec_lo, s2
	s_waitcnt lgkmcnt(0)
	v_or_b32_e32 v2, 0x800, v0
	s_delay_alu instid0(VALU_DEP_1)
	v_cmp_gt_u32_e64 s2, s14, v2
	s_branch .LBB105_144
.LBB105_142:
	s_mov_b32 s2, 0
                                        ; implicit-def: $vgpr3
	s_cbranch_execz .LBB105_144
; %bb.143:
	s_waitcnt_vscnt null, 0x0
	s_barrier
	buffer_gl0_inv
	ds_store_2addr_b32 v15, v25, v12 offset1:1
	ds_store_2addr_b32 v15, v13, v24 offset0:2 offset1:3
	ds_store_2addr_b32 v15, v26, v27 offset0:4 offset1:5
	;; [unrolled: 1-line block ×3, first 2 shown]
	v_sub_nc_u32_e32 v13, v15, v16
	ds_store_b32 v15, v31 offset:32
	s_waitcnt lgkmcnt(0)
	s_barrier
	buffer_gl0_inv
	ds_load_2addr_stride64_b32 v[1:2], v13 offset1:4
	ds_load_2addr_stride64_b32 v[3:4], v13 offset0:8 offset1:12
	ds_load_2addr_stride64_b32 v[5:6], v13 offset0:16 offset1:20
	;; [unrolled: 1-line block ×3, first 2 shown]
	s_or_b32 s2, s2, exec_lo
	s_waitcnt lgkmcnt(3)
	v_cvt_f64_i32_e32 v[9:10], v2
	s_waitcnt lgkmcnt(2)
	v_cvt_f64_i32_e32 v[11:12], v3
	v_cvt_f64_i32_e32 v[15:16], v1
	s_waitcnt lgkmcnt(1)
	v_cvt_f64_i32_e32 v[17:18], v5
	v_cvt_f64_i32_e32 v[4:5], v4
	;; [unrolled: 1-line block ×3, first 2 shown]
	s_waitcnt lgkmcnt(0)
	v_cvt_f64_i32_e32 v[6:7], v7
	v_cvt_f64_i32_e32 v[21:22], v8
	ds_load_b32 v3, v13 offset:8192
	v_add_co_u32 v2, s3, s0, v14
	s_delay_alu instid0(VALU_DEP_1) | instskip(SKIP_1) | instid1(VALU_DEP_3)
	v_add_co_ci_u32_e64 v8, null, s1, 0, s3
	v_mov_b32_e32 v1, 0
	v_add_co_u32 v23, vcc_lo, 0x1000, v2
	s_delay_alu instid0(VALU_DEP_3)
	v_add_co_ci_u32_e32 v24, vcc_lo, 0, v8, vcc_lo
	v_add_co_u32 v25, vcc_lo, v2, 0x2000
	v_add_co_ci_u32_e32 v26, vcc_lo, 0, v8, vcc_lo
	v_add_co_u32 v27, vcc_lo, 0x2000, v2
	;; [unrolled: 2-line block ×3, first 2 shown]
	v_add_co_ci_u32_e32 v30, vcc_lo, 0, v8, vcc_lo
	s_clause 0x7
	global_store_b64 v14, v[9:10], s[0:1] offset:2048
	global_store_b64 v[25:26], v[11:12], off offset:-4096
	global_store_b64 v14, v[15:16], s[0:1]
	global_store_b64 v[25:26], v[17:18], off
	global_store_b64 v[23:24], v[4:5], off offset:2048
	global_store_b64 v[27:28], v[19:20], off offset:2048
	global_store_b64 v[29:30], v[6:7], off
	global_store_b64 v[29:30], v[21:22], off offset:2048
.LBB105_144:
	s_delay_alu instid0(VALU_DEP_1)
	s_and_saveexec_b32 s3, s2
	s_cbranch_execz .LBB105_146
; %bb.145:
	s_waitcnt lgkmcnt(0)
	v_cvt_f64_i32_e32 v[2:3], v3
	v_lshlrev_b64 v[0:1], 3, v[0:1]
	s_delay_alu instid0(VALU_DEP_1) | instskip(NEXT) | instid1(VALU_DEP_2)
	v_add_co_u32 v0, vcc_lo, s0, v0
	v_add_co_ci_u32_e32 v1, vcc_lo, s1, v1, vcc_lo
	s_delay_alu instid0(VALU_DEP_2) | instskip(NEXT) | instid1(VALU_DEP_2)
	v_add_co_u32 v0, vcc_lo, 0x4000, v0
	v_add_co_ci_u32_e32 v1, vcc_lo, 0, v1, vcc_lo
	global_store_b64 v[0:1], v[2:3], off
	s_nop 0
	s_sendmsg sendmsg(MSG_DEALLOC_VGPRS)
	s_endpgm
.LBB105_146:
	s_nop 0
	s_sendmsg sendmsg(MSG_DEALLOC_VGPRS)
	s_endpgm
	.section	.rodata,"a",@progbits
	.p2align	6, 0x0
	.amdhsa_kernel _ZN7rocprim6detail25device_scan_by_key_kernelILNS0_25lookback_scan_determinismE0ELb1ENS0_26wrapped_scan_by_key_configINS_14default_configEiiEEPiN6hipcub22TransformInputIteratorIiNS7_6CastOpIiEES6_lEEPdiNS7_8EqualityENS7_3SumENS0_19lookback_scan_stateINS_5tupleIJibEEELb0ELb1EEEiEEvT2_T3_T4_T5_T6_T7_T8_mmmPKNSG_IJT9_bEEE
		.amdhsa_group_segment_fixed_size 11264
		.amdhsa_private_segment_fixed_size 0
		.amdhsa_kernarg_size 80
		.amdhsa_user_sgpr_count 15
		.amdhsa_user_sgpr_dispatch_ptr 0
		.amdhsa_user_sgpr_queue_ptr 0
		.amdhsa_user_sgpr_kernarg_segment_ptr 1
		.amdhsa_user_sgpr_dispatch_id 0
		.amdhsa_user_sgpr_private_segment_size 0
		.amdhsa_wavefront_size32 1
		.amdhsa_uses_dynamic_stack 0
		.amdhsa_enable_private_segment 0
		.amdhsa_system_sgpr_workgroup_id_x 1
		.amdhsa_system_sgpr_workgroup_id_y 0
		.amdhsa_system_sgpr_workgroup_id_z 0
		.amdhsa_system_sgpr_workgroup_info 0
		.amdhsa_system_vgpr_workitem_id 0
		.amdhsa_next_free_vgpr 48
		.amdhsa_next_free_sgpr 37
		.amdhsa_reserve_vcc 1
		.amdhsa_float_round_mode_32 0
		.amdhsa_float_round_mode_16_64 0
		.amdhsa_float_denorm_mode_32 3
		.amdhsa_float_denorm_mode_16_64 3
		.amdhsa_dx10_clamp 1
		.amdhsa_ieee_mode 1
		.amdhsa_fp16_overflow 0
		.amdhsa_workgroup_processor_mode 1
		.amdhsa_memory_ordered 1
		.amdhsa_forward_progress 0
		.amdhsa_shared_vgpr_count 0
		.amdhsa_exception_fp_ieee_invalid_op 0
		.amdhsa_exception_fp_denorm_src 0
		.amdhsa_exception_fp_ieee_div_zero 0
		.amdhsa_exception_fp_ieee_overflow 0
		.amdhsa_exception_fp_ieee_underflow 0
		.amdhsa_exception_fp_ieee_inexact 0
		.amdhsa_exception_int_div_zero 0
	.end_amdhsa_kernel
	.section	.text._ZN7rocprim6detail25device_scan_by_key_kernelILNS0_25lookback_scan_determinismE0ELb1ENS0_26wrapped_scan_by_key_configINS_14default_configEiiEEPiN6hipcub22TransformInputIteratorIiNS7_6CastOpIiEES6_lEEPdiNS7_8EqualityENS7_3SumENS0_19lookback_scan_stateINS_5tupleIJibEEELb0ELb1EEEiEEvT2_T3_T4_T5_T6_T7_T8_mmmPKNSG_IJT9_bEEE,"axG",@progbits,_ZN7rocprim6detail25device_scan_by_key_kernelILNS0_25lookback_scan_determinismE0ELb1ENS0_26wrapped_scan_by_key_configINS_14default_configEiiEEPiN6hipcub22TransformInputIteratorIiNS7_6CastOpIiEES6_lEEPdiNS7_8EqualityENS7_3SumENS0_19lookback_scan_stateINS_5tupleIJibEEELb0ELb1EEEiEEvT2_T3_T4_T5_T6_T7_T8_mmmPKNSG_IJT9_bEEE,comdat
.Lfunc_end105:
	.size	_ZN7rocprim6detail25device_scan_by_key_kernelILNS0_25lookback_scan_determinismE0ELb1ENS0_26wrapped_scan_by_key_configINS_14default_configEiiEEPiN6hipcub22TransformInputIteratorIiNS7_6CastOpIiEES6_lEEPdiNS7_8EqualityENS7_3SumENS0_19lookback_scan_stateINS_5tupleIJibEEELb0ELb1EEEiEEvT2_T3_T4_T5_T6_T7_T8_mmmPKNSG_IJT9_bEEE, .Lfunc_end105-_ZN7rocprim6detail25device_scan_by_key_kernelILNS0_25lookback_scan_determinismE0ELb1ENS0_26wrapped_scan_by_key_configINS_14default_configEiiEEPiN6hipcub22TransformInputIteratorIiNS7_6CastOpIiEES6_lEEPdiNS7_8EqualityENS7_3SumENS0_19lookback_scan_stateINS_5tupleIJibEEELb0ELb1EEEiEEvT2_T3_T4_T5_T6_T7_T8_mmmPKNSG_IJT9_bEEE
                                        ; -- End function
	.section	.AMDGPU.csdata,"",@progbits
; Kernel info:
; codeLenInByte = 9792
; NumSgprs: 39
; NumVgprs: 48
; ScratchSize: 0
; MemoryBound: 0
; FloatMode: 240
; IeeeMode: 1
; LDSByteSize: 11264 bytes/workgroup (compile time only)
; SGPRBlocks: 4
; VGPRBlocks: 5
; NumSGPRsForWavesPerEU: 39
; NumVGPRsForWavesPerEU: 48
; Occupancy: 16
; WaveLimiterHint : 1
; COMPUTE_PGM_RSRC2:SCRATCH_EN: 0
; COMPUTE_PGM_RSRC2:USER_SGPR: 15
; COMPUTE_PGM_RSRC2:TRAP_HANDLER: 0
; COMPUTE_PGM_RSRC2:TGID_X_EN: 1
; COMPUTE_PGM_RSRC2:TGID_Y_EN: 0
; COMPUTE_PGM_RSRC2:TGID_Z_EN: 0
; COMPUTE_PGM_RSRC2:TIDIG_COMP_CNT: 0
	.section	.text._ZN7rocprim6detail25device_scan_by_key_kernelILNS0_25lookback_scan_determinismE0ELb1ENS0_26wrapped_scan_by_key_configINS_14default_configEiiEEPiN6hipcub22TransformInputIteratorIsNS7_6CastOpIsEEPslEEPfsNS7_8EqualityENS7_3SumENS0_19lookback_scan_stateINS_5tupleIJibEEELb1ELb1EEEiEEvT2_T3_T4_T5_T6_T7_T8_mmmPKNSH_IJT9_bEEE,"axG",@progbits,_ZN7rocprim6detail25device_scan_by_key_kernelILNS0_25lookback_scan_determinismE0ELb1ENS0_26wrapped_scan_by_key_configINS_14default_configEiiEEPiN6hipcub22TransformInputIteratorIsNS7_6CastOpIsEEPslEEPfsNS7_8EqualityENS7_3SumENS0_19lookback_scan_stateINS_5tupleIJibEEELb1ELb1EEEiEEvT2_T3_T4_T5_T6_T7_T8_mmmPKNSH_IJT9_bEEE,comdat
	.protected	_ZN7rocprim6detail25device_scan_by_key_kernelILNS0_25lookback_scan_determinismE0ELb1ENS0_26wrapped_scan_by_key_configINS_14default_configEiiEEPiN6hipcub22TransformInputIteratorIsNS7_6CastOpIsEEPslEEPfsNS7_8EqualityENS7_3SumENS0_19lookback_scan_stateINS_5tupleIJibEEELb1ELb1EEEiEEvT2_T3_T4_T5_T6_T7_T8_mmmPKNSH_IJT9_bEEE ; -- Begin function _ZN7rocprim6detail25device_scan_by_key_kernelILNS0_25lookback_scan_determinismE0ELb1ENS0_26wrapped_scan_by_key_configINS_14default_configEiiEEPiN6hipcub22TransformInputIteratorIsNS7_6CastOpIsEEPslEEPfsNS7_8EqualityENS7_3SumENS0_19lookback_scan_stateINS_5tupleIJibEEELb1ELb1EEEiEEvT2_T3_T4_T5_T6_T7_T8_mmmPKNSH_IJT9_bEEE
	.globl	_ZN7rocprim6detail25device_scan_by_key_kernelILNS0_25lookback_scan_determinismE0ELb1ENS0_26wrapped_scan_by_key_configINS_14default_configEiiEEPiN6hipcub22TransformInputIteratorIsNS7_6CastOpIsEEPslEEPfsNS7_8EqualityENS7_3SumENS0_19lookback_scan_stateINS_5tupleIJibEEELb1ELb1EEEiEEvT2_T3_T4_T5_T6_T7_T8_mmmPKNSH_IJT9_bEEE
	.p2align	8
	.type	_ZN7rocprim6detail25device_scan_by_key_kernelILNS0_25lookback_scan_determinismE0ELb1ENS0_26wrapped_scan_by_key_configINS_14default_configEiiEEPiN6hipcub22TransformInputIteratorIsNS7_6CastOpIsEEPslEEPfsNS7_8EqualityENS7_3SumENS0_19lookback_scan_stateINS_5tupleIJibEEELb1ELb1EEEiEEvT2_T3_T4_T5_T6_T7_T8_mmmPKNSH_IJT9_bEEE,@function
_ZN7rocprim6detail25device_scan_by_key_kernelILNS0_25lookback_scan_determinismE0ELb1ENS0_26wrapped_scan_by_key_configINS_14default_configEiiEEPiN6hipcub22TransformInputIteratorIsNS7_6CastOpIsEEPslEEPfsNS7_8EqualityENS7_3SumENS0_19lookback_scan_stateINS_5tupleIJibEEELb1ELb1EEEiEEvT2_T3_T4_T5_T6_T7_T8_mmmPKNSH_IJT9_bEEE: ; @_ZN7rocprim6detail25device_scan_by_key_kernelILNS0_25lookback_scan_determinismE0ELb1ENS0_26wrapped_scan_by_key_configINS_14default_configEiiEEPiN6hipcub22TransformInputIteratorIsNS7_6CastOpIsEEPslEEPfsNS7_8EqualityENS7_3SumENS0_19lookback_scan_stateINS_5tupleIJibEEELb1ELb1EEEiEEvT2_T3_T4_T5_T6_T7_T8_mmmPKNSH_IJT9_bEEE
; %bb.0:
	s_endpgm
	.section	.rodata,"a",@progbits
	.p2align	6, 0x0
	.amdhsa_kernel _ZN7rocprim6detail25device_scan_by_key_kernelILNS0_25lookback_scan_determinismE0ELb1ENS0_26wrapped_scan_by_key_configINS_14default_configEiiEEPiN6hipcub22TransformInputIteratorIsNS7_6CastOpIsEEPslEEPfsNS7_8EqualityENS7_3SumENS0_19lookback_scan_stateINS_5tupleIJibEEELb1ELb1EEEiEEvT2_T3_T4_T5_T6_T7_T8_mmmPKNSH_IJT9_bEEE
		.amdhsa_group_segment_fixed_size 0
		.amdhsa_private_segment_fixed_size 0
		.amdhsa_kernarg_size 80
		.amdhsa_user_sgpr_count 15
		.amdhsa_user_sgpr_dispatch_ptr 0
		.amdhsa_user_sgpr_queue_ptr 0
		.amdhsa_user_sgpr_kernarg_segment_ptr 1
		.amdhsa_user_sgpr_dispatch_id 0
		.amdhsa_user_sgpr_private_segment_size 0
		.amdhsa_wavefront_size32 1
		.amdhsa_uses_dynamic_stack 0
		.amdhsa_enable_private_segment 0
		.amdhsa_system_sgpr_workgroup_id_x 1
		.amdhsa_system_sgpr_workgroup_id_y 0
		.amdhsa_system_sgpr_workgroup_id_z 0
		.amdhsa_system_sgpr_workgroup_info 0
		.amdhsa_system_vgpr_workitem_id 0
		.amdhsa_next_free_vgpr 1
		.amdhsa_next_free_sgpr 1
		.amdhsa_reserve_vcc 0
		.amdhsa_float_round_mode_32 0
		.amdhsa_float_round_mode_16_64 0
		.amdhsa_float_denorm_mode_32 3
		.amdhsa_float_denorm_mode_16_64 3
		.amdhsa_dx10_clamp 1
		.amdhsa_ieee_mode 1
		.amdhsa_fp16_overflow 0
		.amdhsa_workgroup_processor_mode 1
		.amdhsa_memory_ordered 1
		.amdhsa_forward_progress 0
		.amdhsa_shared_vgpr_count 0
		.amdhsa_exception_fp_ieee_invalid_op 0
		.amdhsa_exception_fp_denorm_src 0
		.amdhsa_exception_fp_ieee_div_zero 0
		.amdhsa_exception_fp_ieee_overflow 0
		.amdhsa_exception_fp_ieee_underflow 0
		.amdhsa_exception_fp_ieee_inexact 0
		.amdhsa_exception_int_div_zero 0
	.end_amdhsa_kernel
	.section	.text._ZN7rocprim6detail25device_scan_by_key_kernelILNS0_25lookback_scan_determinismE0ELb1ENS0_26wrapped_scan_by_key_configINS_14default_configEiiEEPiN6hipcub22TransformInputIteratorIsNS7_6CastOpIsEEPslEEPfsNS7_8EqualityENS7_3SumENS0_19lookback_scan_stateINS_5tupleIJibEEELb1ELb1EEEiEEvT2_T3_T4_T5_T6_T7_T8_mmmPKNSH_IJT9_bEEE,"axG",@progbits,_ZN7rocprim6detail25device_scan_by_key_kernelILNS0_25lookback_scan_determinismE0ELb1ENS0_26wrapped_scan_by_key_configINS_14default_configEiiEEPiN6hipcub22TransformInputIteratorIsNS7_6CastOpIsEEPslEEPfsNS7_8EqualityENS7_3SumENS0_19lookback_scan_stateINS_5tupleIJibEEELb1ELb1EEEiEEvT2_T3_T4_T5_T6_T7_T8_mmmPKNSH_IJT9_bEEE,comdat
.Lfunc_end106:
	.size	_ZN7rocprim6detail25device_scan_by_key_kernelILNS0_25lookback_scan_determinismE0ELb1ENS0_26wrapped_scan_by_key_configINS_14default_configEiiEEPiN6hipcub22TransformInputIteratorIsNS7_6CastOpIsEEPslEEPfsNS7_8EqualityENS7_3SumENS0_19lookback_scan_stateINS_5tupleIJibEEELb1ELb1EEEiEEvT2_T3_T4_T5_T6_T7_T8_mmmPKNSH_IJT9_bEEE, .Lfunc_end106-_ZN7rocprim6detail25device_scan_by_key_kernelILNS0_25lookback_scan_determinismE0ELb1ENS0_26wrapped_scan_by_key_configINS_14default_configEiiEEPiN6hipcub22TransformInputIteratorIsNS7_6CastOpIsEEPslEEPfsNS7_8EqualityENS7_3SumENS0_19lookback_scan_stateINS_5tupleIJibEEELb1ELb1EEEiEEvT2_T3_T4_T5_T6_T7_T8_mmmPKNSH_IJT9_bEEE
                                        ; -- End function
	.section	.AMDGPU.csdata,"",@progbits
; Kernel info:
; codeLenInByte = 4
; NumSgprs: 0
; NumVgprs: 0
; ScratchSize: 0
; MemoryBound: 0
; FloatMode: 240
; IeeeMode: 1
; LDSByteSize: 0 bytes/workgroup (compile time only)
; SGPRBlocks: 0
; VGPRBlocks: 0
; NumSGPRsForWavesPerEU: 1
; NumVGPRsForWavesPerEU: 1
; Occupancy: 16
; WaveLimiterHint : 0
; COMPUTE_PGM_RSRC2:SCRATCH_EN: 0
; COMPUTE_PGM_RSRC2:USER_SGPR: 15
; COMPUTE_PGM_RSRC2:TRAP_HANDLER: 0
; COMPUTE_PGM_RSRC2:TGID_X_EN: 1
; COMPUTE_PGM_RSRC2:TGID_Y_EN: 0
; COMPUTE_PGM_RSRC2:TGID_Z_EN: 0
; COMPUTE_PGM_RSRC2:TIDIG_COMP_CNT: 0
	.section	.text._ZN7rocprim6detail25device_scan_by_key_kernelILNS0_25lookback_scan_determinismE0ELb1ENS0_26wrapped_scan_by_key_configINS_14default_configEiiEEPiN6hipcub22TransformInputIteratorIsNS7_6CastOpIsEEPslEEPfsNS7_8EqualityENS7_3SumENS0_19lookback_scan_stateINS_5tupleIJibEEELb0ELb1EEEiEEvT2_T3_T4_T5_T6_T7_T8_mmmPKNSH_IJT9_bEEE,"axG",@progbits,_ZN7rocprim6detail25device_scan_by_key_kernelILNS0_25lookback_scan_determinismE0ELb1ENS0_26wrapped_scan_by_key_configINS_14default_configEiiEEPiN6hipcub22TransformInputIteratorIsNS7_6CastOpIsEEPslEEPfsNS7_8EqualityENS7_3SumENS0_19lookback_scan_stateINS_5tupleIJibEEELb0ELb1EEEiEEvT2_T3_T4_T5_T6_T7_T8_mmmPKNSH_IJT9_bEEE,comdat
	.protected	_ZN7rocprim6detail25device_scan_by_key_kernelILNS0_25lookback_scan_determinismE0ELb1ENS0_26wrapped_scan_by_key_configINS_14default_configEiiEEPiN6hipcub22TransformInputIteratorIsNS7_6CastOpIsEEPslEEPfsNS7_8EqualityENS7_3SumENS0_19lookback_scan_stateINS_5tupleIJibEEELb0ELb1EEEiEEvT2_T3_T4_T5_T6_T7_T8_mmmPKNSH_IJT9_bEEE ; -- Begin function _ZN7rocprim6detail25device_scan_by_key_kernelILNS0_25lookback_scan_determinismE0ELb1ENS0_26wrapped_scan_by_key_configINS_14default_configEiiEEPiN6hipcub22TransformInputIteratorIsNS7_6CastOpIsEEPslEEPfsNS7_8EqualityENS7_3SumENS0_19lookback_scan_stateINS_5tupleIJibEEELb0ELb1EEEiEEvT2_T3_T4_T5_T6_T7_T8_mmmPKNSH_IJT9_bEEE
	.globl	_ZN7rocprim6detail25device_scan_by_key_kernelILNS0_25lookback_scan_determinismE0ELb1ENS0_26wrapped_scan_by_key_configINS_14default_configEiiEEPiN6hipcub22TransformInputIteratorIsNS7_6CastOpIsEEPslEEPfsNS7_8EqualityENS7_3SumENS0_19lookback_scan_stateINS_5tupleIJibEEELb0ELb1EEEiEEvT2_T3_T4_T5_T6_T7_T8_mmmPKNSH_IJT9_bEEE
	.p2align	8
	.type	_ZN7rocprim6detail25device_scan_by_key_kernelILNS0_25lookback_scan_determinismE0ELb1ENS0_26wrapped_scan_by_key_configINS_14default_configEiiEEPiN6hipcub22TransformInputIteratorIsNS7_6CastOpIsEEPslEEPfsNS7_8EqualityENS7_3SumENS0_19lookback_scan_stateINS_5tupleIJibEEELb0ELb1EEEiEEvT2_T3_T4_T5_T6_T7_T8_mmmPKNSH_IJT9_bEEE,@function
_ZN7rocprim6detail25device_scan_by_key_kernelILNS0_25lookback_scan_determinismE0ELb1ENS0_26wrapped_scan_by_key_configINS_14default_configEiiEEPiN6hipcub22TransformInputIteratorIsNS7_6CastOpIsEEPslEEPfsNS7_8EqualityENS7_3SumENS0_19lookback_scan_stateINS_5tupleIJibEEELb0ELb1EEEiEEvT2_T3_T4_T5_T6_T7_T8_mmmPKNSH_IJT9_bEEE: ; @_ZN7rocprim6detail25device_scan_by_key_kernelILNS0_25lookback_scan_determinismE0ELb1ENS0_26wrapped_scan_by_key_configINS_14default_configEiiEEPiN6hipcub22TransformInputIteratorIsNS7_6CastOpIsEEPslEEPfsNS7_8EqualityENS7_3SumENS0_19lookback_scan_stateINS_5tupleIJibEEELb0ELb1EEEiEEvT2_T3_T4_T5_T6_T7_T8_mmmPKNSH_IJT9_bEEE
; %bb.0:
	s_clause 0x1
	s_load_b128 s[4:7], s[0:1], 0x0
	s_load_b256 s[16:23], s[0:1], 0x28
	s_mov_b32 s3, 0
	s_clause 0x1
	s_load_b32 s8, s[0:1], 0x20
	s_load_b64 s[28:29], s[0:1], 0x48
	s_mul_i32 s2, s15, 0x900
	v_lshlrev_b32_e32 v29, 2, v0
	s_lshl_b64 s[12:13], s[2:3], 2
	s_waitcnt lgkmcnt(0)
	s_add_u32 s34, s4, s12
	s_addc_u32 s35, s5, s13
	s_lshl_b64 s[4:5], s[2:3], 1
	s_sext_i32_i16 s33, s8
	s_add_u32 s30, s6, s4
	s_addc_u32 s31, s7, s5
	s_add_u32 s4, s15, s20
	s_addc_u32 s5, 0, s21
	s_add_u32 s6, s22, -1
	s_addc_u32 s7, s23, -1
	s_mul_i32 s14, s6, 0xfffff700
	v_cmp_ge_u64_e64 s19, s[4:5], s[6:7]
	s_delay_alu instid0(VALU_DEP_1)
	s_and_b32 vcc_lo, exec_lo, s19
	s_cbranch_vccz .LBB107_29
; %bb.1:
	s_load_b32 s10, s[34:35], 0x0
	s_add_i32 s36, s14, s18
	v_add_co_u32 v1, s2, s34, v29
	s_delay_alu instid0(VALU_DEP_1)
	v_add_co_ci_u32_e64 v2, null, s35, 0, s2
	v_cmp_gt_u32_e32 vcc_lo, s36, v0
	s_waitcnt lgkmcnt(0)
	v_mov_b32_e32 v3, s10
	s_and_saveexec_b32 s2, vcc_lo
	s_cbranch_execz .LBB107_3
; %bb.2:
	global_load_b32 v3, v[1:2], off
.LBB107_3:
	s_or_b32 exec_lo, exec_lo, s2
	v_or_b32_e32 v4, 0x100, v0
	s_delay_alu instid0(VALU_DEP_1) | instskip(SKIP_1) | instid1(VALU_DEP_2)
	v_cmp_gt_u32_e64 s2, s36, v4
	v_mov_b32_e32 v4, s10
	s_and_saveexec_b32 s3, s2
	s_cbranch_execz .LBB107_5
; %bb.4:
	global_load_b32 v4, v[1:2], off offset:1024
.LBB107_5:
	s_or_b32 exec_lo, exec_lo, s3
	v_or_b32_e32 v5, 0x200, v0
	s_delay_alu instid0(VALU_DEP_1) | instskip(SKIP_1) | instid1(VALU_DEP_2)
	v_cmp_gt_u32_e64 s3, s36, v5
	v_mov_b32_e32 v5, s10
	s_and_saveexec_b32 s4, s3
	s_cbranch_execz .LBB107_7
; %bb.6:
	global_load_b32 v5, v[1:2], off offset:2048
.LBB107_7:
	;; [unrolled: 10-line block ×3, first 2 shown]
	s_or_b32 exec_lo, exec_lo, s5
	v_or_b32_e32 v7, 0x400, v0
	s_delay_alu instid0(VALU_DEP_1) | instskip(SKIP_1) | instid1(VALU_DEP_2)
	v_cmp_gt_u32_e64 s5, s36, v7
	v_mov_b32_e32 v7, s10
	s_and_saveexec_b32 s7, s5
	s_cbranch_execz .LBB107_11
; %bb.10:
	v_add_co_u32 v7, s6, 0x1000, v1
	s_delay_alu instid0(VALU_DEP_1)
	v_add_co_ci_u32_e64 v8, s6, 0, v2, s6
	global_load_b32 v7, v[7:8], off
.LBB107_11:
	s_or_b32 exec_lo, exec_lo, s7
	v_or_b32_e32 v8, 0x500, v0
	s_delay_alu instid0(VALU_DEP_1) | instskip(SKIP_1) | instid1(VALU_DEP_2)
	v_cmp_gt_u32_e64 s6, s36, v8
	v_mov_b32_e32 v8, s10
	s_and_saveexec_b32 s8, s6
	s_cbranch_execz .LBB107_13
; %bb.12:
	v_add_co_u32 v8, s7, 0x1000, v1
	s_delay_alu instid0(VALU_DEP_1)
	v_add_co_ci_u32_e64 v9, s7, 0, v2, s7
	global_load_b32 v8, v[8:9], off offset:1024
.LBB107_13:
	s_or_b32 exec_lo, exec_lo, s8
	v_or_b32_e32 v9, 0x600, v0
	s_delay_alu instid0(VALU_DEP_1) | instskip(SKIP_1) | instid1(VALU_DEP_2)
	v_cmp_gt_u32_e64 s7, s36, v9
	v_mov_b32_e32 v9, s10
	s_and_saveexec_b32 s9, s7
	s_cbranch_execz .LBB107_15
; %bb.14:
	v_add_co_u32 v9, s8, 0x1000, v1
	s_delay_alu instid0(VALU_DEP_1)
	v_add_co_ci_u32_e64 v10, s8, 0, v2, s8
	global_load_b32 v9, v[9:10], off offset:2048
.LBB107_15:
	;; [unrolled: 13-line block ×3, first 2 shown]
	s_or_b32 exec_lo, exec_lo, s11
	v_or_b32_e32 v11, 0x800, v0
	s_delay_alu instid0(VALU_DEP_1) | instskip(SKIP_1) | instid1(VALU_DEP_2)
	v_cmp_gt_u32_e64 s9, s36, v11
	v_mov_b32_e32 v11, s10
	s_and_saveexec_b32 s11, s9
	s_cbranch_execz .LBB107_19
; %bb.18:
	v_add_co_u32 v1, s10, 0x2000, v1
	s_delay_alu instid0(VALU_DEP_1)
	v_add_co_ci_u32_e64 v2, s10, 0, v2, s10
	global_load_b32 v11, v[1:2], off
.LBB107_19:
	s_or_b32 exec_lo, exec_lo, s11
	s_waitcnt vmcnt(0)
	ds_store_2addr_stride64_b32 v29, v3, v4 offset1:4
	ds_store_2addr_stride64_b32 v29, v5, v6 offset0:8 offset1:12
	ds_store_2addr_stride64_b32 v29, v7, v8 offset0:16 offset1:20
	ds_store_2addr_stride64_b32 v29, v9, v10 offset0:24 offset1:28
	ds_store_b32 v29, v11 offset:8192
	s_waitcnt lgkmcnt(0)
	s_barrier
	buffer_gl0_inv
	s_load_b32 s11, s[34:35], 0x0
	v_lshl_add_u32 v30, v0, 5, v29
	ds_load_b32 v27, v30
	ds_load_2addr_b32 v[25:26], v30 offset0:1 offset1:2
	ds_load_2addr_b32 v[22:23], v30 offset0:3 offset1:4
	;; [unrolled: 1-line block ×4, first 2 shown]
	s_waitcnt lgkmcnt(0)
	v_mov_b32_e32 v13, s11
	s_mov_b32 s11, exec_lo
	ds_store_b32 v29, v27 offset:10240
	s_waitcnt lgkmcnt(0)
	s_barrier
	buffer_gl0_inv
	v_cmpx_ne_u32_e32 0xff, v0
	s_cbranch_execz .LBB107_21
; %bb.20:
	ds_load_b32 v13, v29 offset:10244
.LBB107_21:
	s_or_b32 exec_lo, exec_lo, s11
	v_lshlrev_b32_e32 v1, 1, v0
	s_waitcnt lgkmcnt(0)
	s_barrier
	buffer_gl0_inv
                                        ; implicit-def: $vgpr3
	v_add_co_u32 v1, s10, s30, v1
	s_delay_alu instid0(VALU_DEP_1)
	v_add_co_ci_u32_e64 v2, null, s31, 0, s10
	s_and_saveexec_b32 s10, vcc_lo
	s_cbranch_execz .LBB107_30
; %bb.22:
	global_load_i16 v3, v[1:2], off
	s_or_b32 exec_lo, exec_lo, s10
                                        ; implicit-def: $vgpr4
	s_and_saveexec_b32 s10, s2
	s_cbranch_execnz .LBB107_31
.LBB107_23:
	s_or_b32 exec_lo, exec_lo, s10
                                        ; implicit-def: $vgpr5
	s_and_saveexec_b32 s2, s3
	s_cbranch_execz .LBB107_32
.LBB107_24:
	global_load_i16 v5, v[1:2], off offset:1024
	s_or_b32 exec_lo, exec_lo, s2
                                        ; implicit-def: $vgpr6
	s_and_saveexec_b32 s2, s4
	s_cbranch_execnz .LBB107_33
.LBB107_25:
	s_or_b32 exec_lo, exec_lo, s2
                                        ; implicit-def: $vgpr7
	s_and_saveexec_b32 s2, s5
	s_cbranch_execz .LBB107_34
.LBB107_26:
	global_load_i16 v7, v[1:2], off offset:2048
	s_or_b32 exec_lo, exec_lo, s2
                                        ; implicit-def: $vgpr8
	s_and_saveexec_b32 s2, s6
	s_cbranch_execnz .LBB107_35
.LBB107_27:
	s_or_b32 exec_lo, exec_lo, s2
                                        ; implicit-def: $vgpr14
	s_and_saveexec_b32 s2, s7
	s_cbranch_execz .LBB107_36
.LBB107_28:
	global_load_i16 v14, v[1:2], off offset:3072
	s_or_b32 exec_lo, exec_lo, s2
                                        ; implicit-def: $vgpr15
	s_and_saveexec_b32 s2, s8
	s_cbranch_execz .LBB107_38
	s_branch .LBB107_37
.LBB107_29:
                                        ; implicit-def: $sgpr2
                                        ; implicit-def: $vgpr1_vgpr2_vgpr3_vgpr4_vgpr5_vgpr6_vgpr7_vgpr8
                                        ; implicit-def: $vgpr24
                                        ; implicit-def: $vgpr14_vgpr15
                                        ; implicit-def: $vgpr16_vgpr17
                                        ; implicit-def: $vgpr18_vgpr19
                                        ; implicit-def: $vgpr20_vgpr21
                                        ; implicit-def: $sgpr6_sgpr7
	s_cbranch_execz .LBB107_64
	s_branch .LBB107_59
.LBB107_30:
	s_or_b32 exec_lo, exec_lo, s10
                                        ; implicit-def: $vgpr4
	s_and_saveexec_b32 s10, s2
	s_cbranch_execz .LBB107_23
.LBB107_31:
	global_load_i16 v4, v[1:2], off offset:512
	s_or_b32 exec_lo, exec_lo, s10
                                        ; implicit-def: $vgpr5
	s_and_saveexec_b32 s2, s3
	s_cbranch_execnz .LBB107_24
.LBB107_32:
	s_or_b32 exec_lo, exec_lo, s2
                                        ; implicit-def: $vgpr6
	s_and_saveexec_b32 s2, s4
	s_cbranch_execz .LBB107_25
.LBB107_33:
	global_load_i16 v6, v[1:2], off offset:1536
	s_or_b32 exec_lo, exec_lo, s2
                                        ; implicit-def: $vgpr7
	s_and_saveexec_b32 s2, s5
	s_cbranch_execnz .LBB107_26
.LBB107_34:
	s_or_b32 exec_lo, exec_lo, s2
                                        ; implicit-def: $vgpr8
	s_and_saveexec_b32 s2, s6
	s_cbranch_execz .LBB107_27
.LBB107_35:
	global_load_i16 v8, v[1:2], off offset:2560
	s_or_b32 exec_lo, exec_lo, s2
                                        ; implicit-def: $vgpr14
	s_and_saveexec_b32 s2, s7
	s_cbranch_execnz .LBB107_28
.LBB107_36:
	s_or_b32 exec_lo, exec_lo, s2
                                        ; implicit-def: $vgpr15
	s_and_saveexec_b32 s2, s8
	s_cbranch_execz .LBB107_38
.LBB107_37:
	global_load_i16 v15, v[1:2], off offset:3584
.LBB107_38:
	s_or_b32 exec_lo, exec_lo, s2
	v_mul_u32_u24_e32 v31, 9, v0
                                        ; implicit-def: $vgpr16
	s_and_saveexec_b32 s2, s9
	s_cbranch_execz .LBB107_40
; %bb.39:
	v_add_co_u32 v1, vcc_lo, 0x1000, v1
	v_add_co_ci_u32_e32 v2, vcc_lo, 0, v2, vcc_lo
	global_load_i16 v16, v[1:2], off
.LBB107_40:
	s_or_b32 exec_lo, exec_lo, s2
	s_mov_b32 s4, 0
	s_waitcnt vmcnt(0)
	ds_store_2addr_stride64_b32 v29, v3, v4 offset1:4
	ds_store_2addr_stride64_b32 v29, v5, v6 offset0:8 offset1:12
	ds_store_2addr_stride64_b32 v29, v7, v8 offset0:16 offset1:20
	;; [unrolled: 1-line block ×3, first 2 shown]
	ds_store_b32 v29, v16 offset:8192
	s_mov_b32 s5, s4
	s_mov_b32 s6, s4
	;; [unrolled: 1-line block ×7, first 2 shown]
	v_dual_mov_b32 v14, 0 :: v_dual_mov_b32 v1, s4
	v_dual_mov_b32 v15, 0 :: v_dual_mov_b32 v2, s5
	;; [unrolled: 1-line block ×5, first 2 shown]
	s_delay_alu instid0(VALU_DEP_4)
	v_dual_mov_b32 v17, v15 :: v_dual_mov_b32 v16, v14
	v_dual_mov_b32 v19, v15 :: v_dual_mov_b32 v18, v14
	;; [unrolled: 1-line block ×3, first 2 shown]
	s_mov_b64 s[6:7], 0
	s_mov_b32 s3, 0
	s_mov_b32 s5, exec_lo
	s_waitcnt lgkmcnt(0)
	s_barrier
	buffer_gl0_inv
                                        ; implicit-def: $sgpr2
                                        ; implicit-def: $vgpr24
	v_cmpx_gt_u32_e64 s36, v31
	s_cbranch_execz .LBB107_58
; %bb.41:
	ds_load_b32 v14, v30
	s_mov_b32 s20, 0
	v_add_nc_u32_e32 v18, 1, v31
	s_mov_b32 s21, s20
	s_mov_b32 s22, s20
	;; [unrolled: 1-line block ×7, first 2 shown]
	v_dual_mov_b32 v16, 0 :: v_dual_mov_b32 v1, s20
	v_mov_b32_e32 v17, 0
	v_cmp_ne_u32_e32 vcc_lo, v27, v25
	v_cmp_eq_u32_e64 s2, v27, v25
	v_mov_b32_e32 v8, s27
	v_dual_mov_b32 v2, s21 :: v_dual_mov_b32 v3, s22
	v_cndmask_b32_e64 v15, 0, 1, vcc_lo
	v_cmp_gt_u32_e32 vcc_lo, s36, v18
	v_dual_mov_b32 v19, v17 :: v_dual_mov_b32 v18, v16
	v_dual_mov_b32 v21, v17 :: v_dual_mov_b32 v4, s23
	;; [unrolled: 1-line block ×3, first 2 shown]
	v_mov_b32_e32 v7, s26
	s_waitcnt lgkmcnt(0)
	v_cndmask_b32_e64 v14, s33, v14, s2
	v_mov_b32_e32 v20, v16
                                        ; implicit-def: $sgpr2
                                        ; implicit-def: $vgpr24
	s_and_saveexec_b32 s3, vcc_lo
	s_cbranch_execz .LBB107_57
; %bb.42:
	ds_load_2addr_b32 v[27:28], v30 offset0:1 offset1:2
	s_mov_b32 s21, s20
	s_mov_b32 s22, s20
	;; [unrolled: 1-line block ×7, first 2 shown]
	v_dual_mov_b32 v18, 0 :: v_dual_mov_b32 v1, s20
	v_dual_mov_b32 v19, 0 :: v_dual_add_nc_u32 v16, 2, v31
	v_cmp_ne_u32_e32 vcc_lo, v25, v26
	v_cmp_eq_u32_e64 s2, v25, v26
	v_mov_b32_e32 v8, s27
	v_dual_mov_b32 v2, s21 :: v_dual_mov_b32 v3, s22
	v_mov_b32_e32 v21, v19
	v_cndmask_b32_e64 v17, 0, 1, vcc_lo
	v_dual_mov_b32 v4, s23 :: v_dual_mov_b32 v5, s24
	v_dual_mov_b32 v6, s25 :: v_dual_mov_b32 v7, s26
	v_cmp_gt_u32_e32 vcc_lo, s36, v16
	s_waitcnt lgkmcnt(0)
	v_cndmask_b32_e64 v16, s33, v27, s2
	v_mov_b32_e32 v20, v18
                                        ; implicit-def: $sgpr2
                                        ; implicit-def: $vgpr24
	s_and_saveexec_b32 s8, vcc_lo
	s_cbranch_execz .LBB107_56
; %bb.43:
	v_cmp_eq_u32_e32 vcc_lo, v26, v22
	v_add_nc_u32_e32 v1, 3, v31
	s_mov_b32 s21, s20
	s_mov_b32 s22, s20
	s_mov_b32 s23, s20
	v_cndmask_b32_e32 v18, s33, v28, vcc_lo
	v_cmp_ne_u32_e32 vcc_lo, v26, v22
	s_mov_b32 s24, s20
	s_mov_b32 s25, s20
	s_mov_b32 s26, s20
	s_mov_b32 s27, s20
	v_cndmask_b32_e64 v19, 0, 1, vcc_lo
	v_cmp_gt_u32_e32 vcc_lo, s36, v1
	v_dual_mov_b32 v20, 0 :: v_dual_mov_b32 v1, s20
	v_dual_mov_b32 v21, 0 :: v_dual_mov_b32 v2, s21
	;; [unrolled: 1-line block ×5, first 2 shown]
                                        ; implicit-def: $sgpr2
                                        ; implicit-def: $vgpr24
	s_and_saveexec_b32 s9, vcc_lo
	s_cbranch_execz .LBB107_55
; %bb.44:
	ds_load_2addr_b32 v[24:25], v30 offset0:3 offset1:4
	v_cmp_ne_u32_e32 vcc_lo, v22, v23
	s_mov_b32 s21, s20
	s_mov_b32 s22, s20
	;; [unrolled: 1-line block ×7, first 2 shown]
	v_add_nc_u32_e32 v1, 4, v31
	v_cmp_eq_u32_e64 s2, v22, v23
	v_cndmask_b32_e64 v21, 0, 1, vcc_lo
                                        ; implicit-def: $sgpr11
	s_delay_alu instid0(VALU_DEP_3)
	v_cmp_gt_u32_e32 vcc_lo, s36, v1
	v_dual_mov_b32 v1, s20 :: v_dual_mov_b32 v4, s23
	v_dual_mov_b32 v2, s21 :: v_dual_mov_b32 v3, s22
	v_mov_b32_e32 v6, s25
	s_waitcnt lgkmcnt(0)
	v_cndmask_b32_e64 v20, s33, v24, s2
	v_dual_mov_b32 v5, s24 :: v_dual_mov_b32 v8, s27
	v_mov_b32_e32 v7, s26
                                        ; implicit-def: $vgpr24
	s_and_saveexec_b32 s10, vcc_lo
	s_cbranch_execz .LBB107_54
; %bb.45:
	v_cmp_eq_u32_e32 vcc_lo, v23, v11
	v_mov_b32_e32 v5, 0
	v_add_nc_u32_e32 v3, 5, v31
	s_mov_b32 s2, 0
                                        ; implicit-def: $sgpr21
                                        ; implicit-def: $vgpr24
	s_delay_alu instid0(VALU_DEP_2)
	v_dual_cndmask_b32 v1, s33, v25 :: v_dual_mov_b32 v6, v5
	v_cmp_ne_u32_e32 vcc_lo, v23, v11
	v_mov_b32_e32 v4, v5
	v_mov_b32_e32 v7, v5
	;; [unrolled: 1-line block ×3, first 2 shown]
	v_cndmask_b32_e64 v2, 0, 1, vcc_lo
	v_cmp_gt_u32_e32 vcc_lo, s36, v3
	v_mov_b32_e32 v3, v5
	s_and_saveexec_b32 s11, vcc_lo
	s_cbranch_execz .LBB107_53
; %bb.46:
	ds_load_2addr_b32 v[22:23], v30 offset0:5 offset1:6
	v_dual_mov_b32 v6, v5 :: v_dual_add_nc_u32 v3, 6, v31
	v_cmp_ne_u32_e32 vcc_lo, v11, v12
	v_cmp_eq_u32_e64 s2, v11, v12
	v_mov_b32_e32 v7, v5
	v_mov_b32_e32 v8, v5
                                        ; implicit-def: $sgpr22
                                        ; implicit-def: $vgpr24
	v_cndmask_b32_e64 v4, 0, 1, vcc_lo
	v_cmp_gt_u32_e32 vcc_lo, s36, v3
	s_waitcnt lgkmcnt(0)
	v_cndmask_b32_e64 v3, s33, v22, s2
	s_and_saveexec_b32 s2, vcc_lo
	s_cbranch_execz .LBB107_52
; %bb.47:
	v_cmp_eq_u32_e32 vcc_lo, v12, v9
	s_mov_b32 s21, 0
	s_delay_alu instid0(SALU_CYCLE_1) | instskip(SKIP_3) | instid1(VALU_DEP_4)
	v_dual_mov_b32 v8, s21 :: v_dual_add_nc_u32 v7, 7, v31
                                        ; implicit-def: $sgpr22
                                        ; implicit-def: $vgpr24
	v_cndmask_b32_e32 v5, s33, v23, vcc_lo
	v_cmp_ne_u32_e32 vcc_lo, v12, v9
	v_cndmask_b32_e64 v6, 0, 1, vcc_lo
	v_cmp_gt_u32_e32 vcc_lo, s36, v7
	v_mov_b32_e32 v7, s21
	s_and_saveexec_b32 s20, vcc_lo
	s_cbranch_execz .LBB107_51
; %bb.48:
	ds_load_2addr_b32 v[11:12], v30 offset0:7 offset1:8
	v_cmp_ne_u32_e32 vcc_lo, v9, v10
	v_add_nc_u32_e32 v22, 8, v31
	s_mov_b32 s23, exec_lo
                                        ; implicit-def: $sgpr22
                                        ; implicit-def: $vgpr24
	v_cndmask_b32_e64 v8, 0, 1, vcc_lo
	v_cmp_eq_u32_e32 vcc_lo, v9, v10
	s_waitcnt lgkmcnt(0)
	v_cndmask_b32_e32 v7, s33, v11, vcc_lo
	v_cmpx_gt_u32_e64 s36, v22
	s_xor_b32 s23, exec_lo, s23
; %bb.49:
	v_cmp_ne_u32_e32 vcc_lo, v10, v13
	s_mov_b32 s21, exec_lo
	v_cndmask_b32_e64 v24, v12, s33, vcc_lo
	s_and_b32 s22, vcc_lo, exec_lo
; %bb.50:
	s_or_b32 exec_lo, exec_lo, s23
	s_delay_alu instid0(SALU_CYCLE_1)
	s_and_b32 s22, s22, exec_lo
	s_and_b32 s21, s21, exec_lo
.LBB107_51:
	s_or_b32 exec_lo, exec_lo, s20
	s_delay_alu instid0(SALU_CYCLE_1)
	s_and_b32 s22, s22, exec_lo
	s_and_b32 s20, s21, exec_lo
.LBB107_52:
	s_or_b32 exec_lo, exec_lo, s2
	s_delay_alu instid0(SALU_CYCLE_1)
	s_and_b32 s21, s22, exec_lo
	s_and_b32 s2, s20, exec_lo
.LBB107_53:
	s_or_b32 exec_lo, exec_lo, s11
	s_delay_alu instid0(SALU_CYCLE_1)
	s_and_b32 s11, s21, exec_lo
	s_and_b32 s20, s2, exec_lo
.LBB107_54:
	s_or_b32 exec_lo, exec_lo, s10
	s_delay_alu instid0(SALU_CYCLE_1)
	s_and_b32 s2, s11, exec_lo
	s_and_b32 s20, s20, exec_lo
.LBB107_55:
	s_or_b32 exec_lo, exec_lo, s9
	s_delay_alu instid0(SALU_CYCLE_1)
	s_and_b32 s2, s2, exec_lo
	s_and_b32 s20, s20, exec_lo
.LBB107_56:
	s_or_b32 exec_lo, exec_lo, s8
	s_delay_alu instid0(SALU_CYCLE_1)
	s_and_b32 s2, s2, exec_lo
	s_and_b32 s20, s20, exec_lo
.LBB107_57:
	s_or_b32 exec_lo, exec_lo, s3
	s_delay_alu instid0(SALU_CYCLE_1)
	s_and_b32 s2, s2, exec_lo
	s_and_b32 s3, s20, exec_lo
.LBB107_58:
	s_or_b32 exec_lo, exec_lo, s5
	s_delay_alu instid0(SALU_CYCLE_1)
	s_and_b32 vcc_lo, exec_lo, s4
	s_cbranch_vccz .LBB107_64
.LBB107_59:
	v_add_co_u32 v3, s2, s34, v29
	s_delay_alu instid0(VALU_DEP_1)
	v_add_co_ci_u32_e64 v4, null, s35, 0, s2
	s_clause 0x1
	global_load_b32 v5, v29, s[34:35] offset:1024
	global_load_b32 v6, v29, s[34:35] offset:2048
	v_add_co_u32 v1, vcc_lo, 0x1000, v3
	v_add_co_ci_u32_e32 v2, vcc_lo, 0, v4, vcc_lo
	v_add_co_u32 v3, vcc_lo, v3, 0x2000
	v_add_co_ci_u32_e32 v4, vcc_lo, 0, v4, vcc_lo
	s_clause 0x6
	global_load_b32 v7, v29, s[34:35] offset:3072
	global_load_b32 v8, v[1:2], off offset:1024
	global_load_b32 v9, v[1:2], off offset:2048
	global_load_b32 v10, v29, s[34:35]
	global_load_b32 v11, v[3:4], off
	global_load_b32 v3, v[3:4], off offset:-4096
	global_load_b32 v1, v[1:2], off offset:3072
	v_lshl_add_u32 v16, v0, 5, v29
	s_mov_b32 s2, 0
	s_waitcnt vmcnt(3)
	ds_store_2addr_stride64_b32 v29, v10, v5 offset1:4
	ds_store_2addr_stride64_b32 v29, v6, v7 offset0:8 offset1:12
	s_waitcnt vmcnt(1)
	ds_store_2addr_stride64_b32 v29, v3, v8 offset0:16 offset1:20
	s_waitcnt vmcnt(0)
	ds_store_2addr_stride64_b32 v29, v9, v1 offset0:24 offset1:28
	ds_store_b32 v29, v11 offset:8192
	s_waitcnt lgkmcnt(0)
	s_barrier
	buffer_gl0_inv
	s_load_b32 s3, s[34:35], 0x2400
	ds_load_2addr_b32 v[3:4], v16 offset1:1
	ds_load_2addr_b32 v[1:2], v16 offset0:2 offset1:3
	ds_load_2addr_b32 v[11:12], v16 offset0:6 offset1:7
	;; [unrolled: 1-line block ×3, first 2 shown]
	ds_load_b32 v13, v16 offset:32
	s_waitcnt lgkmcnt(0)
	ds_store_b32 v29, v3 offset:10240
	s_waitcnt lgkmcnt(0)
	s_barrier
	v_mov_b32_e32 v25, s3
	s_mov_b32 s3, exec_lo
	buffer_gl0_inv
	v_cmpx_ne_u32_e32 0xff, v0
	s_cbranch_execz .LBB107_61
; %bb.60:
	ds_load_b32 v25, v29 offset:10244
.LBB107_61:
	s_or_b32 exec_lo, exec_lo, s3
	v_lshlrev_b32_e32 v7, 1, v0
	s_waitcnt lgkmcnt(0)
	s_barrier
	buffer_gl0_inv
	v_add_co_u32 v5, s3, s30, v7
	s_delay_alu instid0(VALU_DEP_1) | instskip(SKIP_1) | instid1(VALU_DEP_2)
	v_add_co_ci_u32_e64 v6, null, s31, 0, s3
	s_mov_b32 s3, 1
	v_add_co_u32 v5, vcc_lo, 0x1000, v5
	s_delay_alu instid0(VALU_DEP_2)
	v_add_co_ci_u32_e32 v6, vcc_lo, 0, v6, vcc_lo
	s_clause 0x8
	global_load_i16 v8, v7, s[30:31]
	global_load_i16 v14, v7, s[30:31] offset:512
	global_load_i16 v15, v7, s[30:31] offset:1024
	;; [unrolled: 1-line block ×7, first 2 shown]
	global_load_i16 v5, v[5:6], off
	v_cmp_eq_u32_e32 vcc_lo, v3, v4
	v_mov_b32_e32 v3, s33
	s_waitcnt vmcnt(7)
	ds_store_2addr_stride64_b32 v29, v8, v14 offset1:4
	s_waitcnt vmcnt(5)
	ds_store_2addr_stride64_b32 v29, v15, v17 offset0:8 offset1:12
	s_waitcnt vmcnt(3)
	ds_store_2addr_stride64_b32 v29, v18, v19 offset0:16 offset1:20
	;; [unrolled: 2-line block ×3, first 2 shown]
	s_waitcnt vmcnt(0)
	ds_store_b32 v29, v5 offset:8192
	s_waitcnt lgkmcnt(0)
	s_barrier
	buffer_gl0_inv
	ds_load_2addr_b32 v[7:8], v16 offset0:1 offset1:2
	ds_load_2addr_b32 v[21:22], v16 offset0:3 offset1:8
	ds_load_2addr_b32 v[5:6], v16 offset0:6 offset1:7
	ds_load_2addr_b32 v[23:24], v16 offset0:4 offset1:5
	v_dual_mov_b32 v15, s3 :: v_dual_mov_b32 v14, s2
	s_and_saveexec_b32 s2, vcc_lo
	s_cbranch_execz .LBB107_63
; %bb.62:
	ds_load_b32 v3, v16
	v_mov_b32_e32 v14, 0
	v_mov_b32_e32 v15, 0
.LBB107_63:
	s_or_b32 exec_lo, exec_lo, s2
	v_cmp_eq_u32_e32 vcc_lo, v4, v1
	s_waitcnt lgkmcnt(0)
	v_or_b32_e32 v14, v14, v3
	v_cmp_ne_u32_e64 s2, v13, v25
	s_mov_b32 s3, -1
                                        ; implicit-def: $sgpr6_sgpr7
	v_cndmask_b32_e32 v16, s33, v7, vcc_lo
	v_cmp_ne_u32_e32 vcc_lo, v4, v1
	v_cndmask_b32_e64 v17, 0, 1, vcc_lo
	v_cmp_eq_u32_e32 vcc_lo, v1, v2
	v_cndmask_b32_e32 v18, s33, v8, vcc_lo
	v_cmp_ne_u32_e32 vcc_lo, v1, v2
	v_cndmask_b32_e64 v19, 0, 1, vcc_lo
	v_cmp_eq_u32_e32 vcc_lo, v2, v9
	;; [unrolled: 4-line block ×3, first 2 shown]
	v_cndmask_b32_e32 v7, s33, v6, vcc_lo
	v_cmp_eq_u32_e32 vcc_lo, v11, v12
	v_cndmask_b32_e32 v5, s33, v5, vcc_lo
	v_cmp_eq_u32_e32 vcc_lo, v10, v11
	;; [unrolled: 2-line block ×3, first 2 shown]
	v_cndmask_b32_e64 v24, v22, s33, s2
	v_cndmask_b32_e32 v1, s33, v23, vcc_lo
	v_cmp_ne_u32_e32 vcc_lo, v12, v13
	v_cndmask_b32_e64 v8, 0, 1, vcc_lo
	v_cmp_ne_u32_e32 vcc_lo, v11, v12
	v_cndmask_b32_e64 v6, 0, 1, vcc_lo
	;; [unrolled: 2-line block ×4, first 2 shown]
.LBB107_64:
	v_dual_mov_b32 v23, s7 :: v_dual_mov_b32 v22, s6
	s_and_saveexec_b32 s4, s3
; %bb.65:
	v_cndmask_b32_e64 v25, 0, 1, s2
	s_delay_alu instid0(VALU_DEP_1)
	v_dual_mov_b32 v22, v24 :: v_dual_mov_b32 v23, v25
; %bb.66:
	s_or_b32 exec_lo, exec_lo, s4
	v_mbcnt_lo_u32_b32 v28, -1, 0
	s_cmp_lg_u32 s15, 0
	s_mov_b32 s10, 0
	s_barrier
	buffer_gl0_inv
	s_cbranch_scc0 .LBB107_102
; %bb.67:
	v_or_b32_e32 v10, v23, v8
	s_mov_b32 s11, 1
	s_delay_alu instid0(SALU_CYCLE_1) | instskip(SKIP_1) | instid1(VALU_DEP_3)
	v_cmp_gt_u64_e64 s2, s[10:11], v[16:17]
	v_cmp_gt_u64_e64 s3, s[10:11], v[18:19]
	v_or3_b32 v10, v10, v6, v4
	v_cmp_gt_u64_e64 s4, s[10:11], v[20:21]
	v_cmp_gt_u64_e64 s5, s[10:11], v[1:2]
	;; [unrolled: 1-line block ×3, first 2 shown]
	v_cndmask_b32_e64 v9, 0, v14, s2
	v_or3_b32 v10, v10, v2, v21
	v_cmp_gt_u64_e64 s7, s[10:11], v[5:6]
	v_cmp_gt_u64_e64 s8, s[10:11], v[7:8]
	s_delay_alu instid0(VALU_DEP_3) | instskip(NEXT) | instid1(VALU_DEP_1)
	v_or3_b32 v10, v10, v19, v17
	v_and_b32_e32 v10, 1, v10
	s_delay_alu instid0(VALU_DEP_1) | instskip(SKIP_4) | instid1(VALU_DEP_3)
	v_cmp_eq_u32_e32 vcc_lo, 1, v10
	v_cndmask_b32_e64 v10, v15, 1, vcc_lo
	v_add_nc_u32_e32 v9, v9, v16
	v_cmp_gt_u64_e32 vcc_lo, s[10:11], v[22:23]
	s_mov_b32 s10, exec_lo
	v_and_b32_e32 v11, 0xff, v10
	s_delay_alu instid0(VALU_DEP_3) | instskip(SKIP_1) | instid1(VALU_DEP_3)
	v_cndmask_b32_e64 v9, 0, v9, s3
	v_and_b32_e32 v13, 1, v10
	v_mov_b32_dpp v12, v11 row_shr:1 row_mask:0xf bank_mask:0xf
	s_delay_alu instid0(VALU_DEP_3) | instskip(NEXT) | instid1(VALU_DEP_1)
	v_add_nc_u32_e32 v9, v9, v18
	v_cndmask_b32_e64 v9, 0, v9, s4
	s_delay_alu instid0(VALU_DEP_1) | instskip(NEXT) | instid1(VALU_DEP_1)
	v_add_nc_u32_e32 v9, v9, v20
	v_cndmask_b32_e64 v9, 0, v9, s5
	s_delay_alu instid0(VALU_DEP_1) | instskip(NEXT) | instid1(VALU_DEP_1)
	v_add_nc_u32_e32 v9, v9, v1
	v_cndmask_b32_e64 v9, 0, v9, s6
	s_delay_alu instid0(VALU_DEP_1) | instskip(NEXT) | instid1(VALU_DEP_1)
	v_add_nc_u32_e32 v9, v9, v3
	v_cndmask_b32_e64 v9, 0, v9, s7
	s_delay_alu instid0(VALU_DEP_1) | instskip(NEXT) | instid1(VALU_DEP_1)
	v_add_nc_u32_e32 v9, v9, v5
	v_cndmask_b32_e64 v9, 0, v9, s8
	s_delay_alu instid0(VALU_DEP_1) | instskip(NEXT) | instid1(VALU_DEP_1)
	v_add_nc_u32_e32 v9, v9, v7
	v_cndmask_b32_e32 v9, 0, v9, vcc_lo
	v_cmp_eq_u32_e32 vcc_lo, 1, v13
	s_delay_alu instid0(VALU_DEP_2) | instskip(NEXT) | instid1(VALU_DEP_1)
	v_add_nc_u32_e32 v9, v9, v22
	v_mov_b32_dpp v25, v9 row_shr:1 row_mask:0xf bank_mask:0xf
	v_and_b32_e32 v24, 1, v12
	s_delay_alu instid0(VALU_DEP_1) | instskip(SKIP_1) | instid1(VALU_DEP_4)
	v_cndmask_b32_e64 v24, v24, 1, vcc_lo
	v_cmp_eq_u16_e32 vcc_lo, 0, v11
	v_cndmask_b32_e32 v13, 0, v25, vcc_lo
	s_delay_alu instid0(VALU_DEP_3) | instskip(SKIP_1) | instid1(VALU_DEP_1)
	v_and_b32_e32 v25, 0xffff, v24
	v_and_b32_e32 v12, 15, v28
	v_cmp_eq_u32_e32 vcc_lo, 0, v12
	s_delay_alu instid0(VALU_DEP_3) | instskip(SKIP_2) | instid1(VALU_DEP_3)
	v_cndmask_b32_e32 v11, v25, v11, vcc_lo
	v_cndmask_b32_e64 v13, v13, 0, vcc_lo
	v_cndmask_b32_e32 v10, v24, v10, vcc_lo
	v_mov_b32_dpp v26, v11 row_shr:2 row_mask:0xf bank_mask:0xf
	s_delay_alu instid0(VALU_DEP_3) | instskip(SKIP_1) | instid1(VALU_DEP_2)
	v_add_nc_u32_e32 v9, v13, v9
	v_mov_b32_e32 v13, v11
	v_mov_b32_dpp v25, v9 row_shr:2 row_mask:0xf bank_mask:0xf
	v_cmpx_lt_u32_e32 1, v12
; %bb.68:
	v_cmp_eq_u16_e32 vcc_lo, 0, v24
	v_and_b32_e32 v10, 1, v24
	v_and_b32_e32 v11, 1, v26
	v_cndmask_b32_e32 v13, 0, v25, vcc_lo
	s_delay_alu instid0(VALU_DEP_3) | instskip(NEXT) | instid1(VALU_DEP_2)
	v_cmp_eq_u32_e32 vcc_lo, 1, v10
	v_add_nc_u32_e32 v9, v13, v9
	s_delay_alu instid0(VALU_DEP_4) | instskip(NEXT) | instid1(VALU_DEP_1)
	v_cndmask_b32_e64 v10, v11, 1, vcc_lo
	v_and_b32_e32 v13, 0xffff, v10
	v_mov_b32_e32 v11, v10
; %bb.69:
	s_or_b32 exec_lo, exec_lo, s10
	v_mov_b32_dpp v24, v9 row_shr:4 row_mask:0xf bank_mask:0xf
	s_delay_alu instid0(VALU_DEP_3)
	v_mov_b32_dpp v25, v13 row_shr:4 row_mask:0xf bank_mask:0xf
	s_mov_b32 s9, exec_lo
	v_cmpx_lt_u32_e32 3, v12
; %bb.70:
	v_cmp_eq_u16_e32 vcc_lo, 0, v11
	v_and_b32_e32 v10, 1, v11
	v_and_b32_e32 v13, 1, v25
	v_cndmask_b32_e32 v11, 0, v24, vcc_lo
	s_delay_alu instid0(VALU_DEP_3) | instskip(NEXT) | instid1(VALU_DEP_2)
	v_cmp_eq_u32_e32 vcc_lo, 1, v10
	v_add_nc_u32_e32 v9, v11, v9
	s_delay_alu instid0(VALU_DEP_4) | instskip(NEXT) | instid1(VALU_DEP_1)
	v_cndmask_b32_e64 v10, v13, 1, vcc_lo
	v_and_b32_e32 v13, 0xffff, v10
	v_mov_b32_e32 v11, v10
; %bb.71:
	s_or_b32 exec_lo, exec_lo, s9
	v_mov_b32_dpp v24, v9 row_shr:8 row_mask:0xf bank_mask:0xf
	s_delay_alu instid0(VALU_DEP_3)
	v_mov_b32_dpp v25, v13 row_shr:8 row_mask:0xf bank_mask:0xf
	s_mov_b32 s9, exec_lo
	v_cmpx_lt_u32_e32 7, v12
; %bb.72:
	v_cmp_eq_u16_e32 vcc_lo, 0, v11
	v_and_b32_e32 v10, 1, v11
	v_dual_cndmask_b32 v11, 0, v24 :: v_dual_and_b32 v12, 1, v25
	s_delay_alu instid0(VALU_DEP_2) | instskip(NEXT) | instid1(VALU_DEP_2)
	v_cmp_eq_u32_e32 vcc_lo, 1, v10
	v_add_nc_u32_e32 v9, v11, v9
	s_delay_alu instid0(VALU_DEP_3) | instskip(NEXT) | instid1(VALU_DEP_1)
	v_cndmask_b32_e64 v10, v12, 1, vcc_lo
	v_mov_b32_e32 v11, v10
	v_and_b32_e32 v13, 0xffff, v10
; %bb.73:
	s_or_b32 exec_lo, exec_lo, s9
	ds_swizzle_b32 v12, v9 offset:swizzle(BROADCAST,32,15)
	ds_swizzle_b32 v13, v13 offset:swizzle(BROADCAST,32,15)
	v_cmp_eq_u16_e32 vcc_lo, 0, v11
	v_bfe_i32 v24, v28, 4, 1
	v_and_b32_e32 v25, 16, v28
	v_or_b32_e32 v26, 31, v0
	s_mov_b32 s9, exec_lo
	s_waitcnt lgkmcnt(1)
	v_dual_cndmask_b32 v12, 0, v12 :: v_dual_and_b32 v11, 1, v11
	s_waitcnt lgkmcnt(0)
	v_and_b32_e32 v13, 1, v13
	s_delay_alu instid0(VALU_DEP_2) | instskip(NEXT) | instid1(VALU_DEP_3)
	v_cmp_eq_u32_e32 vcc_lo, 1, v11
	v_and_b32_e32 v12, v24, v12
	s_delay_alu instid0(VALU_DEP_3) | instskip(SKIP_2) | instid1(VALU_DEP_4)
	v_cndmask_b32_e64 v24, v13, 1, vcc_lo
	v_cmp_eq_u32_e32 vcc_lo, 0, v25
	v_lshrrev_b32_e32 v13, 5, v0
	v_add_nc_u32_e32 v11, v12, v9
	s_delay_alu instid0(VALU_DEP_4)
	v_cndmask_b32_e32 v12, v24, v10, vcc_lo
	v_cmpx_eq_u32_e64 v26, v0
	s_cbranch_execz .LBB107_75
; %bb.74:
	v_lshlrev_b32_e32 v9, 3, v13
	ds_store_b32 v9, v11
	ds_store_b8 v9, v12 offset:4
.LBB107_75:
	s_or_b32 exec_lo, exec_lo, s9
	s_delay_alu instid0(SALU_CYCLE_1)
	s_mov_b32 s10, exec_lo
	s_waitcnt lgkmcnt(0)
	s_barrier
	buffer_gl0_inv
	v_cmpx_gt_u32_e32 8, v0
	s_cbranch_execz .LBB107_81
; %bb.76:
	v_lshlrev_b32_e32 v24, 3, v0
	v_and_b32_e32 v25, 7, v28
	s_mov_b32 s9, exec_lo
	ds_load_b64 v[9:10], v24
	s_waitcnt lgkmcnt(0)
	v_dual_mov_b32 v27, v10 :: v_dual_and_b32 v26, 0xffffff00, v10
	v_mov_b32_dpp v30, v9 row_shr:1 row_mask:0xf bank_mask:0xf
	v_mov_b32_dpp v31, v10 row_shr:1 row_mask:0xf bank_mask:0xf
	v_cmpx_ne_u32_e32 0, v25
; %bb.77:
	v_and_b32_e32 v27, 1, v10
	s_delay_alu instid0(VALU_DEP_3) | instskip(SKIP_1) | instid1(VALU_DEP_3)
	v_and_b32_e32 v31, 1, v31
	v_and_b32_e32 v32, 0xff, v10
	v_cmp_eq_u32_e32 vcc_lo, 1, v27
	s_delay_alu instid0(VALU_DEP_3) | instskip(NEXT) | instid1(VALU_DEP_3)
	v_cndmask_b32_e64 v10, v31, 1, vcc_lo
	v_cmp_eq_u16_e32 vcc_lo, 0, v32
	v_cndmask_b32_e32 v27, 0, v30, vcc_lo
	s_delay_alu instid0(VALU_DEP_3) | instskip(NEXT) | instid1(VALU_DEP_2)
	v_and_b32_e32 v30, 0xffff, v10
	v_add_nc_u32_e32 v9, v27, v9
	s_delay_alu instid0(VALU_DEP_2)
	v_or_b32_e32 v27, v26, v30
; %bb.78:
	s_or_b32 exec_lo, exec_lo, s9
	s_delay_alu instid0(VALU_DEP_2) | instskip(NEXT) | instid1(VALU_DEP_2)
	v_mov_b32_dpp v30, v9 row_shr:2 row_mask:0xf bank_mask:0xf
	v_mov_b32_dpp v32, v27 row_shr:2 row_mask:0xf bank_mask:0xf
	v_mov_b32_e32 v31, v27
	s_mov_b32 s9, exec_lo
	v_cmpx_lt_u32_e32 1, v25
; %bb.79:
	v_and_b32_e32 v10, 1, v27
	v_and_b32_e32 v31, 1, v32
	;; [unrolled: 1-line block ×3, first 2 shown]
	s_delay_alu instid0(VALU_DEP_3) | instskip(NEXT) | instid1(VALU_DEP_3)
	v_cmp_eq_u32_e32 vcc_lo, 1, v10
	v_cndmask_b32_e64 v10, v31, 1, vcc_lo
	s_delay_alu instid0(VALU_DEP_3) | instskip(NEXT) | instid1(VALU_DEP_2)
	v_cmp_eq_u16_e32 vcc_lo, 0, v27
	v_mov_b32_e32 v31, v10
	v_cndmask_b32_e32 v27, 0, v30, vcc_lo
	v_and_b32_e32 v30, 0xffff, v10
	s_delay_alu instid0(VALU_DEP_2) | instskip(NEXT) | instid1(VALU_DEP_2)
	v_add_nc_u32_e32 v9, v27, v9
	v_or_b32_e32 v27, v26, v30
; %bb.80:
	s_or_b32 exec_lo, exec_lo, s9
	s_delay_alu instid0(VALU_DEP_1) | instskip(SKIP_2) | instid1(VALU_DEP_3)
	v_mov_b32_dpp v26, v27 row_shr:4 row_mask:0xf bank_mask:0xf
	v_and_b32_e32 v30, 1, v31
	v_and_b32_e32 v27, 0xff, v31
	;; [unrolled: 1-line block ×3, first 2 shown]
	s_delay_alu instid0(VALU_DEP_3) | instskip(NEXT) | instid1(VALU_DEP_3)
	v_cmp_eq_u32_e64 s9, 1, v30
	v_cmp_eq_u16_e32 vcc_lo, 0, v27
	s_delay_alu instid0(VALU_DEP_2) | instskip(SKIP_2) | instid1(VALU_DEP_2)
	v_cndmask_b32_e64 v26, v26, 1, s9
	v_cmp_lt_u32_e64 s9, 3, v25
	v_mov_b32_dpp v25, v9 row_shr:4 row_mask:0xf bank_mask:0xf
	s_and_b32 vcc_lo, s9, vcc_lo
	s_delay_alu instid0(VALU_DEP_3) | instskip(NEXT) | instid1(VALU_DEP_2)
	v_cndmask_b32_e64 v10, v10, v26, s9
	v_cndmask_b32_e32 v25, 0, v25, vcc_lo
	s_delay_alu instid0(VALU_DEP_1)
	v_add_nc_u32_e32 v9, v25, v9
	ds_store_b32 v24, v9
	ds_store_b8 v24, v10 offset:4
.LBB107_81:
	s_or_b32 exec_lo, exec_lo, s10
	v_cmp_gt_u32_e32 vcc_lo, 32, v0
	v_dual_mov_b32 v30, 0 :: v_dual_mov_b32 v31, 0
	s_mov_b32 s10, exec_lo
	s_waitcnt lgkmcnt(0)
	s_barrier
	buffer_gl0_inv
	v_cmpx_lt_u32_e32 31, v0
	s_cbranch_execz .LBB107_83
; %bb.82:
	v_lshl_add_u32 v9, v13, 3, -8
	v_and_b32_e32 v10, 1, v12
	ds_load_b32 v30, v9
	ds_load_u8 v31, v9 offset:4
	v_and_b32_e32 v9, 0xff, v12
	s_delay_alu instid0(VALU_DEP_1) | instskip(SKIP_1) | instid1(VALU_DEP_1)
	v_cmp_eq_u16_e64 s9, 0, v9
	s_waitcnt lgkmcnt(1)
	v_cndmask_b32_e64 v9, 0, v30, s9
	v_cmp_eq_u32_e64 s9, 1, v10
	s_delay_alu instid0(VALU_DEP_2) | instskip(SKIP_1) | instid1(VALU_DEP_2)
	v_add_nc_u32_e32 v11, v9, v11
	s_waitcnt lgkmcnt(0)
	v_cndmask_b32_e64 v12, v31, 1, s9
.LBB107_83:
	s_or_b32 exec_lo, exec_lo, s10
	v_add_nc_u32_e32 v9, -1, v28
	s_delay_alu instid0(VALU_DEP_2) | instskip(NEXT) | instid1(VALU_DEP_2)
	v_and_b32_e32 v10, 0xff, v12
	v_cmp_gt_i32_e64 s9, 0, v9
	s_delay_alu instid0(VALU_DEP_1) | instskip(SKIP_1) | instid1(VALU_DEP_2)
	v_cndmask_b32_e64 v9, v9, v28, s9
	v_cmp_eq_u32_e64 s9, 0, v28
	v_lshlrev_b32_e32 v9, 2, v9
	ds_bpermute_b32 v32, v9, v11
	ds_bpermute_b32 v33, v9, v10
	s_and_saveexec_b32 s11, vcc_lo
	s_cbranch_execz .LBB107_101
; %bb.84:
	v_mov_b32_e32 v12, 0
	ds_load_b64 v[9:10], v12 offset:56
	s_waitcnt lgkmcnt(0)
	v_readfirstlane_b32 s22, v10
	s_and_saveexec_b32 s10, s9
	s_cbranch_execz .LBB107_86
; %bb.85:
	s_add_i32 s20, s15, 32
	s_mov_b32 s21, 0
	v_mov_b32_e32 v11, 1
	s_lshl_b64 s[24:25], s[20:21], 4
	s_mov_b32 s26, s21
	s_add_u32 s24, s16, s24
	s_addc_u32 s25, s17, s25
	s_and_b32 s27, s22, 0xff000000
	s_and_b32 s31, s22, 0xff0000
	s_mov_b32 s30, s21
	v_dual_mov_b32 v24, s24 :: v_dual_mov_b32 v25, s25
	s_or_b64 s[26:27], s[30:31], s[26:27]
	s_and_b32 s31, s22, 0xff00
	s_delay_alu instid0(SALU_CYCLE_1) | instskip(SKIP_1) | instid1(SALU_CYCLE_1)
	s_or_b64 s[26:27], s[26:27], s[30:31]
	s_and_b32 s31, s22, 0xff
	s_or_b64 s[20:21], s[26:27], s[30:31]
	s_delay_alu instid0(SALU_CYCLE_1)
	v_mov_b32_e32 v10, s21
	;;#ASMSTART
	global_store_dwordx4 v[24:25], v[9:12] off	
s_waitcnt vmcnt(0)
	;;#ASMEND
.LBB107_86:
	s_or_b32 exec_lo, exec_lo, s10
	v_xad_u32 v24, v28, -1, s15
	s_mov_b32 s20, 0
	s_mov_b32 s10, exec_lo
	s_delay_alu instid0(VALU_DEP_1) | instskip(NEXT) | instid1(VALU_DEP_1)
	v_add_nc_u32_e32 v11, 32, v24
	v_lshlrev_b64 v[10:11], 4, v[11:12]
	s_delay_alu instid0(VALU_DEP_1) | instskip(NEXT) | instid1(VALU_DEP_2)
	v_add_co_u32 v25, vcc_lo, s16, v10
	v_add_co_ci_u32_e32 v26, vcc_lo, s17, v11, vcc_lo
	;;#ASMSTART
	global_load_dwordx4 v[10:13], v[25:26] off glc	
s_waitcnt vmcnt(0)
	;;#ASMEND
	v_and_b32_e32 v13, 0xff, v12
	s_delay_alu instid0(VALU_DEP_1)
	v_cmpx_eq_u16_e32 0, v13
	s_cbranch_execz .LBB107_89
.LBB107_87:                             ; =>This Inner Loop Header: Depth=1
	;;#ASMSTART
	global_load_dwordx4 v[10:13], v[25:26] off glc	
s_waitcnt vmcnt(0)
	;;#ASMEND
	v_and_b32_e32 v13, 0xff, v12
	s_delay_alu instid0(VALU_DEP_1) | instskip(SKIP_1) | instid1(SALU_CYCLE_1)
	v_cmp_ne_u16_e32 vcc_lo, 0, v13
	s_or_b32 s20, vcc_lo, s20
	s_and_not1_b32 exec_lo, exec_lo, s20
	s_cbranch_execnz .LBB107_87
; %bb.88:
	s_or_b32 exec_lo, exec_lo, s20
.LBB107_89:
	s_delay_alu instid0(SALU_CYCLE_1)
	s_or_b32 exec_lo, exec_lo, s10
	v_cmp_ne_u32_e32 vcc_lo, 31, v28
	v_and_b32_e32 v26, 0xff, v11
	v_and_b32_e32 v25, 0xff, v12
	v_lshlrev_b32_e64 v35, v28, -1
	v_and_b32_e32 v11, 1, v11
	v_add_co_ci_u32_e32 v13, vcc_lo, 0, v28, vcc_lo
	s_delay_alu instid0(VALU_DEP_4) | instskip(SKIP_2) | instid1(VALU_DEP_2)
	v_cmp_eq_u16_e32 vcc_lo, 2, v25
	s_mov_b32 s20, 0
	s_mov_b32 s21, 1
	v_lshlrev_b32_e32 v34, 2, v13
	v_add_nc_u32_e32 v46, 16, v28
	v_and_or_b32 v25, vcc_lo, v35, 0x80000000
	v_cmp_gt_u32_e32 vcc_lo, 30, v28
	ds_bpermute_b32 v13, v34, v26
	v_cndmask_b32_e64 v27, 0, 1, vcc_lo
	v_cmp_eq_u32_e32 vcc_lo, 1, v11
	s_waitcnt lgkmcnt(0)
	v_and_b32_e32 v13, 1, v13
	s_delay_alu instid0(VALU_DEP_1) | instskip(SKIP_2) | instid1(VALU_DEP_3)
	v_cndmask_b32_e64 v11, v13, 1, vcc_lo
	v_ctz_i32_b32_e32 v13, v25
	v_lshlrev_b32_e32 v25, 1, v27
	v_and_b32_e32 v27, 0xffff, v11
	s_delay_alu instid0(VALU_DEP_2) | instskip(SKIP_1) | instid1(VALU_DEP_1)
	v_add_lshl_u32 v37, v25, v28, 2
	v_dual_mov_b32 v25, v10 :: v_dual_add_nc_u32 v36, 1, v28
	v_cmp_gt_u64_e64 s10, s[20:21], v[25:26]
	s_delay_alu instid0(VALU_DEP_2)
	v_cmp_gt_u32_e32 vcc_lo, v36, v13
	v_cndmask_b32_e32 v27, v27, v26, vcc_lo
	v_cndmask_b32_e32 v11, v11, v26, vcc_lo
	ds_bpermute_b32 v38, v34, v10
	ds_bpermute_b32 v39, v37, v27
	v_and_b32_e32 v26, 1, v11
	s_waitcnt lgkmcnt(1)
	v_cndmask_b32_e64 v25, 0, v38, s10
	v_cmp_eq_u16_e64 s10, 0, v11
	s_waitcnt lgkmcnt(0)
	v_and_b32_e32 v38, 1, v39
	s_delay_alu instid0(VALU_DEP_3) | instskip(SKIP_3) | instid1(VALU_DEP_2)
	v_cndmask_b32_e64 v25, v25, 0, vcc_lo
	v_cmp_gt_u32_e32 vcc_lo, 28, v28
	v_cndmask_b32_e64 v39, 0, 1, vcc_lo
	v_cmp_eq_u32_e32 vcc_lo, 1, v26
	v_lshlrev_b32_e32 v39, 2, v39
	v_cndmask_b32_e64 v26, v38, 1, vcc_lo
	v_add_nc_u32_e32 v38, 2, v28
	s_delay_alu instid0(VALU_DEP_3) | instskip(NEXT) | instid1(VALU_DEP_3)
	v_add_lshl_u32 v39, v39, v28, 2
	v_and_b32_e32 v40, 0xffff, v26
	s_delay_alu instid0(VALU_DEP_3) | instskip(NEXT) | instid1(VALU_DEP_2)
	v_cmp_gt_u32_e32 vcc_lo, v38, v13
	v_dual_cndmask_b32 v27, v40, v27 :: v_dual_add_nc_u32 v10, v25, v10
	ds_bpermute_b32 v25, v37, v10
	v_cndmask_b32_e32 v26, v26, v11, vcc_lo
	v_add_nc_u32_e32 v40, 4, v28
	s_delay_alu instid0(VALU_DEP_2)
	v_and_b32_e32 v41, 1, v26
	s_waitcnt lgkmcnt(0)
	v_cndmask_b32_e64 v11, 0, v25, s10
	ds_bpermute_b32 v25, v39, v27
	v_cmp_eq_u16_e64 s10, 0, v26
	v_cndmask_b32_e64 v11, v11, 0, vcc_lo
	v_cmp_gt_u32_e32 vcc_lo, 24, v28
	s_delay_alu instid0(VALU_DEP_2)
	v_add_nc_u32_e32 v10, v11, v10
	v_cndmask_b32_e64 v42, 0, 1, vcc_lo
	v_cmp_eq_u32_e32 vcc_lo, 1, v41
	ds_bpermute_b32 v11, v39, v10
	v_lshlrev_b32_e32 v41, 3, v42
	s_waitcnt lgkmcnt(1)
	v_and_b32_e32 v25, 1, v25
	s_delay_alu instid0(VALU_DEP_2) | instskip(NEXT) | instid1(VALU_DEP_2)
	v_add_lshl_u32 v41, v41, v28, 2
	v_cndmask_b32_e64 v25, v25, 1, vcc_lo
	v_cmp_gt_u32_e32 vcc_lo, v40, v13
	s_delay_alu instid0(VALU_DEP_2) | instskip(SKIP_2) | instid1(VALU_DEP_2)
	v_dual_cndmask_b32 v25, v25, v26 :: v_dual_and_b32 v42, 0xffff, v25
	s_waitcnt lgkmcnt(0)
	v_cndmask_b32_e64 v11, 0, v11, s10
	v_dual_cndmask_b32 v26, v42, v27 :: v_dual_and_b32 v43, 1, v25
	v_add_nc_u32_e32 v42, 8, v28
	s_delay_alu instid0(VALU_DEP_3)
	v_cndmask_b32_e64 v11, v11, 0, vcc_lo
	ds_bpermute_b32 v27, v41, v26
	v_cmp_gt_u32_e32 vcc_lo, 16, v28
	v_add_nc_u32_e32 v10, v11, v10
	v_cndmask_b32_e64 v44, 0, 1, vcc_lo
	v_cmp_eq_u32_e32 vcc_lo, 1, v43
	ds_bpermute_b32 v11, v41, v10
	v_lshlrev_b32_e32 v43, 4, v44
	s_delay_alu instid0(VALU_DEP_1) | instskip(SKIP_2) | instid1(VALU_DEP_1)
	v_add_lshl_u32 v45, v43, v28, 2
	s_waitcnt lgkmcnt(1)
	v_and_b32_e32 v27, 1, v27
	v_cndmask_b32_e64 v27, v27, 1, vcc_lo
	v_cmp_eq_u16_e32 vcc_lo, 0, v25
	s_delay_alu instid0(VALU_DEP_2) | instskip(SKIP_3) | instid1(VALU_DEP_2)
	v_and_b32_e32 v44, 0xffff, v27
	s_waitcnt lgkmcnt(0)
	v_cndmask_b32_e32 v11, 0, v11, vcc_lo
	v_cmp_gt_u32_e32 vcc_lo, v42, v13
	v_cndmask_b32_e64 v11, v11, 0, vcc_lo
	v_dual_cndmask_b32 v26, v44, v26 :: v_dual_cndmask_b32 v25, v27, v25
	s_delay_alu instid0(VALU_DEP_2)
	v_add_nc_u32_e32 v10, v11, v10
	ds_bpermute_b32 v11, v45, v26
	v_and_b32_e32 v27, 0xff, v25
	v_and_b32_e32 v43, 1, v25
	ds_bpermute_b32 v26, v45, v10
	v_cmp_eq_u16_e32 vcc_lo, 0, v27
	s_waitcnt lgkmcnt(0)
	v_dual_cndmask_b32 v26, 0, v26 :: v_dual_and_b32 v11, 1, v11
	v_cmp_eq_u32_e32 vcc_lo, 1, v43
	s_delay_alu instid0(VALU_DEP_2) | instskip(SKIP_1) | instid1(VALU_DEP_4)
	v_cndmask_b32_e64 v11, v11, 1, vcc_lo
	v_cmp_gt_u32_e32 vcc_lo, v46, v13
	v_cndmask_b32_e64 v13, v26, 0, vcc_lo
	s_delay_alu instid0(VALU_DEP_3) | instskip(NEXT) | instid1(VALU_DEP_2)
	v_cndmask_b32_e32 v11, v11, v25, vcc_lo
	v_dual_mov_b32 v25, 0 :: v_dual_add_nc_u32 v10, v13, v10
	s_branch .LBB107_91
.LBB107_90:                             ;   in Loop: Header=BB107_91 Depth=1
	s_or_b32 exec_lo, exec_lo, s10
	v_and_b32_e32 v27, 0xff, v11
	v_and_b32_e32 v26, 0xff, v12
	;; [unrolled: 1-line block ×3, first 2 shown]
	ds_bpermute_b32 v47, v34, v10
	v_subrev_nc_u32_e32 v24, 32, v24
	ds_bpermute_b32 v13, v34, v27
	v_cmp_eq_u16_e32 vcc_lo, 2, v26
	v_and_or_b32 v26, vcc_lo, v35, 0x80000000
	v_cmp_eq_u32_e32 vcc_lo, 1, v11
	s_waitcnt lgkmcnt(0)
	v_and_b32_e32 v13, 1, v13
	s_delay_alu instid0(VALU_DEP_1) | instskip(SKIP_2) | instid1(VALU_DEP_3)
	v_cndmask_b32_e64 v11, v13, 1, vcc_lo
	v_ctz_i32_b32_e32 v13, v26
	v_mov_b32_e32 v26, v10
	v_and_b32_e32 v48, 0xffff, v11
	s_delay_alu instid0(VALU_DEP_3) | instskip(NEXT) | instid1(VALU_DEP_3)
	v_cmp_gt_u32_e32 vcc_lo, v36, v13
	v_cmp_gt_u64_e64 s10, s[20:21], v[26:27]
	s_delay_alu instid0(VALU_DEP_3) | instskip(SKIP_1) | instid1(VALU_DEP_3)
	v_cndmask_b32_e32 v48, v48, v27, vcc_lo
	v_cndmask_b32_e32 v11, v11, v27, vcc_lo
	v_cndmask_b32_e64 v26, 0, v47, s10
	ds_bpermute_b32 v27, v37, v48
	v_and_b32_e32 v47, 1, v11
	v_cndmask_b32_e64 v26, v26, 0, vcc_lo
	v_cmp_eq_u16_e64 s10, 0, v11
	s_delay_alu instid0(VALU_DEP_3) | instskip(SKIP_2) | instid1(VALU_DEP_1)
	v_cmp_eq_u32_e32 vcc_lo, 1, v47
	s_waitcnt lgkmcnt(0)
	v_and_b32_e32 v27, 1, v27
	v_cndmask_b32_e64 v27, v27, 1, vcc_lo
	v_cmp_gt_u32_e32 vcc_lo, v38, v13
	v_add_nc_u32_e32 v10, v26, v10
	s_delay_alu instid0(VALU_DEP_3) | instskip(SKIP_4) | instid1(VALU_DEP_1)
	v_and_b32_e32 v47, 0xffff, v27
	v_cndmask_b32_e32 v11, v27, v11, vcc_lo
	ds_bpermute_b32 v26, v37, v10
	s_waitcnt lgkmcnt(0)
	v_cndmask_b32_e64 v26, 0, v26, s10
	v_cndmask_b32_e64 v26, v26, 0, vcc_lo
	v_dual_cndmask_b32 v27, v47, v48 :: v_dual_and_b32 v48, 1, v11
	s_delay_alu instid0(VALU_DEP_2)
	v_add_nc_u32_e32 v10, v26, v10
	ds_bpermute_b32 v47, v39, v27
	v_cmp_eq_u32_e32 vcc_lo, 1, v48
	ds_bpermute_b32 v26, v39, v10
	s_waitcnt lgkmcnt(1)
	v_and_b32_e32 v47, 1, v47
	s_delay_alu instid0(VALU_DEP_1) | instskip(SKIP_1) | instid1(VALU_DEP_2)
	v_cndmask_b32_e64 v47, v47, 1, vcc_lo
	v_cmp_eq_u16_e32 vcc_lo, 0, v11
	v_and_b32_e32 v48, 0xffff, v47
	s_waitcnt lgkmcnt(0)
	v_cndmask_b32_e32 v26, 0, v26, vcc_lo
	v_cmp_gt_u32_e32 vcc_lo, v40, v13
	s_delay_alu instid0(VALU_DEP_2) | instskip(SKIP_1) | instid1(VALU_DEP_2)
	v_cndmask_b32_e64 v26, v26, 0, vcc_lo
	v_cndmask_b32_e32 v11, v47, v11, vcc_lo
	v_dual_cndmask_b32 v27, v48, v27 :: v_dual_add_nc_u32 v10, v26, v10
	s_delay_alu instid0(VALU_DEP_2)
	v_and_b32_e32 v48, 1, v11
	ds_bpermute_b32 v26, v41, v27
	v_cmp_eq_u16_e32 vcc_lo, 0, v11
	ds_bpermute_b32 v47, v41, v10
	s_waitcnt lgkmcnt(0)
	v_dual_cndmask_b32 v47, 0, v47 :: v_dual_and_b32 v26, 1, v26
	v_cmp_eq_u32_e32 vcc_lo, 1, v48
	s_delay_alu instid0(VALU_DEP_2) | instskip(SKIP_1) | instid1(VALU_DEP_2)
	v_cndmask_b32_e64 v26, v26, 1, vcc_lo
	v_cmp_gt_u32_e32 vcc_lo, v42, v13
	v_dual_cndmask_b32 v11, v26, v11 :: v_dual_and_b32 v26, 0xffff, v26
	v_cndmask_b32_e64 v47, v47, 0, vcc_lo
	s_delay_alu instid0(VALU_DEP_2) | instskip(NEXT) | instid1(VALU_DEP_2)
	v_cndmask_b32_e32 v26, v26, v27, vcc_lo
	v_add_nc_u32_e32 v10, v47, v10
	s_delay_alu instid0(VALU_DEP_4)
	v_and_b32_e32 v47, 0xff, v11
	v_and_b32_e32 v48, 1, v11
	ds_bpermute_b32 v26, v45, v26
	ds_bpermute_b32 v27, v45, v10
	v_cmp_eq_u16_e32 vcc_lo, 0, v47
	s_waitcnt lgkmcnt(0)
	v_cndmask_b32_e32 v27, 0, v27, vcc_lo
	v_cmp_eq_u32_e32 vcc_lo, 1, v48
	v_cndmask_b32_e64 v26, v26, 1, vcc_lo
	v_cmp_gt_u32_e32 vcc_lo, v46, v13
	s_delay_alu instid0(VALU_DEP_2) | instskip(SKIP_2) | instid1(VALU_DEP_3)
	v_cndmask_b32_e32 v11, v26, v11, vcc_lo
	v_cndmask_b32_e64 v13, v27, 0, vcc_lo
	v_and_b32_e32 v26, 0xff, v43
	v_and_b32_e32 v11, 1, v11
	s_delay_alu instid0(VALU_DEP_3) | instskip(NEXT) | instid1(VALU_DEP_3)
	v_add_nc_u32_e32 v10, v13, v10
	v_cmp_eq_u16_e32 vcc_lo, 0, v26
	s_delay_alu instid0(VALU_DEP_2) | instskip(NEXT) | instid1(VALU_DEP_1)
	v_dual_cndmask_b32 v10, 0, v10 :: v_dual_and_b32 v13, 1, v43
	v_cmp_eq_u32_e32 vcc_lo, 1, v13
	s_delay_alu instid0(VALU_DEP_2)
	v_add_nc_u32_e32 v10, v10, v44
	v_cndmask_b32_e64 v11, v11, 1, vcc_lo
.LBB107_91:                             ; =>This Loop Header: Depth=1
                                        ;     Child Loop BB107_94 Depth 2
	s_delay_alu instid0(VALU_DEP_1) | instskip(NEXT) | instid1(VALU_DEP_2)
	v_dual_mov_b32 v43, v11 :: v_dual_and_b32 v12, 0xff, v12
	v_mov_b32_e32 v44, v10
	s_delay_alu instid0(VALU_DEP_2) | instskip(SKIP_2) | instid1(VALU_DEP_1)
	v_cmp_ne_u16_e32 vcc_lo, 2, v12
	v_cndmask_b32_e64 v12, 0, 1, vcc_lo
	;;#ASMSTART
	;;#ASMEND
	v_cmp_ne_u32_e32 vcc_lo, 0, v12
	s_cmp_lg_u32 vcc_lo, exec_lo
	s_cbranch_scc1 .LBB107_96
; %bb.92:                               ;   in Loop: Header=BB107_91 Depth=1
	v_lshlrev_b64 v[10:11], 4, v[24:25]
	s_mov_b32 s10, exec_lo
	s_delay_alu instid0(VALU_DEP_1) | instskip(NEXT) | instid1(VALU_DEP_2)
	v_add_co_u32 v26, vcc_lo, s16, v10
	v_add_co_ci_u32_e32 v27, vcc_lo, s17, v11, vcc_lo
	;;#ASMSTART
	global_load_dwordx4 v[10:13], v[26:27] off glc	
s_waitcnt vmcnt(0)
	;;#ASMEND
	v_and_b32_e32 v13, 0xff, v12
	s_delay_alu instid0(VALU_DEP_1)
	v_cmpx_eq_u16_e32 0, v13
	s_cbranch_execz .LBB107_90
; %bb.93:                               ;   in Loop: Header=BB107_91 Depth=1
	s_mov_b32 s23, 0
.LBB107_94:                             ;   Parent Loop BB107_91 Depth=1
                                        ; =>  This Inner Loop Header: Depth=2
	;;#ASMSTART
	global_load_dwordx4 v[10:13], v[26:27] off glc	
s_waitcnt vmcnt(0)
	;;#ASMEND
	v_and_b32_e32 v13, 0xff, v12
	s_delay_alu instid0(VALU_DEP_1) | instskip(SKIP_1) | instid1(SALU_CYCLE_1)
	v_cmp_ne_u16_e32 vcc_lo, 0, v13
	s_or_b32 s23, vcc_lo, s23
	s_and_not1_b32 exec_lo, exec_lo, s23
	s_cbranch_execnz .LBB107_94
; %bb.95:                               ;   in Loop: Header=BB107_91 Depth=1
	s_or_b32 exec_lo, exec_lo, s23
	s_branch .LBB107_90
.LBB107_96:                             ;   in Loop: Header=BB107_91 Depth=1
                                        ; implicit-def: $vgpr11
                                        ; implicit-def: $vgpr10
                                        ; implicit-def: $vgpr12
	s_cbranch_execz .LBB107_91
; %bb.97:
	s_and_saveexec_b32 s10, s9
	s_cbranch_execz .LBB107_99
; %bb.98:
	s_and_b32 s20, s22, 0xff
	s_mov_b32 s21, 0
	s_cmp_eq_u32 s20, 0
	v_and_b32_e32 v11, 1, v43
	s_cselect_b32 vcc_lo, -1, 0
	s_bitcmp1_b32 s22, 0
	v_cndmask_b32_e32 v10, 0, v44, vcc_lo
	s_cselect_b32 s22, -1, 0
	s_add_i32 s20, s15, 32
	v_mov_b32_e32 v12, 0
	s_lshl_b64 s[20:21], s[20:21], 4
	v_add_nc_u32_e32 v9, v10, v9
	s_add_u32 s20, s16, s20
	s_addc_u32 s21, s17, s21
	v_cndmask_b32_e64 v10, v11, 1, s22
	v_mov_b32_e32 v25, s21
	v_dual_mov_b32 v11, 2 :: v_dual_mov_b32 v24, s20
	;;#ASMSTART
	global_store_dwordx4 v[24:25], v[9:12] off	
s_waitcnt vmcnt(0)
	;;#ASMEND
.LBB107_99:
	s_or_b32 exec_lo, exec_lo, s10
	v_cmp_eq_u32_e32 vcc_lo, 0, v0
	s_and_b32 exec_lo, exec_lo, vcc_lo
	s_cbranch_execz .LBB107_101
; %bb.100:
	v_mov_b32_e32 v9, 0
	ds_store_b32 v9, v44 offset:56
	ds_store_b8 v9, v43 offset:60
.LBB107_101:
	s_or_b32 exec_lo, exec_lo, s11
	s_waitcnt lgkmcnt(0)
	v_cndmask_b32_e64 v10, v33, v31, s9
	v_mov_b32_e32 v9, 0
	s_barrier
	buffer_gl0_inv
	v_and_b32_e32 v10, 0xff, v10
	ds_load_b32 v11, v9 offset:56
	v_cndmask_b32_e64 v12, v32, v30, s9
	v_cmp_eq_u16_e32 vcc_lo, 0, v10
	s_waitcnt lgkmcnt(0)
	v_cndmask_b32_e32 v10, 0, v11, vcc_lo
	v_cmp_eq_u32_e32 vcc_lo, 0, v0
	s_delay_alu instid0(VALU_DEP_2) | instskip(SKIP_1) | instid1(VALU_DEP_2)
	v_add_nc_u32_e32 v12, v10, v12
	v_and_b32_e32 v10, 0xff, v15
	v_cndmask_b32_e32 v25, v12, v11, vcc_lo
	s_delay_alu instid0(VALU_DEP_2) | instskip(NEXT) | instid1(VALU_DEP_2)
	v_cmp_eq_u64_e32 vcc_lo, 0, v[9:10]
	v_cndmask_b32_e32 v9, 0, v25, vcc_lo
	s_delay_alu instid0(VALU_DEP_1) | instskip(NEXT) | instid1(VALU_DEP_1)
	v_add_nc_u32_e32 v12, v9, v14
	v_cndmask_b32_e64 v9, 0, v12, s2
	s_delay_alu instid0(VALU_DEP_1) | instskip(NEXT) | instid1(VALU_DEP_1)
	v_add_nc_u32_e32 v13, v9, v16
	v_cndmask_b32_e64 v9, 0, v13, s3
	;; [unrolled: 3-line block ×7, first 2 shown]
	s_delay_alu instid0(VALU_DEP_1)
	v_add_nc_u32_e32 v32, v9, v7
	s_branch .LBB107_124
.LBB107_102:
                                        ; implicit-def: $vgpr25
                                        ; implicit-def: $vgpr12
                                        ; implicit-def: $vgpr13
                                        ; implicit-def: $vgpr24
                                        ; implicit-def: $vgpr26
                                        ; implicit-def: $vgpr27
                                        ; implicit-def: $vgpr30
                                        ; implicit-def: $vgpr31
                                        ; implicit-def: $vgpr32
	s_cbranch_execz .LBB107_124
; %bb.103:
	s_cmp_eq_u64 s[28:29], 0
	s_cbranch_scc1 .LBB107_105
; %bb.104:
	s_load_b32 s33, s[28:29], 0x0
.LBB107_105:
	s_mov_b32 s10, 0
	s_mov_b32 s11, 1
	v_and_b32_e32 v10, 1, v2
	v_cmp_gt_u64_e32 vcc_lo, s[10:11], v[16:17]
	v_cmp_gt_u64_e64 s2, s[10:11], v[18:19]
	v_cmp_gt_u64_e64 s5, s[10:11], v[3:4]
	;; [unrolled: 1-line block ×3, first 2 shown]
	v_and_b32_e32 v12, 1, v4
	v_or3_b32 v4, v23, v21, v19
	s_delay_alu instid0(VALU_DEP_1) | instskip(NEXT) | instid1(VALU_DEP_1)
	v_dual_cndmask_b32 v9, 0, v14 :: v_dual_and_b32 v4, 1, v4
	v_add_nc_u32_e32 v11, v9, v16
	v_mov_b32_e32 v9, 0
	v_and_b32_e32 v25, 1, v8
	v_and_b32_e32 v27, 1, v6
	v_and_b32_e32 v6, 1, v17
	v_cndmask_b32_e64 v13, 0, v11, s2
	v_mov_b32_e32 v26, v9
	v_cmp_ne_u64_e64 s3, 0, v[9:10]
	v_mov_b32_e32 v11, v9
	v_mov_b32_e32 v24, v9
	v_add_nc_u32_e32 v13, v13, v18
	v_cmp_eq_u32_e64 s7, 1, v4
	v_cmp_eq_u32_e64 s9, 1, v6
	v_cndmask_b32_e64 v9, 0, 1, s3
	v_cmp_gt_u64_e64 s3, s[10:11], v[20:21]
	s_delay_alu instid0(VALU_DEP_1) | instskip(NEXT) | instid1(VALU_DEP_1)
	v_cndmask_b32_e64 v10, 0, v13, s3
	v_add_nc_u32_e32 v10, v10, v20
	v_cmp_ne_u64_e64 s4, 0, v[11:12]
	s_delay_alu instid0(VALU_DEP_1) | instskip(SKIP_1) | instid1(VALU_DEP_2)
	v_cndmask_b32_e64 v11, 0, 1, s4
	v_cmp_ne_u64_e64 s4, 0, v[26:27]
	v_lshlrev_b16 v11, 1, v11
	s_delay_alu instid0(VALU_DEP_2) | instskip(SKIP_1) | instid1(VALU_DEP_3)
	v_cndmask_b32_e64 v12, 0, 1, s4
	v_cmp_ne_u64_e64 s4, 0, v[24:25]
	v_or_b32_e32 v9, v9, v11
	s_delay_alu instid0(VALU_DEP_2) | instskip(SKIP_1) | instid1(VALU_DEP_3)
	v_cndmask_b32_e64 v13, 0, 1, s4
	v_cmp_gt_u64_e64 s4, s[10:11], v[1:2]
	v_and_b32_e32 v9, 3, v9
	s_delay_alu instid0(VALU_DEP_2) | instskip(SKIP_2) | instid1(VALU_DEP_3)
	v_cndmask_b32_e64 v2, 0, v10, s4
	v_lshlrev_b16 v10, 2, v12
	v_lshlrev_b16 v12, 3, v13
	v_add_nc_u32_e32 v2, v2, v1
	s_delay_alu instid0(VALU_DEP_2) | instskip(NEXT) | instid1(VALU_DEP_2)
	v_or_b32_e32 v10, v12, v10
	v_cndmask_b32_e64 v2, 0, v2, s5
	s_delay_alu instid0(VALU_DEP_2) | instskip(NEXT) | instid1(VALU_DEP_2)
	v_or_b32_e32 v9, v9, v10
	v_add_nc_u32_e32 v2, v2, v3
	s_delay_alu instid0(VALU_DEP_2) | instskip(NEXT) | instid1(VALU_DEP_2)
	v_and_b32_e32 v9, 15, v9
	v_cndmask_b32_e64 v2, 0, v2, s6
	s_delay_alu instid0(VALU_DEP_2) | instskip(NEXT) | instid1(VALU_DEP_2)
	v_cmp_ne_u16_e64 s8, 0, v9
	v_add_nc_u32_e32 v2, v2, v5
	s_delay_alu instid0(VALU_DEP_2) | instskip(SKIP_2) | instid1(SALU_CYCLE_1)
	s_or_b32 s8, s7, s8
	v_cmp_gt_u64_e64 s7, s[10:11], v[7:8]
	s_or_b32 s8, s8, s9
	v_cndmask_b32_e64 v4, v15, 1, s8
	v_cmp_gt_u64_e64 s8, s[10:11], v[22:23]
	s_mov_b32 s10, exec_lo
	s_delay_alu instid0(VALU_DEP_3) | instskip(NEXT) | instid1(VALU_DEP_3)
	v_cndmask_b32_e64 v2, 0, v2, s7
	v_and_b32_e32 v6, 0xff, v4
	v_and_b32_e32 v9, 1, v4
	s_delay_alu instid0(VALU_DEP_3) | instskip(NEXT) | instid1(VALU_DEP_3)
	v_add_nc_u32_e32 v2, v2, v7
	v_mov_b32_dpp v8, v6 row_shr:1 row_mask:0xf bank_mask:0xf
	s_delay_alu instid0(VALU_DEP_2) | instskip(NEXT) | instid1(VALU_DEP_4)
	v_cndmask_b32_e64 v2, 0, v2, s8
	v_cmp_eq_u32_e64 s8, 1, v9
	s_delay_alu instid0(VALU_DEP_3) | instskip(SKIP_1) | instid1(VALU_DEP_4)
	v_and_b32_e32 v10, 1, v8
	v_and_b32_e32 v8, 15, v28
	v_add_nc_u32_e32 v2, v2, v22
	s_delay_alu instid0(VALU_DEP_3) | instskip(SKIP_1) | instid1(VALU_DEP_3)
	v_cndmask_b32_e64 v10, v10, 1, s8
	v_cmp_eq_u16_e64 s8, 0, v6
	v_mov_b32_dpp v11, v2 row_shr:1 row_mask:0xf bank_mask:0xf
	s_delay_alu instid0(VALU_DEP_1) | instskip(SKIP_2) | instid1(VALU_DEP_2)
	v_cndmask_b32_e64 v9, 0, v11, s8
	v_cmp_eq_u32_e64 s8, 0, v8
	v_and_b32_e32 v11, 0xffff, v10
	v_cndmask_b32_e64 v9, v9, 0, s8
	s_delay_alu instid0(VALU_DEP_2) | instskip(SKIP_1) | instid1(VALU_DEP_3)
	v_cndmask_b32_e64 v6, v11, v6, s8
	v_cndmask_b32_e64 v4, v10, v4, s8
	v_add_nc_u32_e32 v2, v9, v2
	s_delay_alu instid0(VALU_DEP_3) | instskip(SKIP_1) | instid1(VALU_DEP_3)
	v_mov_b32_dpp v12, v6 row_shr:2 row_mask:0xf bank_mask:0xf
	v_mov_b32_e32 v9, v6
	v_mov_b32_dpp v11, v2 row_shr:2 row_mask:0xf bank_mask:0xf
	v_cmpx_lt_u32_e32 1, v8
; %bb.106:
	v_and_b32_e32 v4, 1, v10
	v_cmp_eq_u16_e64 s8, 0, v10
	v_and_b32_e32 v6, 1, v12
	s_delay_alu instid0(VALU_DEP_2) | instskip(NEXT) | instid1(VALU_DEP_4)
	v_cndmask_b32_e64 v9, 0, v11, s8
	v_cmp_eq_u32_e64 s8, 1, v4
	s_delay_alu instid0(VALU_DEP_2) | instskip(NEXT) | instid1(VALU_DEP_2)
	v_add_nc_u32_e32 v2, v9, v2
	v_cndmask_b32_e64 v4, v6, 1, s8
	s_delay_alu instid0(VALU_DEP_1)
	v_dual_mov_b32 v6, v4 :: v_dual_and_b32 v9, 0xffff, v4
; %bb.107:
	s_or_b32 exec_lo, exec_lo, s10
	s_delay_alu instid0(VALU_DEP_3) | instskip(NEXT) | instid1(VALU_DEP_2)
	v_mov_b32_dpp v10, v2 row_shr:4 row_mask:0xf bank_mask:0xf
	v_mov_b32_dpp v11, v9 row_shr:4 row_mask:0xf bank_mask:0xf
	s_mov_b32 s9, exec_lo
	v_cmpx_lt_u32_e32 3, v8
; %bb.108:
	v_and_b32_e32 v4, 1, v6
	v_cmp_eq_u16_e64 s8, 0, v6
	v_and_b32_e32 v9, 1, v11
	s_delay_alu instid0(VALU_DEP_2) | instskip(NEXT) | instid1(VALU_DEP_4)
	v_cndmask_b32_e64 v6, 0, v10, s8
	v_cmp_eq_u32_e64 s8, 1, v4
	s_delay_alu instid0(VALU_DEP_2) | instskip(NEXT) | instid1(VALU_DEP_2)
	v_add_nc_u32_e32 v2, v6, v2
	v_cndmask_b32_e64 v4, v9, 1, s8
	s_delay_alu instid0(VALU_DEP_1)
	v_dual_mov_b32 v6, v4 :: v_dual_and_b32 v9, 0xffff, v4
; %bb.109:
	s_or_b32 exec_lo, exec_lo, s9
	s_delay_alu instid0(VALU_DEP_3) | instskip(NEXT) | instid1(VALU_DEP_2)
	v_mov_b32_dpp v10, v2 row_shr:8 row_mask:0xf bank_mask:0xf
	v_mov_b32_dpp v11, v9 row_shr:8 row_mask:0xf bank_mask:0xf
	s_mov_b32 s9, exec_lo
	v_cmpx_lt_u32_e32 7, v8
; %bb.110:
	v_and_b32_e32 v4, 1, v6
	v_cmp_eq_u16_e64 s8, 0, v6
	v_and_b32_e32 v8, 1, v11
	s_delay_alu instid0(VALU_DEP_2) | instskip(NEXT) | instid1(VALU_DEP_4)
	v_cndmask_b32_e64 v6, 0, v10, s8
	v_cmp_eq_u32_e64 s8, 1, v4
	s_delay_alu instid0(VALU_DEP_2) | instskip(NEXT) | instid1(VALU_DEP_2)
	v_add_nc_u32_e32 v2, v6, v2
	v_cndmask_b32_e64 v4, v8, 1, s8
	s_delay_alu instid0(VALU_DEP_1)
	v_dual_mov_b32 v6, v4 :: v_dual_and_b32 v9, 0xffff, v4
; %bb.111:
	s_or_b32 exec_lo, exec_lo, s9
	ds_swizzle_b32 v8, v2 offset:swizzle(BROADCAST,32,15)
	ds_swizzle_b32 v9, v9 offset:swizzle(BROADCAST,32,15)
	v_cmp_eq_u16_e64 s8, 0, v6
	v_and_b32_e32 v6, 1, v6
	v_bfe_i32 v10, v28, 4, 1
	v_and_b32_e32 v11, 16, v28
	s_mov_b32 s9, exec_lo
	s_waitcnt lgkmcnt(0)
	v_cndmask_b32_e64 v8, 0, v8, s8
	v_and_b32_e32 v9, 1, v9
	v_cmp_eq_u32_e64 s8, 1, v6
	v_lshrrev_b32_e32 v6, 5, v0
	s_delay_alu instid0(VALU_DEP_4) | instskip(SKIP_1) | instid1(VALU_DEP_4)
	v_and_b32_e32 v8, v10, v8
	v_or_b32_e32 v10, 31, v0
	v_cndmask_b32_e64 v9, v9, 1, s8
	v_cmp_eq_u32_e64 s8, 0, v11
	s_delay_alu instid0(VALU_DEP_4) | instskip(NEXT) | instid1(VALU_DEP_2)
	v_add_nc_u32_e32 v2, v8, v2
	v_cndmask_b32_e64 v4, v9, v4, s8
	v_cmpx_eq_u32_e64 v10, v0
	s_cbranch_execz .LBB107_113
; %bb.112:
	v_lshlrev_b32_e32 v8, 3, v6
	ds_store_b32 v8, v2
	ds_store_b8 v8, v4 offset:4
.LBB107_113:
	s_or_b32 exec_lo, exec_lo, s9
	s_delay_alu instid0(SALU_CYCLE_1)
	s_mov_b32 s10, exec_lo
	s_waitcnt lgkmcnt(0)
	s_barrier
	buffer_gl0_inv
	v_cmpx_gt_u32_e32 8, v0
	s_cbranch_execz .LBB107_119
; %bb.114:
	v_lshlrev_b32_e32 v10, 3, v0
	v_and_b32_e32 v11, 7, v28
	s_mov_b32 s9, exec_lo
	ds_load_b64 v[8:9], v10
	s_waitcnt lgkmcnt(0)
	v_dual_mov_b32 v13, v9 :: v_dual_and_b32 v12, 0xffffff00, v9
	v_mov_b32_dpp v17, v8 row_shr:1 row_mask:0xf bank_mask:0xf
	v_mov_b32_dpp v19, v9 row_shr:1 row_mask:0xf bank_mask:0xf
	v_cmpx_ne_u32_e32 0, v11
; %bb.115:
	v_and_b32_e32 v13, 1, v9
	s_delay_alu instid0(VALU_DEP_3) | instskip(SKIP_1) | instid1(VALU_DEP_3)
	v_and_b32_e32 v19, 1, v19
	v_and_b32_e32 v21, 0xff, v9
	v_cmp_eq_u32_e64 s8, 1, v13
	s_delay_alu instid0(VALU_DEP_1) | instskip(NEXT) | instid1(VALU_DEP_3)
	v_cndmask_b32_e64 v9, v19, 1, s8
	v_cmp_eq_u16_e64 s8, 0, v21
	s_delay_alu instid0(VALU_DEP_1) | instskip(NEXT) | instid1(VALU_DEP_3)
	v_cndmask_b32_e64 v13, 0, v17, s8
	v_and_b32_e32 v17, 0xffff, v9
	s_delay_alu instid0(VALU_DEP_2) | instskip(NEXT) | instid1(VALU_DEP_2)
	v_add_nc_u32_e32 v8, v13, v8
	v_or_b32_e32 v13, v12, v17
; %bb.116:
	s_or_b32 exec_lo, exec_lo, s9
	s_delay_alu instid0(VALU_DEP_2) | instskip(NEXT) | instid1(VALU_DEP_2)
	v_mov_b32_dpp v17, v8 row_shr:2 row_mask:0xf bank_mask:0xf
	v_mov_b32_dpp v21, v13 row_shr:2 row_mask:0xf bank_mask:0xf
	v_mov_b32_e32 v19, v13
	s_mov_b32 s9, exec_lo
	v_cmpx_lt_u32_e32 1, v11
; %bb.117:
	v_and_b32_e32 v9, 1, v13
	v_and_b32_e32 v19, 1, v21
	;; [unrolled: 1-line block ×3, first 2 shown]
	s_delay_alu instid0(VALU_DEP_3) | instskip(NEXT) | instid1(VALU_DEP_1)
	v_cmp_eq_u32_e64 s8, 1, v9
	v_cndmask_b32_e64 v9, v19, 1, s8
	s_delay_alu instid0(VALU_DEP_3) | instskip(NEXT) | instid1(VALU_DEP_2)
	v_cmp_eq_u16_e64 s8, 0, v13
	v_mov_b32_e32 v19, v9
	s_delay_alu instid0(VALU_DEP_2) | instskip(SKIP_1) | instid1(VALU_DEP_2)
	v_cndmask_b32_e64 v13, 0, v17, s8
	v_and_b32_e32 v17, 0xffff, v9
	v_add_nc_u32_e32 v8, v13, v8
	s_delay_alu instid0(VALU_DEP_2)
	v_or_b32_e32 v13, v12, v17
; %bb.118:
	s_or_b32 exec_lo, exec_lo, s9
	s_delay_alu instid0(VALU_DEP_1) | instskip(SKIP_2) | instid1(VALU_DEP_3)
	v_mov_b32_dpp v12, v13 row_shr:4 row_mask:0xf bank_mask:0xf
	v_and_b32_e32 v17, 1, v19
	v_and_b32_e32 v13, 0xff, v19
	;; [unrolled: 1-line block ×3, first 2 shown]
	s_delay_alu instid0(VALU_DEP_3) | instskip(NEXT) | instid1(VALU_DEP_3)
	v_cmp_eq_u32_e64 s9, 1, v17
	v_cmp_eq_u16_e64 s8, 0, v13
	s_delay_alu instid0(VALU_DEP_2) | instskip(SKIP_2) | instid1(VALU_DEP_2)
	v_cndmask_b32_e64 v12, v12, 1, s9
	v_cmp_lt_u32_e64 s9, 3, v11
	v_mov_b32_dpp v11, v8 row_shr:4 row_mask:0xf bank_mask:0xf
	s_and_b32 s8, s9, s8
	s_delay_alu instid0(VALU_DEP_3) | instskip(NEXT) | instid1(VALU_DEP_2)
	v_cndmask_b32_e64 v9, v9, v12, s9
	v_cndmask_b32_e64 v11, 0, v11, s8
	s_delay_alu instid0(VALU_DEP_1)
	v_add_nc_u32_e32 v8, v11, v8
	ds_store_b32 v10, v8
	ds_store_b8 v10, v9 offset:4
.LBB107_119:
	s_or_b32 exec_lo, exec_lo, s10
	v_mov_b32_e32 v8, s33
	s_mov_b32 s9, exec_lo
	s_waitcnt lgkmcnt(0)
	s_barrier
	buffer_gl0_inv
	v_cmpx_lt_u32_e32 31, v0
	s_cbranch_execz .LBB107_121
; %bb.120:
	v_lshl_add_u32 v6, v6, 3, -8
	ds_load_u8 v8, v6 offset:4
	ds_load_b32 v6, v6
	s_waitcnt lgkmcnt(1)
	v_cmp_eq_u16_e64 s8, 0, v8
	s_delay_alu instid0(VALU_DEP_1) | instskip(SKIP_1) | instid1(VALU_DEP_1)
	v_cndmask_b32_e64 v8, 0, s33, s8
	s_waitcnt lgkmcnt(0)
	v_add_nc_u32_e32 v8, v8, v6
.LBB107_121:
	s_or_b32 exec_lo, exec_lo, s9
	v_and_b32_e32 v4, 0xff, v4
	v_add_nc_u32_e32 v6, -1, v28
	v_and_b32_e32 v9, 0xff, v15
	s_delay_alu instid0(VALU_DEP_3) | instskip(NEXT) | instid1(VALU_DEP_1)
	v_cmp_eq_u16_e64 s8, 0, v4
	v_cndmask_b32_e64 v4, 0, v8, s8
	s_delay_alu instid0(VALU_DEP_4) | instskip(NEXT) | instid1(VALU_DEP_2)
	v_cmp_gt_i32_e64 s8, 0, v6
	v_add_nc_u32_e32 v2, v4, v2
	s_delay_alu instid0(VALU_DEP_2) | instskip(SKIP_1) | instid1(VALU_DEP_2)
	v_cndmask_b32_e64 v6, v6, v28, s8
	v_cmp_eq_u32_e64 s8, 0, v28
	v_lshlrev_b32_e32 v4, 2, v6
	ds_bpermute_b32 v2, v4, v2
	s_waitcnt lgkmcnt(0)
	v_cndmask_b32_e64 v25, v2, v8, s8
	v_mov_b32_e32 v8, 0
	v_cmp_eq_u32_e64 s8, 0, v0
	s_delay_alu instid0(VALU_DEP_2) | instskip(NEXT) | instid1(VALU_DEP_2)
	v_cmp_eq_u64_e64 s9, 0, v[8:9]
	v_cndmask_b32_e64 v2, v25, s33, s8
	s_delay_alu instid0(VALU_DEP_1) | instskip(NEXT) | instid1(VALU_DEP_1)
	v_cndmask_b32_e64 v2, 0, v2, s9
	v_add_nc_u32_e32 v12, v2, v14
	s_delay_alu instid0(VALU_DEP_1) | instskip(NEXT) | instid1(VALU_DEP_1)
	v_cndmask_b32_e32 v2, 0, v12, vcc_lo
	v_add_nc_u32_e32 v13, v2, v16
	s_delay_alu instid0(VALU_DEP_1) | instskip(NEXT) | instid1(VALU_DEP_1)
	v_cndmask_b32_e64 v2, 0, v13, s2
	v_add_nc_u32_e32 v24, v2, v18
	s_delay_alu instid0(VALU_DEP_1) | instskip(NEXT) | instid1(VALU_DEP_1)
	v_cndmask_b32_e64 v2, 0, v24, s3
	;; [unrolled: 3-line block ×5, first 2 shown]
	v_add_nc_u32_e32 v31, v1, v5
	s_delay_alu instid0(VALU_DEP_1)
	v_cndmask_b32_e64 v1, 0, v31, s7
	s_and_saveexec_b32 s2, s8
	s_cbranch_execz .LBB107_123
; %bb.122:
	ds_load_u8 v2, v8 offset:60
	ds_load_b32 v5, v8 offset:56
	v_dual_mov_b32 v25, s33 :: v_dual_mov_b32 v4, 2
	s_waitcnt lgkmcnt(1)
	v_and_b32_e32 v3, 0xffff, v2
	v_cmp_eq_u16_e32 vcc_lo, 0, v2
	s_and_b32 s3, vcc_lo, exec_lo
	s_cselect_b32 s3, s33, 0
	s_add_u32 s4, s16, 0x200
	s_addc_u32 s5, s17, 0
	s_waitcnt lgkmcnt(0)
	v_dual_mov_b32 v5, v8 :: v_dual_add_nc_u32 v2, s3, v5
	v_dual_mov_b32 v9, s5 :: v_dual_mov_b32 v8, s4
	;;#ASMSTART
	global_store_dwordx4 v[8:9], v[2:5] off	
s_waitcnt vmcnt(0)
	;;#ASMEND
.LBB107_123:
	s_or_b32 exec_lo, exec_lo, s2
	s_delay_alu instid0(VALU_DEP_1)
	v_add_nc_u32_e32 v32, v1, v7
.LBB107_124:
	s_load_b64 s[0:1], s[0:1], 0x18
	v_mul_u32_u24_e32 v14, 36, v0
	v_lshlrev_b32_e32 v15, 5, v0
	s_waitcnt lgkmcnt(0)
	s_add_u32 s0, s0, s12
	s_addc_u32 s1, s1, s13
	s_and_b32 vcc_lo, exec_lo, s19
	s_cbranch_vccz .LBB107_142
; %bb.125:
	v_sub_nc_u32_e32 v1, v14, v15
	s_barrier
	buffer_gl0_inv
	ds_store_2addr_b32 v14, v25, v12 offset1:1
	ds_store_2addr_b32 v14, v13, v24 offset0:2 offset1:3
	ds_store_2addr_b32 v14, v26, v27 offset0:4 offset1:5
	;; [unrolled: 1-line block ×3, first 2 shown]
	ds_store_b32 v14, v32 offset:32
	s_waitcnt lgkmcnt(0)
	s_barrier
	buffer_gl0_inv
	ds_load_2addr_stride64_b32 v[10:11], v1 offset0:4 offset1:8
	ds_load_2addr_stride64_b32 v[8:9], v1 offset0:12 offset1:16
	;; [unrolled: 1-line block ×4, first 2 shown]
	v_add_co_u32 v4, s2, s0, v29
	v_mov_b32_e32 v1, 0
	v_add_co_ci_u32_e64 v5, null, s1, 0, s2
	s_add_i32 s14, s14, s18
	s_mov_b32 s2, exec_lo
	v_cmpx_gt_u32_e64 s14, v0
	s_cbranch_execz .LBB107_127
; %bb.126:
	v_sub_nc_u32_e32 v16, 0, v15
	s_delay_alu instid0(VALU_DEP_1)
	v_add_nc_u32_e32 v16, v14, v16
	ds_load_b32 v16, v16
	s_waitcnt lgkmcnt(0)
	v_cvt_f32_i32_e32 v16, v16
	global_store_b32 v[4:5], v16, off
.LBB107_127:
	s_or_b32 exec_lo, exec_lo, s2
	v_or_b32_e32 v16, 0x100, v0
	s_mov_b32 s2, exec_lo
	s_delay_alu instid0(VALU_DEP_1)
	v_cmpx_gt_u32_e64 s14, v16
	s_cbranch_execz .LBB107_129
; %bb.128:
	s_waitcnt lgkmcnt(3)
	v_cvt_f32_i32_e32 v10, v10
	global_store_b32 v[4:5], v10, off offset:1024
.LBB107_129:
	s_or_b32 exec_lo, exec_lo, s2
	s_waitcnt lgkmcnt(3)
	v_or_b32_e32 v10, 0x200, v0
	s_mov_b32 s2, exec_lo
	s_delay_alu instid0(VALU_DEP_1)
	v_cmpx_gt_u32_e64 s14, v10
	s_cbranch_execz .LBB107_131
; %bb.130:
	v_cvt_f32_i32_e32 v10, v11
	global_store_b32 v[4:5], v10, off offset:2048
.LBB107_131:
	s_or_b32 exec_lo, exec_lo, s2
	v_or_b32_e32 v10, 0x300, v0
	s_mov_b32 s2, exec_lo
	s_delay_alu instid0(VALU_DEP_1)
	v_cmpx_gt_u32_e64 s14, v10
	s_cbranch_execz .LBB107_133
; %bb.132:
	s_waitcnt lgkmcnt(2)
	v_cvt_f32_i32_e32 v8, v8
	global_store_b32 v[4:5], v8, off offset:3072
.LBB107_133:
	s_or_b32 exec_lo, exec_lo, s2
	s_waitcnt lgkmcnt(2)
	v_or_b32_e32 v8, 0x400, v0
	s_mov_b32 s2, exec_lo
	s_delay_alu instid0(VALU_DEP_1)
	v_cmpx_gt_u32_e64 s14, v8
	s_cbranch_execz .LBB107_135
; %bb.134:
	v_add_co_u32 v8, vcc_lo, 0x1000, v4
	v_cvt_f32_i32_e32 v10, v9
	v_add_co_ci_u32_e32 v9, vcc_lo, 0, v5, vcc_lo
	global_store_b32 v[8:9], v10, off
.LBB107_135:
	s_or_b32 exec_lo, exec_lo, s2
	v_or_b32_e32 v8, 0x500, v0
	s_mov_b32 s2, exec_lo
	s_delay_alu instid0(VALU_DEP_1)
	v_cmpx_gt_u32_e64 s14, v8
	s_cbranch_execz .LBB107_137
; %bb.136:
	v_add_co_u32 v8, vcc_lo, 0x1000, v4
	s_waitcnt lgkmcnt(1)
	v_cvt_f32_i32_e32 v6, v6
	v_add_co_ci_u32_e32 v9, vcc_lo, 0, v5, vcc_lo
	global_store_b32 v[8:9], v6, off offset:1024
.LBB107_137:
	s_or_b32 exec_lo, exec_lo, s2
	s_waitcnt lgkmcnt(1)
	v_or_b32_e32 v6, 0x600, v0
	s_mov_b32 s2, exec_lo
	s_delay_alu instid0(VALU_DEP_1)
	v_cmpx_gt_u32_e64 s14, v6
	s_cbranch_execz .LBB107_139
; %bb.138:
	v_add_co_u32 v6, vcc_lo, 0x1000, v4
	v_cvt_f32_i32_e32 v8, v7
	v_add_co_ci_u32_e32 v7, vcc_lo, 0, v5, vcc_lo
	global_store_b32 v[6:7], v8, off offset:2048
.LBB107_139:
	s_or_b32 exec_lo, exec_lo, s2
	v_or_b32_e32 v6, 0x700, v0
	s_mov_b32 s2, exec_lo
	s_delay_alu instid0(VALU_DEP_1)
	v_cmpx_gt_u32_e64 s14, v6
	s_cbranch_execz .LBB107_141
; %bb.140:
	v_add_co_u32 v4, vcc_lo, 0x1000, v4
	s_waitcnt lgkmcnt(0)
	v_cvt_f32_i32_e32 v2, v2
	v_add_co_ci_u32_e32 v5, vcc_lo, 0, v5, vcc_lo
	global_store_b32 v[4:5], v2, off offset:3072
.LBB107_141:
	s_or_b32 exec_lo, exec_lo, s2
	s_waitcnt lgkmcnt(0)
	v_or_b32_e32 v2, 0x800, v0
	s_delay_alu instid0(VALU_DEP_1)
	v_cmp_gt_u32_e64 s2, s14, v2
	s_branch .LBB107_144
.LBB107_142:
	s_mov_b32 s2, 0
                                        ; implicit-def: $vgpr3
	s_cbranch_execz .LBB107_144
; %bb.143:
	v_sub_nc_u32_e32 v2, v14, v15
	s_waitcnt_vscnt null, 0x0
	s_barrier
	buffer_gl0_inv
	ds_store_2addr_b32 v14, v25, v12 offset1:1
	ds_store_2addr_b32 v14, v13, v24 offset0:2 offset1:3
	ds_store_2addr_b32 v14, v26, v27 offset0:4 offset1:5
	;; [unrolled: 1-line block ×3, first 2 shown]
	ds_store_b32 v14, v32 offset:32
	s_waitcnt lgkmcnt(0)
	s_barrier
	buffer_gl0_inv
	ds_load_2addr_stride64_b32 v[4:5], v2 offset1:4
	ds_load_2addr_stride64_b32 v[6:7], v2 offset0:8 offset1:12
	ds_load_2addr_stride64_b32 v[8:9], v2 offset0:16 offset1:20
	;; [unrolled: 1-line block ×3, first 2 shown]
	ds_load_b32 v3, v2 offset:8192
	v_add_co_u32 v12, s3, s0, v29
	s_delay_alu instid0(VALU_DEP_1)
	v_add_co_ci_u32_e64 v13, null, s1, 0, s3
	v_mov_b32_e32 v1, 0
	s_or_b32 s2, s2, exec_lo
	s_waitcnt lgkmcnt(4)
	v_cvt_f32_i32_e32 v14, v5
	s_waitcnt lgkmcnt(3)
	v_cvt_f32_i32_e32 v6, v6
	v_cvt_f32_i32_e32 v2, v4
	v_cvt_f32_i32_e32 v7, v7
	v_add_co_u32 v4, vcc_lo, 0x1000, v12
	s_waitcnt lgkmcnt(2)
	v_cvt_f32_i32_e32 v8, v8
	v_add_co_ci_u32_e32 v5, vcc_lo, 0, v13, vcc_lo
	v_cvt_f32_i32_e32 v9, v9
	s_clause 0x2
	global_store_b32 v29, v14, s[0:1] offset:1024
	global_store_b32 v29, v6, s[0:1] offset:2048
	;; [unrolled: 1-line block ×3, first 2 shown]
	s_waitcnt lgkmcnt(1)
	v_cvt_f32_i32_e32 v6, v11
	v_cvt_f32_i32_e32 v10, v10
	s_clause 0x4
	global_store_b32 v[4:5], v8, off
	global_store_b32 v[4:5], v9, off offset:1024
	global_store_b32 v[4:5], v10, off offset:2048
	global_store_b32 v29, v2, s[0:1]
	global_store_b32 v[4:5], v6, off offset:3072
.LBB107_144:
	s_delay_alu instid0(VALU_DEP_1)
	s_and_saveexec_b32 s3, s2
	s_cbranch_execz .LBB107_146
; %bb.145:
	v_lshlrev_b64 v[0:1], 2, v[0:1]
	s_waitcnt lgkmcnt(0)
	v_cvt_f32_i32_e32 v2, v3
	s_delay_alu instid0(VALU_DEP_2) | instskip(NEXT) | instid1(VALU_DEP_3)
	v_add_co_u32 v0, vcc_lo, s0, v0
	v_add_co_ci_u32_e32 v1, vcc_lo, s1, v1, vcc_lo
	s_delay_alu instid0(VALU_DEP_2) | instskip(NEXT) | instid1(VALU_DEP_2)
	v_add_co_u32 v0, vcc_lo, 0x2000, v0
	v_add_co_ci_u32_e32 v1, vcc_lo, 0, v1, vcc_lo
	global_store_b32 v[0:1], v2, off
	s_nop 0
	s_sendmsg sendmsg(MSG_DEALLOC_VGPRS)
	s_endpgm
.LBB107_146:
	s_nop 0
	s_sendmsg sendmsg(MSG_DEALLOC_VGPRS)
	s_endpgm
	.section	.rodata,"a",@progbits
	.p2align	6, 0x0
	.amdhsa_kernel _ZN7rocprim6detail25device_scan_by_key_kernelILNS0_25lookback_scan_determinismE0ELb1ENS0_26wrapped_scan_by_key_configINS_14default_configEiiEEPiN6hipcub22TransformInputIteratorIsNS7_6CastOpIsEEPslEEPfsNS7_8EqualityENS7_3SumENS0_19lookback_scan_stateINS_5tupleIJibEEELb0ELb1EEEiEEvT2_T3_T4_T5_T6_T7_T8_mmmPKNSH_IJT9_bEEE
		.amdhsa_group_segment_fixed_size 11264
		.amdhsa_private_segment_fixed_size 0
		.amdhsa_kernarg_size 80
		.amdhsa_user_sgpr_count 15
		.amdhsa_user_sgpr_dispatch_ptr 0
		.amdhsa_user_sgpr_queue_ptr 0
		.amdhsa_user_sgpr_kernarg_segment_ptr 1
		.amdhsa_user_sgpr_dispatch_id 0
		.amdhsa_user_sgpr_private_segment_size 0
		.amdhsa_wavefront_size32 1
		.amdhsa_uses_dynamic_stack 0
		.amdhsa_enable_private_segment 0
		.amdhsa_system_sgpr_workgroup_id_x 1
		.amdhsa_system_sgpr_workgroup_id_y 0
		.amdhsa_system_sgpr_workgroup_id_z 0
		.amdhsa_system_sgpr_workgroup_info 0
		.amdhsa_system_vgpr_workitem_id 0
		.amdhsa_next_free_vgpr 49
		.amdhsa_next_free_sgpr 37
		.amdhsa_reserve_vcc 1
		.amdhsa_float_round_mode_32 0
		.amdhsa_float_round_mode_16_64 0
		.amdhsa_float_denorm_mode_32 3
		.amdhsa_float_denorm_mode_16_64 3
		.amdhsa_dx10_clamp 1
		.amdhsa_ieee_mode 1
		.amdhsa_fp16_overflow 0
		.amdhsa_workgroup_processor_mode 1
		.amdhsa_memory_ordered 1
		.amdhsa_forward_progress 0
		.amdhsa_shared_vgpr_count 0
		.amdhsa_exception_fp_ieee_invalid_op 0
		.amdhsa_exception_fp_denorm_src 0
		.amdhsa_exception_fp_ieee_div_zero 0
		.amdhsa_exception_fp_ieee_overflow 0
		.amdhsa_exception_fp_ieee_underflow 0
		.amdhsa_exception_fp_ieee_inexact 0
		.amdhsa_exception_int_div_zero 0
	.end_amdhsa_kernel
	.section	.text._ZN7rocprim6detail25device_scan_by_key_kernelILNS0_25lookback_scan_determinismE0ELb1ENS0_26wrapped_scan_by_key_configINS_14default_configEiiEEPiN6hipcub22TransformInputIteratorIsNS7_6CastOpIsEEPslEEPfsNS7_8EqualityENS7_3SumENS0_19lookback_scan_stateINS_5tupleIJibEEELb0ELb1EEEiEEvT2_T3_T4_T5_T6_T7_T8_mmmPKNSH_IJT9_bEEE,"axG",@progbits,_ZN7rocprim6detail25device_scan_by_key_kernelILNS0_25lookback_scan_determinismE0ELb1ENS0_26wrapped_scan_by_key_configINS_14default_configEiiEEPiN6hipcub22TransformInputIteratorIsNS7_6CastOpIsEEPslEEPfsNS7_8EqualityENS7_3SumENS0_19lookback_scan_stateINS_5tupleIJibEEELb0ELb1EEEiEEvT2_T3_T4_T5_T6_T7_T8_mmmPKNSH_IJT9_bEEE,comdat
.Lfunc_end107:
	.size	_ZN7rocprim6detail25device_scan_by_key_kernelILNS0_25lookback_scan_determinismE0ELb1ENS0_26wrapped_scan_by_key_configINS_14default_configEiiEEPiN6hipcub22TransformInputIteratorIsNS7_6CastOpIsEEPslEEPfsNS7_8EqualityENS7_3SumENS0_19lookback_scan_stateINS_5tupleIJibEEELb0ELb1EEEiEEvT2_T3_T4_T5_T6_T7_T8_mmmPKNSH_IJT9_bEEE, .Lfunc_end107-_ZN7rocprim6detail25device_scan_by_key_kernelILNS0_25lookback_scan_determinismE0ELb1ENS0_26wrapped_scan_by_key_configINS_14default_configEiiEEPiN6hipcub22TransformInputIteratorIsNS7_6CastOpIsEEPslEEPfsNS7_8EqualityENS7_3SumENS0_19lookback_scan_stateINS_5tupleIJibEEELb0ELb1EEEiEEvT2_T3_T4_T5_T6_T7_T8_mmmPKNSH_IJT9_bEEE
                                        ; -- End function
	.section	.AMDGPU.csdata,"",@progbits
; Kernel info:
; codeLenInByte = 9628
; NumSgprs: 39
; NumVgprs: 49
; ScratchSize: 0
; MemoryBound: 0
; FloatMode: 240
; IeeeMode: 1
; LDSByteSize: 11264 bytes/workgroup (compile time only)
; SGPRBlocks: 4
; VGPRBlocks: 6
; NumSGPRsForWavesPerEU: 39
; NumVGPRsForWavesPerEU: 49
; Occupancy: 16
; WaveLimiterHint : 1
; COMPUTE_PGM_RSRC2:SCRATCH_EN: 0
; COMPUTE_PGM_RSRC2:USER_SGPR: 15
; COMPUTE_PGM_RSRC2:TRAP_HANDLER: 0
; COMPUTE_PGM_RSRC2:TGID_X_EN: 1
; COMPUTE_PGM_RSRC2:TGID_Y_EN: 0
; COMPUTE_PGM_RSRC2:TGID_Z_EN: 0
; COMPUTE_PGM_RSRC2:TIDIG_COMP_CNT: 0
	.section	.text._ZN7rocprim6detail25device_scan_by_key_kernelILNS0_25lookback_scan_determinismE0ELb1ENS0_26wrapped_scan_by_key_configINS_14default_configEisEEPiN6hipcub22TransformInputIteratorIsNS7_6CastOpIsEEPslEEPfsNS7_8EqualityENS7_3MaxENS0_19lookback_scan_stateINS_5tupleIJsbEEELb1ELb1EEEsEEvT2_T3_T4_T5_T6_T7_T8_mmmPKNSH_IJT9_bEEE,"axG",@progbits,_ZN7rocprim6detail25device_scan_by_key_kernelILNS0_25lookback_scan_determinismE0ELb1ENS0_26wrapped_scan_by_key_configINS_14default_configEisEEPiN6hipcub22TransformInputIteratorIsNS7_6CastOpIsEEPslEEPfsNS7_8EqualityENS7_3MaxENS0_19lookback_scan_stateINS_5tupleIJsbEEELb1ELb1EEEsEEvT2_T3_T4_T5_T6_T7_T8_mmmPKNSH_IJT9_bEEE,comdat
	.protected	_ZN7rocprim6detail25device_scan_by_key_kernelILNS0_25lookback_scan_determinismE0ELb1ENS0_26wrapped_scan_by_key_configINS_14default_configEisEEPiN6hipcub22TransformInputIteratorIsNS7_6CastOpIsEEPslEEPfsNS7_8EqualityENS7_3MaxENS0_19lookback_scan_stateINS_5tupleIJsbEEELb1ELb1EEEsEEvT2_T3_T4_T5_T6_T7_T8_mmmPKNSH_IJT9_bEEE ; -- Begin function _ZN7rocprim6detail25device_scan_by_key_kernelILNS0_25lookback_scan_determinismE0ELb1ENS0_26wrapped_scan_by_key_configINS_14default_configEisEEPiN6hipcub22TransformInputIteratorIsNS7_6CastOpIsEEPslEEPfsNS7_8EqualityENS7_3MaxENS0_19lookback_scan_stateINS_5tupleIJsbEEELb1ELb1EEEsEEvT2_T3_T4_T5_T6_T7_T8_mmmPKNSH_IJT9_bEEE
	.globl	_ZN7rocprim6detail25device_scan_by_key_kernelILNS0_25lookback_scan_determinismE0ELb1ENS0_26wrapped_scan_by_key_configINS_14default_configEisEEPiN6hipcub22TransformInputIteratorIsNS7_6CastOpIsEEPslEEPfsNS7_8EqualityENS7_3MaxENS0_19lookback_scan_stateINS_5tupleIJsbEEELb1ELb1EEEsEEvT2_T3_T4_T5_T6_T7_T8_mmmPKNSH_IJT9_bEEE
	.p2align	8
	.type	_ZN7rocprim6detail25device_scan_by_key_kernelILNS0_25lookback_scan_determinismE0ELb1ENS0_26wrapped_scan_by_key_configINS_14default_configEisEEPiN6hipcub22TransformInputIteratorIsNS7_6CastOpIsEEPslEEPfsNS7_8EqualityENS7_3MaxENS0_19lookback_scan_stateINS_5tupleIJsbEEELb1ELb1EEEsEEvT2_T3_T4_T5_T6_T7_T8_mmmPKNSH_IJT9_bEEE,@function
_ZN7rocprim6detail25device_scan_by_key_kernelILNS0_25lookback_scan_determinismE0ELb1ENS0_26wrapped_scan_by_key_configINS_14default_configEisEEPiN6hipcub22TransformInputIteratorIsNS7_6CastOpIsEEPslEEPfsNS7_8EqualityENS7_3MaxENS0_19lookback_scan_stateINS_5tupleIJsbEEELb1ELb1EEEsEEvT2_T3_T4_T5_T6_T7_T8_mmmPKNSH_IJT9_bEEE: ; @_ZN7rocprim6detail25device_scan_by_key_kernelILNS0_25lookback_scan_determinismE0ELb1ENS0_26wrapped_scan_by_key_configINS_14default_configEisEEPiN6hipcub22TransformInputIteratorIsNS7_6CastOpIsEEPslEEPfsNS7_8EqualityENS7_3MaxENS0_19lookback_scan_stateINS_5tupleIJsbEEELb1ELb1EEEsEEvT2_T3_T4_T5_T6_T7_T8_mmmPKNSH_IJT9_bEEE
; %bb.0:
	s_endpgm
	.section	.rodata,"a",@progbits
	.p2align	6, 0x0
	.amdhsa_kernel _ZN7rocprim6detail25device_scan_by_key_kernelILNS0_25lookback_scan_determinismE0ELb1ENS0_26wrapped_scan_by_key_configINS_14default_configEisEEPiN6hipcub22TransformInputIteratorIsNS7_6CastOpIsEEPslEEPfsNS7_8EqualityENS7_3MaxENS0_19lookback_scan_stateINS_5tupleIJsbEEELb1ELb1EEEsEEvT2_T3_T4_T5_T6_T7_T8_mmmPKNSH_IJT9_bEEE
		.amdhsa_group_segment_fixed_size 0
		.amdhsa_private_segment_fixed_size 0
		.amdhsa_kernarg_size 80
		.amdhsa_user_sgpr_count 15
		.amdhsa_user_sgpr_dispatch_ptr 0
		.amdhsa_user_sgpr_queue_ptr 0
		.amdhsa_user_sgpr_kernarg_segment_ptr 1
		.amdhsa_user_sgpr_dispatch_id 0
		.amdhsa_user_sgpr_private_segment_size 0
		.amdhsa_wavefront_size32 1
		.amdhsa_uses_dynamic_stack 0
		.amdhsa_enable_private_segment 0
		.amdhsa_system_sgpr_workgroup_id_x 1
		.amdhsa_system_sgpr_workgroup_id_y 0
		.amdhsa_system_sgpr_workgroup_id_z 0
		.amdhsa_system_sgpr_workgroup_info 0
		.amdhsa_system_vgpr_workitem_id 0
		.amdhsa_next_free_vgpr 1
		.amdhsa_next_free_sgpr 1
		.amdhsa_reserve_vcc 0
		.amdhsa_float_round_mode_32 0
		.amdhsa_float_round_mode_16_64 0
		.amdhsa_float_denorm_mode_32 3
		.amdhsa_float_denorm_mode_16_64 3
		.amdhsa_dx10_clamp 1
		.amdhsa_ieee_mode 1
		.amdhsa_fp16_overflow 0
		.amdhsa_workgroup_processor_mode 1
		.amdhsa_memory_ordered 1
		.amdhsa_forward_progress 0
		.amdhsa_shared_vgpr_count 0
		.amdhsa_exception_fp_ieee_invalid_op 0
		.amdhsa_exception_fp_denorm_src 0
		.amdhsa_exception_fp_ieee_div_zero 0
		.amdhsa_exception_fp_ieee_overflow 0
		.amdhsa_exception_fp_ieee_underflow 0
		.amdhsa_exception_fp_ieee_inexact 0
		.amdhsa_exception_int_div_zero 0
	.end_amdhsa_kernel
	.section	.text._ZN7rocprim6detail25device_scan_by_key_kernelILNS0_25lookback_scan_determinismE0ELb1ENS0_26wrapped_scan_by_key_configINS_14default_configEisEEPiN6hipcub22TransformInputIteratorIsNS7_6CastOpIsEEPslEEPfsNS7_8EqualityENS7_3MaxENS0_19lookback_scan_stateINS_5tupleIJsbEEELb1ELb1EEEsEEvT2_T3_T4_T5_T6_T7_T8_mmmPKNSH_IJT9_bEEE,"axG",@progbits,_ZN7rocprim6detail25device_scan_by_key_kernelILNS0_25lookback_scan_determinismE0ELb1ENS0_26wrapped_scan_by_key_configINS_14default_configEisEEPiN6hipcub22TransformInputIteratorIsNS7_6CastOpIsEEPslEEPfsNS7_8EqualityENS7_3MaxENS0_19lookback_scan_stateINS_5tupleIJsbEEELb1ELb1EEEsEEvT2_T3_T4_T5_T6_T7_T8_mmmPKNSH_IJT9_bEEE,comdat
.Lfunc_end108:
	.size	_ZN7rocprim6detail25device_scan_by_key_kernelILNS0_25lookback_scan_determinismE0ELb1ENS0_26wrapped_scan_by_key_configINS_14default_configEisEEPiN6hipcub22TransformInputIteratorIsNS7_6CastOpIsEEPslEEPfsNS7_8EqualityENS7_3MaxENS0_19lookback_scan_stateINS_5tupleIJsbEEELb1ELb1EEEsEEvT2_T3_T4_T5_T6_T7_T8_mmmPKNSH_IJT9_bEEE, .Lfunc_end108-_ZN7rocprim6detail25device_scan_by_key_kernelILNS0_25lookback_scan_determinismE0ELb1ENS0_26wrapped_scan_by_key_configINS_14default_configEisEEPiN6hipcub22TransformInputIteratorIsNS7_6CastOpIsEEPslEEPfsNS7_8EqualityENS7_3MaxENS0_19lookback_scan_stateINS_5tupleIJsbEEELb1ELb1EEEsEEvT2_T3_T4_T5_T6_T7_T8_mmmPKNSH_IJT9_bEEE
                                        ; -- End function
	.section	.AMDGPU.csdata,"",@progbits
; Kernel info:
; codeLenInByte = 4
; NumSgprs: 0
; NumVgprs: 0
; ScratchSize: 0
; MemoryBound: 0
; FloatMode: 240
; IeeeMode: 1
; LDSByteSize: 0 bytes/workgroup (compile time only)
; SGPRBlocks: 0
; VGPRBlocks: 0
; NumSGPRsForWavesPerEU: 1
; NumVGPRsForWavesPerEU: 1
; Occupancy: 16
; WaveLimiterHint : 0
; COMPUTE_PGM_RSRC2:SCRATCH_EN: 0
; COMPUTE_PGM_RSRC2:USER_SGPR: 15
; COMPUTE_PGM_RSRC2:TRAP_HANDLER: 0
; COMPUTE_PGM_RSRC2:TGID_X_EN: 1
; COMPUTE_PGM_RSRC2:TGID_Y_EN: 0
; COMPUTE_PGM_RSRC2:TGID_Z_EN: 0
; COMPUTE_PGM_RSRC2:TIDIG_COMP_CNT: 0
	.section	.text._ZN7rocprim6detail25device_scan_by_key_kernelILNS0_25lookback_scan_determinismE0ELb1ENS0_26wrapped_scan_by_key_configINS_14default_configEisEEPiN6hipcub22TransformInputIteratorIsNS7_6CastOpIsEEPslEEPfsNS7_8EqualityENS7_3MaxENS0_19lookback_scan_stateINS_5tupleIJsbEEELb0ELb1EEEsEEvT2_T3_T4_T5_T6_T7_T8_mmmPKNSH_IJT9_bEEE,"axG",@progbits,_ZN7rocprim6detail25device_scan_by_key_kernelILNS0_25lookback_scan_determinismE0ELb1ENS0_26wrapped_scan_by_key_configINS_14default_configEisEEPiN6hipcub22TransformInputIteratorIsNS7_6CastOpIsEEPslEEPfsNS7_8EqualityENS7_3MaxENS0_19lookback_scan_stateINS_5tupleIJsbEEELb0ELb1EEEsEEvT2_T3_T4_T5_T6_T7_T8_mmmPKNSH_IJT9_bEEE,comdat
	.protected	_ZN7rocprim6detail25device_scan_by_key_kernelILNS0_25lookback_scan_determinismE0ELb1ENS0_26wrapped_scan_by_key_configINS_14default_configEisEEPiN6hipcub22TransformInputIteratorIsNS7_6CastOpIsEEPslEEPfsNS7_8EqualityENS7_3MaxENS0_19lookback_scan_stateINS_5tupleIJsbEEELb0ELb1EEEsEEvT2_T3_T4_T5_T6_T7_T8_mmmPKNSH_IJT9_bEEE ; -- Begin function _ZN7rocprim6detail25device_scan_by_key_kernelILNS0_25lookback_scan_determinismE0ELb1ENS0_26wrapped_scan_by_key_configINS_14default_configEisEEPiN6hipcub22TransformInputIteratorIsNS7_6CastOpIsEEPslEEPfsNS7_8EqualityENS7_3MaxENS0_19lookback_scan_stateINS_5tupleIJsbEEELb0ELb1EEEsEEvT2_T3_T4_T5_T6_T7_T8_mmmPKNSH_IJT9_bEEE
	.globl	_ZN7rocprim6detail25device_scan_by_key_kernelILNS0_25lookback_scan_determinismE0ELb1ENS0_26wrapped_scan_by_key_configINS_14default_configEisEEPiN6hipcub22TransformInputIteratorIsNS7_6CastOpIsEEPslEEPfsNS7_8EqualityENS7_3MaxENS0_19lookback_scan_stateINS_5tupleIJsbEEELb0ELb1EEEsEEvT2_T3_T4_T5_T6_T7_T8_mmmPKNSH_IJT9_bEEE
	.p2align	8
	.type	_ZN7rocprim6detail25device_scan_by_key_kernelILNS0_25lookback_scan_determinismE0ELb1ENS0_26wrapped_scan_by_key_configINS_14default_configEisEEPiN6hipcub22TransformInputIteratorIsNS7_6CastOpIsEEPslEEPfsNS7_8EqualityENS7_3MaxENS0_19lookback_scan_stateINS_5tupleIJsbEEELb0ELb1EEEsEEvT2_T3_T4_T5_T6_T7_T8_mmmPKNSH_IJT9_bEEE,@function
_ZN7rocprim6detail25device_scan_by_key_kernelILNS0_25lookback_scan_determinismE0ELb1ENS0_26wrapped_scan_by_key_configINS_14default_configEisEEPiN6hipcub22TransformInputIteratorIsNS7_6CastOpIsEEPslEEPfsNS7_8EqualityENS7_3MaxENS0_19lookback_scan_stateINS_5tupleIJsbEEELb0ELb1EEEsEEvT2_T3_T4_T5_T6_T7_T8_mmmPKNSH_IJT9_bEEE: ; @_ZN7rocprim6detail25device_scan_by_key_kernelILNS0_25lookback_scan_determinismE0ELb1ENS0_26wrapped_scan_by_key_configINS_14default_configEisEEPiN6hipcub22TransformInputIteratorIsNS7_6CastOpIsEEPslEEPfsNS7_8EqualityENS7_3MaxENS0_19lookback_scan_stateINS_5tupleIJsbEEELb0ELb1EEEsEEvT2_T3_T4_T5_T6_T7_T8_mmmPKNSH_IJT9_bEEE
; %bb.0:
	s_clause 0x1
	s_load_b128 s[4:7], s[0:1], 0x0
	s_load_b256 s[36:43], s[0:1], 0x28
	s_mov_b32 s3, 0
	s_mul_i32 s2, s15, 0x580
	s_clause 0x1
	s_load_b32 s44, s[0:1], 0x20
	s_load_b64 s[30:31], s[0:1], 0x48
	s_lshl_b64 s[28:29], s[2:3], 2
	v_lshlrev_b32_e32 v33, 2, v0
	s_waitcnt lgkmcnt(0)
	s_add_u32 s34, s4, s28
	s_addc_u32 s35, s5, s29
	s_lshl_b64 s[4:5], s[2:3], 1
	s_delay_alu instid0(SALU_CYCLE_1)
	s_add_u32 s26, s6, s4
	s_addc_u32 s27, s7, s5
	s_add_u32 s4, s15, s40
	s_addc_u32 s5, 0, s41
	s_add_u32 s6, s42, -1
	s_addc_u32 s7, s43, -1
	s_mul_i32 s33, s6, 0xfffffa80
	v_cmp_ge_u64_e64 s39, s[4:5], s[6:7]
	s_delay_alu instid0(VALU_DEP_1)
	s_and_b32 vcc_lo, exec_lo, s39
	s_cbranch_vccz .LBB109_116
; %bb.1:
	s_load_b32 s24, s[34:35], 0x0
	s_add_i32 s25, s33, s38
	v_add_co_u32 v1, s2, s34, v33
	s_delay_alu instid0(VALU_DEP_1)
	v_add_co_ci_u32_e64 v2, null, s35, 0, s2
	v_cmp_gt_u32_e32 vcc_lo, s25, v0
	s_waitcnt lgkmcnt(0)
	v_mov_b32_e32 v3, s24
	s_and_saveexec_b32 s2, vcc_lo
	s_cbranch_execz .LBB109_3
; %bb.2:
	global_load_b32 v3, v[1:2], off
.LBB109_3:
	s_or_b32 exec_lo, exec_lo, s2
	v_or_b32_e32 v4, 64, v0
	s_delay_alu instid0(VALU_DEP_1) | instskip(SKIP_1) | instid1(VALU_DEP_2)
	v_cmp_gt_u32_e64 s2, s25, v4
	v_mov_b32_e32 v4, s24
	s_and_saveexec_b32 s3, s2
	s_cbranch_execz .LBB109_5
; %bb.4:
	global_load_b32 v4, v[1:2], off offset:256
.LBB109_5:
	s_or_b32 exec_lo, exec_lo, s3
	v_or_b32_e32 v5, 0x80, v0
	s_delay_alu instid0(VALU_DEP_1) | instskip(SKIP_1) | instid1(VALU_DEP_2)
	v_cmp_gt_u32_e64 s3, s25, v5
	v_mov_b32_e32 v5, s24
	s_and_saveexec_b32 s4, s3
	s_cbranch_execz .LBB109_7
; %bb.6:
	global_load_b32 v5, v[1:2], off offset:512
.LBB109_7:
	;; [unrolled: 10-line block ×15, first 2 shown]
	s_or_b32 exec_lo, exec_lo, s18
	v_or_b32_e32 v19, 0x400, v0
	s_delay_alu instid0(VALU_DEP_1) | instskip(SKIP_1) | instid1(VALU_DEP_2)
	v_cmp_gt_u32_e64 s18, s25, v19
	v_mov_b32_e32 v19, s24
	s_and_saveexec_b32 s20, s18
	s_cbranch_execz .LBB109_35
; %bb.34:
	v_add_co_u32 v19, s19, 0x1000, v1
	s_delay_alu instid0(VALU_DEP_1)
	v_add_co_ci_u32_e64 v20, s19, 0, v2, s19
	global_load_b32 v19, v[19:20], off
.LBB109_35:
	s_or_b32 exec_lo, exec_lo, s20
	v_or_b32_e32 v20, 0x440, v0
	s_delay_alu instid0(VALU_DEP_1) | instskip(SKIP_1) | instid1(VALU_DEP_2)
	v_cmp_gt_u32_e64 s19, s25, v20
	v_mov_b32_e32 v20, s24
	s_and_saveexec_b32 s21, s19
	s_cbranch_execz .LBB109_37
; %bb.36:
	v_add_co_u32 v20, s20, 0x1000, v1
	s_delay_alu instid0(VALU_DEP_1)
	v_add_co_ci_u32_e64 v21, s20, 0, v2, s20
	global_load_b32 v20, v[20:21], off offset:256
.LBB109_37:
	s_or_b32 exec_lo, exec_lo, s21
	v_or_b32_e32 v21, 0x480, v0
	s_delay_alu instid0(VALU_DEP_1) | instskip(SKIP_1) | instid1(VALU_DEP_2)
	v_cmp_gt_u32_e64 s20, s25, v21
	v_mov_b32_e32 v21, s24
	s_and_saveexec_b32 s22, s20
	s_cbranch_execz .LBB109_39
; %bb.38:
	v_add_co_u32 v21, s21, 0x1000, v1
	s_delay_alu instid0(VALU_DEP_1)
	v_add_co_ci_u32_e64 v22, s21, 0, v2, s21
	global_load_b32 v21, v[21:22], off offset:512
.LBB109_39:
	;; [unrolled: 13-line block ×5, first 2 shown]
	s_or_b32 exec_lo, exec_lo, s40
	s_waitcnt vmcnt(0)
	ds_store_2addr_stride64_b32 v33, v3, v4 offset1:1
	ds_store_2addr_stride64_b32 v33, v5, v6 offset0:2 offset1:3
	ds_store_2addr_stride64_b32 v33, v7, v8 offset0:4 offset1:5
	;; [unrolled: 1-line block ×10, first 2 shown]
	s_waitcnt lgkmcnt(0)
	s_barrier
	buffer_gl0_inv
	s_load_b32 s40, s[34:35], 0x0
	v_mad_u32_u24 v21, 0x54, v0, v33
	ds_load_2addr_b64 v[17:20], v21 offset1:1
	ds_load_2addr_b64 v[13:16], v21 offset0:2 offset1:3
	ds_load_2addr_b64 v[9:12], v21 offset0:4 offset1:5
	;; [unrolled: 1-line block ×4, first 2 shown]
	ds_load_b64 v[25:26], v21 offset:80
	v_mad_i32_i24 v23, 0xffffffac, v0, v21
	s_waitcnt lgkmcnt(0)
	v_mov_b32_e32 v50, s40
	s_mov_b32 s40, exec_lo
	ds_store_b32 v23, v17 offset:5888
	s_waitcnt lgkmcnt(0)
	s_barrier
	buffer_gl0_inv
	v_cmpx_ne_u32_e32 63, v0
	s_cbranch_execz .LBB109_47
; %bb.46:
	ds_load_b32 v50, v33 offset:5892
.LBB109_47:
	s_or_b32 exec_lo, exec_lo, s40
	v_lshlrev_b32_e32 v24, 1, v0
	s_waitcnt lgkmcnt(0)
	s_barrier
	buffer_gl0_inv
                                        ; implicit-def: $vgpr27
	v_add_co_u32 v21, s24, s26, v24
	s_delay_alu instid0(VALU_DEP_1)
	v_add_co_ci_u32_e64 v22, null, s27, 0, s24
	s_and_saveexec_b32 s24, vcc_lo
	s_cbranch_execz .LBB109_179
; %bb.48:
	global_load_u16 v27, v[21:22], off
	s_or_b32 exec_lo, exec_lo, s24
                                        ; implicit-def: $vgpr28
	s_and_saveexec_b32 s24, s2
	s_cbranch_execnz .LBB109_180
.LBB109_49:
	s_or_b32 exec_lo, exec_lo, s24
                                        ; implicit-def: $vgpr29
	s_and_saveexec_b32 s2, s3
	s_cbranch_execz .LBB109_181
.LBB109_50:
	global_load_u16 v29, v[21:22], off offset:256
	s_or_b32 exec_lo, exec_lo, s2
                                        ; implicit-def: $vgpr30
	s_and_saveexec_b32 s2, s4
	s_cbranch_execnz .LBB109_182
.LBB109_51:
	s_or_b32 exec_lo, exec_lo, s2
                                        ; implicit-def: $vgpr31
	s_and_saveexec_b32 s2, s5
	s_cbranch_execz .LBB109_183
.LBB109_52:
	global_load_u16 v31, v[21:22], off offset:512
	s_or_b32 exec_lo, exec_lo, s2
                                        ; implicit-def: $vgpr32
	s_and_saveexec_b32 s2, s6
	s_cbranch_execnz .LBB109_184
.LBB109_53:
	s_or_b32 exec_lo, exec_lo, s2
                                        ; implicit-def: $vgpr34
	s_and_saveexec_b32 s2, s7
	s_cbranch_execz .LBB109_185
.LBB109_54:
	global_load_u16 v34, v[21:22], off offset:768
	s_or_b32 exec_lo, exec_lo, s2
                                        ; implicit-def: $vgpr35
	s_and_saveexec_b32 s2, s8
	s_cbranch_execnz .LBB109_186
.LBB109_55:
	s_or_b32 exec_lo, exec_lo, s2
                                        ; implicit-def: $vgpr36
	s_and_saveexec_b32 s2, s9
	s_cbranch_execz .LBB109_187
.LBB109_56:
	global_load_u16 v36, v[21:22], off offset:1024
	s_or_b32 exec_lo, exec_lo, s2
                                        ; implicit-def: $vgpr37
	s_and_saveexec_b32 s2, s10
	s_cbranch_execnz .LBB109_188
.LBB109_57:
	s_or_b32 exec_lo, exec_lo, s2
                                        ; implicit-def: $vgpr38
	s_and_saveexec_b32 s2, s11
	s_cbranch_execz .LBB109_189
.LBB109_58:
	global_load_u16 v38, v[21:22], off offset:1280
	s_or_b32 exec_lo, exec_lo, s2
                                        ; implicit-def: $vgpr39
	s_and_saveexec_b32 s2, s12
	s_cbranch_execnz .LBB109_190
.LBB109_59:
	s_or_b32 exec_lo, exec_lo, s2
                                        ; implicit-def: $vgpr40
	s_and_saveexec_b32 s2, s13
	s_cbranch_execz .LBB109_191
.LBB109_60:
	global_load_u16 v40, v[21:22], off offset:1536
	s_or_b32 exec_lo, exec_lo, s2
                                        ; implicit-def: $vgpr41
	s_and_saveexec_b32 s2, s14
	s_cbranch_execnz .LBB109_192
.LBB109_61:
	s_or_b32 exec_lo, exec_lo, s2
                                        ; implicit-def: $vgpr42
	s_and_saveexec_b32 s2, s16
	s_cbranch_execz .LBB109_193
.LBB109_62:
	global_load_u16 v42, v[21:22], off offset:1792
	s_or_b32 exec_lo, exec_lo, s2
                                        ; implicit-def: $vgpr43
	s_and_saveexec_b32 s2, s17
	s_cbranch_execnz .LBB109_194
.LBB109_63:
	s_or_b32 exec_lo, exec_lo, s2
                                        ; implicit-def: $vgpr44
	s_and_saveexec_b32 s2, s18
	s_cbranch_execz .LBB109_195
.LBB109_64:
	global_load_u16 v44, v[21:22], off offset:2048
	s_or_b32 exec_lo, exec_lo, s2
                                        ; implicit-def: $vgpr45
	s_and_saveexec_b32 s2, s19
	s_cbranch_execnz .LBB109_196
.LBB109_65:
	s_or_b32 exec_lo, exec_lo, s2
                                        ; implicit-def: $vgpr46
	s_and_saveexec_b32 s2, s20
	s_cbranch_execz .LBB109_197
.LBB109_66:
	global_load_u16 v46, v[21:22], off offset:2304
	s_or_b32 exec_lo, exec_lo, s2
                                        ; implicit-def: $vgpr47
	s_and_saveexec_b32 s2, s21
	s_cbranch_execnz .LBB109_198
.LBB109_67:
	s_or_b32 exec_lo, exec_lo, s2
                                        ; implicit-def: $vgpr48
	s_and_saveexec_b32 s2, s22
	s_cbranch_execz .LBB109_69
.LBB109_68:
	global_load_u16 v48, v[21:22], off offset:2560
.LBB109_69:
	s_or_b32 exec_lo, exec_lo, s2
	v_mul_u32_u24_e32 v51, 22, v0
                                        ; implicit-def: $vgpr49
	s_and_saveexec_b32 s2, s23
	s_cbranch_execz .LBB109_71
; %bb.70:
	global_load_u16 v49, v[21:22], off offset:2688
.LBB109_71:
	s_or_b32 exec_lo, exec_lo, s2
	v_sub_nc_u32_e32 v21, v23, v24
	v_cmp_gt_u32_e32 vcc_lo, s25, v51
	s_mov_b32 s3, 0
	s_mov_b32 s2, 0
                                        ; implicit-def: $sgpr5
	s_waitcnt vmcnt(0)
	ds_store_b16 v21, v27
	ds_store_b16 v21, v28 offset:128
	ds_store_b16 v21, v29 offset:256
	ds_store_b16 v21, v30 offset:384
	ds_store_b16 v21, v31 offset:512
	ds_store_b16 v21, v32 offset:640
	ds_store_b16 v21, v34 offset:768
	ds_store_b16 v21, v35 offset:896
	ds_store_b16 v21, v36 offset:1024
	ds_store_b16 v21, v37 offset:1152
	ds_store_b16 v21, v38 offset:1280
	ds_store_b16 v21, v39 offset:1408
	ds_store_b16 v21, v40 offset:1536
	ds_store_b16 v21, v41 offset:1664
	ds_store_b16 v21, v42 offset:1792
	ds_store_b16 v21, v43 offset:1920
	ds_store_b16 v21, v44 offset:2048
	ds_store_b16 v21, v45 offset:2176
	ds_store_b16 v21, v46 offset:2304
	ds_store_b16 v21, v47 offset:2432
	ds_store_b16 v21, v48 offset:2560
	ds_store_b16 v21, v49 offset:2688
	v_dual_mov_b32 v34, 0 :: v_dual_mov_b32 v35, 0
	v_dual_mov_b32 v36, 0 :: v_dual_mov_b32 v27, 0
	;; [unrolled: 1-line block ×10, first 2 shown]
	v_mov_b32_e32 v49, 0
	s_waitcnt lgkmcnt(0)
	s_barrier
	buffer_gl0_inv
                                        ; implicit-def: $vgpr30
	s_and_saveexec_b32 s4, vcc_lo
	s_cbranch_execz .LBB109_115
; %bb.72:
	v_mad_u32_u24 v22, v0, 42, v21
	v_cmp_ne_u32_e32 vcc_lo, v17, v18
	v_or_b32_e32 v23, 1, v51
	v_dual_mov_b32 v35, 0 :: v_dual_mov_b32 v36, 0
	ds_load_u16 v22, v22
	v_cndmask_b32_e64 v24, 0, 1, vcc_lo
	v_cmp_eq_u32_e32 vcc_lo, v17, v18
	v_dual_mov_b32 v27, 0 :: v_dual_mov_b32 v28, 0
	v_dual_mov_b32 v37, 0 :: v_dual_mov_b32 v38, 0
	;; [unrolled: 1-line block ×7, first 2 shown]
	v_mov_b32_e32 v29, 0
	v_mov_b32_e32 v31, 0
	;; [unrolled: 1-line block ×3, first 2 shown]
	s_waitcnt lgkmcnt(0)
	v_dual_cndmask_b32 v17, s44, v22 :: v_dual_mov_b32 v46, 0
	s_mov_b32 s7, 0
	s_mov_b32 s6, 0
	s_mov_b32 s3, exec_lo
	s_delay_alu instid0(VALU_DEP_1) | instskip(NEXT) | instid1(VALU_DEP_1)
	v_and_b32_e32 v17, 0xffff, v17
                                        ; implicit-def: $sgpr5
                                        ; implicit-def: $vgpr30
	v_lshl_or_b32 v34, v24, 16, v17
	v_cmpx_gt_u32_e64 s25, v23
	s_cbranch_execz .LBB109_114
; %bb.73:
	v_mul_u32_u24_e32 v17, 42, v0
	v_cmp_ne_u32_e32 vcc_lo, v18, v19
	v_dual_mov_b32 v27, 0 :: v_dual_add_nc_u32 v30, 2, v51
	v_dual_mov_b32 v37, 0 :: v_dual_mov_b32 v28, 0
	s_delay_alu instid0(VALU_DEP_4)
	v_dual_mov_b32 v36, 0 :: v_dual_add_nc_u32 v17, v21, v17
	v_cndmask_b32_e64 v35, 0, 1, vcc_lo
	v_cmp_eq_u32_e32 vcc_lo, v18, v19
	v_dual_mov_b32 v38, 0 :: v_dual_mov_b32 v39, 0
	ds_load_b128 v[21:24], v17 offset:2
	v_dual_mov_b32 v40, 0 :: v_dual_mov_b32 v41, 0
	v_dual_mov_b32 v42, 0 :: v_dual_mov_b32 v43, 0
	;; [unrolled: 1-line block ×5, first 2 shown]
	v_mov_b32_e32 v48, 0
                                        ; implicit-def: $sgpr8
	v_mov_b32_e32 v47, 0
	s_waitcnt lgkmcnt(0)
	v_dual_mov_b32 v31, 0 :: v_dual_cndmask_b32 v18, s44, v21
	v_cmp_gt_u32_e32 vcc_lo, s25, v30
                                        ; implicit-def: $vgpr30
	s_delay_alu instid0(VALU_DEP_2) | instskip(NEXT) | instid1(VALU_DEP_1)
	v_and_b32_e32 v18, 0xffff, v18
	v_lshl_or_b32 v35, v35, 16, v18
	s_and_saveexec_b32 s5, vcc_lo
	s_cbranch_execz .LBB109_113
; %bb.74:
	v_cmp_ne_u32_e32 vcc_lo, v19, v20
	v_lshrrev_b32_e32 v18, 16, v21
	v_dual_mov_b32 v27, 0 :: v_dual_mov_b32 v28, 0
	v_dual_mov_b32 v37, 0 :: v_dual_mov_b32 v38, 0
	v_cndmask_b32_e64 v29, 0, 1, vcc_lo
	v_cmp_eq_u32_e32 vcc_lo, v19, v20
	v_dual_mov_b32 v40, 0 :: v_dual_add_nc_u32 v21, 3, v51
	v_dual_mov_b32 v41, 0 :: v_dual_mov_b32 v42, 0
	v_dual_mov_b32 v43, 0 :: v_dual_cndmask_b32 v18, s44, v18
	v_dual_mov_b32 v44, 0 :: v_dual_mov_b32 v45, 0
	v_dual_mov_b32 v39, 0 :: v_dual_mov_b32 v46, 0
	s_delay_alu instid0(VALU_DEP_3) | instskip(SKIP_2) | instid1(VALU_DEP_3)
	v_dual_mov_b32 v47, 0 :: v_dual_and_b32 v18, 0xffff, v18
	v_dual_mov_b32 v31, 0 :: v_dual_mov_b32 v48, 0
	v_dual_mov_b32 v32, 0 :: v_dual_mov_b32 v49, 0
	v_lshl_or_b32 v36, v29, 16, v18
	v_mov_b32_e32 v29, 0
	s_mov_b32 s8, 0
	s_mov_b32 s6, exec_lo
                                        ; implicit-def: $sgpr9
                                        ; implicit-def: $vgpr30
	v_cmpx_gt_u32_e64 s25, v21
	s_cbranch_execz .LBB109_112
; %bb.75:
	v_cmp_eq_u32_e32 vcc_lo, v20, v13
	v_dual_mov_b32 v28, 0 :: v_dual_mov_b32 v39, 0
	v_dual_mov_b32 v38, 0 :: v_dual_mov_b32 v41, 0
	v_dual_cndmask_b32 v18, s44, v22 :: v_dual_add_nc_u32 v19, 4, v51
	v_cmp_ne_u32_e32 vcc_lo, v20, v13
	v_dual_mov_b32 v40, 0 :: v_dual_mov_b32 v43, 0
	s_delay_alu instid0(VALU_DEP_3) | instskip(SKIP_3) | instid1(VALU_DEP_3)
	v_dual_mov_b32 v37, 0 :: v_dual_and_b32 v18, 0xffff, v18
	v_cndmask_b32_e64 v20, 0, 1, vcc_lo
	v_dual_mov_b32 v42, 0 :: v_dual_mov_b32 v45, 0
	v_dual_mov_b32 v44, 0 :: v_dual_mov_b32 v47, 0
	v_lshl_or_b32 v27, v20, 16, v18
	v_dual_mov_b32 v46, 0 :: v_dual_mov_b32 v29, 0
	v_dual_mov_b32 v31, 0 :: v_dual_mov_b32 v32, 0
	v_dual_mov_b32 v48, 0 :: v_dual_mov_b32 v49, 0
	s_mov_b32 s9, 0
	s_mov_b32 s7, exec_lo
                                        ; implicit-def: $sgpr10
                                        ; implicit-def: $vgpr30
	v_cmpx_gt_u32_e64 s25, v19
	s_cbranch_execz .LBB109_111
; %bb.76:
	v_cmp_ne_u32_e32 vcc_lo, v13, v14
	v_lshrrev_b32_e32 v18, 16, v22
	v_dual_mov_b32 v28, 0 :: v_dual_add_nc_u32 v19, 5, v51
	v_dual_mov_b32 v39, 0 :: v_dual_mov_b32 v40, 0
	v_cndmask_b32_e64 v20, 0, 1, vcc_lo
	v_cmp_eq_u32_e32 vcc_lo, v13, v14
	v_dual_mov_b32 v41, 0 :: v_dual_mov_b32 v44, 0
	v_dual_mov_b32 v38, 0 :: v_dual_mov_b32 v43, 0
	v_dual_mov_b32 v46, 0 :: v_dual_cndmask_b32 v13, s44, v18
	v_dual_mov_b32 v45, 0 :: v_dual_mov_b32 v32, 0
	v_dual_mov_b32 v42, 0 :: v_dual_mov_b32 v47, 0
	s_delay_alu instid0(VALU_DEP_3)
	v_dual_mov_b32 v48, 0 :: v_dual_and_b32 v13, 0xffff, v13
	v_mov_b32_e32 v29, 0
	v_mov_b32_e32 v31, 0
	;; [unrolled: 1-line block ×3, first 2 shown]
	s_mov_b32 s10, 0
	v_lshl_or_b32 v37, v20, 16, v13
	s_mov_b32 s8, exec_lo
                                        ; implicit-def: $sgpr11
                                        ; implicit-def: $vgpr30
	v_cmpx_gt_u32_e64 s25, v19
	s_cbranch_execz .LBB109_110
; %bb.77:
	v_cmp_eq_u32_e32 vcc_lo, v14, v15
	v_dual_mov_b32 v39, 0 :: v_dual_add_nc_u32 v18, 6, v51
	v_dual_mov_b32 v41, 0 :: v_dual_mov_b32 v42, 0
	v_dual_cndmask_b32 v13, s44, v23 :: v_dual_mov_b32 v38, 0
	v_cmp_ne_u32_e32 vcc_lo, v14, v15
	v_dual_mov_b32 v43, 0 :: v_dual_mov_b32 v44, 0
	s_delay_alu instid0(VALU_DEP_3) | instskip(SKIP_3) | instid1(VALU_DEP_3)
	v_dual_mov_b32 v40, 0 :: v_dual_and_b32 v13, 0xffff, v13
	v_cndmask_b32_e64 v14, 0, 1, vcc_lo
	v_dual_mov_b32 v45, 0 :: v_dual_mov_b32 v46, 0
	v_dual_mov_b32 v47, 0 :: v_dual_mov_b32 v32, 0
	v_lshl_or_b32 v28, v14, 16, v13
	v_dual_mov_b32 v29, 0 :: v_dual_mov_b32 v48, 0
	v_mov_b32_e32 v31, 0
	v_mov_b32_e32 v49, 0
	s_mov_b32 s11, 0
	s_mov_b32 s9, exec_lo
                                        ; implicit-def: $sgpr12
                                        ; implicit-def: $vgpr30
	v_cmpx_gt_u32_e64 s25, v18
	s_cbranch_execz .LBB109_109
; %bb.78:
	v_cmp_ne_u32_e32 vcc_lo, v15, v16
	v_lshrrev_b32_e32 v13, 16, v23
	v_dual_mov_b32 v39, 0 :: v_dual_mov_b32 v40, 0
	v_dual_mov_b32 v41, 0 :: v_dual_mov_b32 v42, 0
	v_cndmask_b32_e64 v18, 0, 1, vcc_lo
	v_cmp_eq_u32_e32 vcc_lo, v15, v16
	v_dual_mov_b32 v43, 0 :: v_dual_add_nc_u32 v14, 7, v51
	v_dual_mov_b32 v46, 0 :: v_dual_mov_b32 v45, 0
	v_dual_mov_b32 v32, 0 :: v_dual_cndmask_b32 v13, s44, v13
	v_dual_mov_b32 v47, 0 :: v_dual_mov_b32 v48, 0
	v_dual_mov_b32 v44, 0 :: v_dual_mov_b32 v29, 0
	s_delay_alu instid0(VALU_DEP_3)
	v_and_b32_e32 v13, 0xffff, v13
	v_mov_b32_e32 v31, 0
	v_mov_b32_e32 v49, 0
	s_mov_b32 s12, 0
	s_mov_b32 s10, exec_lo
	v_lshl_or_b32 v38, v18, 16, v13
                                        ; implicit-def: $sgpr13
                                        ; implicit-def: $vgpr30
	v_cmpx_gt_u32_e64 s25, v14
	s_cbranch_execz .LBB109_108
; %bb.79:
	v_cmp_eq_u32_e32 vcc_lo, v16, v9
	v_dual_mov_b32 v41, 0 :: v_dual_mov_b32 v42, 0
	v_dual_mov_b32 v43, 0 :: v_dual_mov_b32 v44, 0
	v_dual_cndmask_b32 v13, s44, v24 :: v_dual_add_nc_u32 v14, 8, v51
	v_cmp_ne_u32_e32 vcc_lo, v16, v9
	v_dual_mov_b32 v45, 0 :: v_dual_mov_b32 v46, 0
	s_delay_alu instid0(VALU_DEP_3) | instskip(SKIP_3) | instid1(VALU_DEP_3)
	v_dual_mov_b32 v40, 0 :: v_dual_and_b32 v13, 0xffff, v13
	v_cndmask_b32_e64 v15, 0, 1, vcc_lo
	v_dual_mov_b32 v47, 0 :: v_dual_mov_b32 v32, 0
	v_dual_mov_b32 v29, 0 :: v_dual_mov_b32 v48, 0
	v_lshl_or_b32 v39, v15, 16, v13
	v_mov_b32_e32 v31, 0
	v_mov_b32_e32 v49, 0
	s_mov_b32 s13, 0
	s_mov_b32 s11, exec_lo
                                        ; implicit-def: $sgpr14
                                        ; implicit-def: $vgpr30
	v_cmpx_gt_u32_e64 s25, v14
	s_cbranch_execz .LBB109_107
; %bb.80:
	v_cmp_ne_u32_e32 vcc_lo, v9, v10
	v_lshrrev_b32_e32 v13, 16, v24
	v_dual_mov_b32 v41, 0 :: v_dual_mov_b32 v42, 0
	v_dual_mov_b32 v43, 0 :: v_dual_mov_b32 v44, 0
	v_cndmask_b32_e64 v15, 0, 1, vcc_lo
	v_cmp_eq_u32_e32 vcc_lo, v9, v10
	v_dual_mov_b32 v45, 0 :: v_dual_add_nc_u32 v14, 9, v51
	v_dual_mov_b32 v32, 0 :: v_dual_mov_b32 v47, 0
	v_dual_mov_b32 v48, 0 :: v_dual_cndmask_b32 v9, s44, v13
	v_dual_mov_b32 v29, 0 :: v_dual_mov_b32 v46, 0
	v_mov_b32_e32 v31, 0
	v_mov_b32_e32 v49, 0
	s_delay_alu instid0(VALU_DEP_4) | instskip(SKIP_2) | instid1(VALU_DEP_1)
	v_and_b32_e32 v9, 0xffff, v9
	s_mov_b32 s14, 0
	s_mov_b32 s12, exec_lo
                                        ; implicit-def: $sgpr16
                                        ; implicit-def: $vgpr30
	v_lshl_or_b32 v40, v15, 16, v9
	v_cmpx_gt_u32_e64 s25, v14
	s_cbranch_execz .LBB109_106
; %bb.81:
	ds_load_b128 v[13:16], v17 offset:18
	v_cmp_ne_u32_e32 vcc_lo, v10, v11
	v_dual_mov_b32 v42, 0 :: v_dual_add_nc_u32 v9, 10, v51
	v_dual_mov_b32 v43, 0 :: v_dual_mov_b32 v44, 0
	v_cndmask_b32_e64 v18, 0, 1, vcc_lo
	v_cmp_eq_u32_e32 vcc_lo, v10, v11
	v_dual_mov_b32 v46, 0 :: v_dual_mov_b32 v47, 0
	v_dual_mov_b32 v31, 0 :: v_dual_mov_b32 v32, 0
	v_dual_mov_b32 v48, 0 :: v_dual_mov_b32 v49, 0
	s_mov_b32 s16, 0
	s_mov_b32 s13, exec_lo
                                        ; implicit-def: $sgpr17
                                        ; implicit-def: $vgpr30
	s_waitcnt lgkmcnt(0)
	v_dual_mov_b32 v45, 0 :: v_dual_cndmask_b32 v10, s44, v13
	s_delay_alu instid0(VALU_DEP_1) | instskip(NEXT) | instid1(VALU_DEP_1)
	v_dual_mov_b32 v29, 0 :: v_dual_and_b32 v10, 0xffff, v10
	v_lshl_or_b32 v41, v18, 16, v10
	v_cmpx_gt_u32_e64 s25, v9
	s_cbranch_execz .LBB109_105
; %bb.82:
	v_cmp_ne_u32_e32 vcc_lo, v11, v12
	v_lshrrev_b32_e32 v9, 16, v13
	v_dual_mov_b32 v43, 0 :: v_dual_mov_b32 v44, 0
	v_dual_mov_b32 v45, 0 :: v_dual_mov_b32 v46, 0
	v_cndmask_b32_e64 v13, 0, 1, vcc_lo
	v_cmp_eq_u32_e32 vcc_lo, v11, v12
	v_dual_mov_b32 v47, 0 :: v_dual_add_nc_u32 v10, 11, v51
	v_dual_mov_b32 v48, 0 :: v_dual_mov_b32 v29, 0
	v_cndmask_b32_e32 v9, s44, v9, vcc_lo
	v_mov_b32_e32 v31, 0
	v_dual_mov_b32 v49, 0 :: v_dual_mov_b32 v32, 0
	s_mov_b32 s17, 0
	s_delay_alu instid0(VALU_DEP_3) | instskip(SKIP_1) | instid1(VALU_DEP_1)
	v_and_b32_e32 v9, 0xffff, v9
	s_mov_b32 s14, exec_lo
                                        ; implicit-def: $sgpr18
                                        ; implicit-def: $vgpr30
	v_lshl_or_b32 v42, v13, 16, v9
	v_cmpx_gt_u32_e64 s25, v10
	s_cbranch_execz .LBB109_104
; %bb.83:
	v_cmp_eq_u32_e32 vcc_lo, v12, v5
	v_dual_mov_b32 v45, 0 :: v_dual_mov_b32 v46, 0
	v_dual_mov_b32 v47, 0 :: v_dual_mov_b32 v32, 0
	v_dual_cndmask_b32 v9, s44, v14 :: v_dual_add_nc_u32 v10, 12, v51
	v_cmp_ne_u32_e32 vcc_lo, v12, v5
	v_dual_mov_b32 v29, 0 :: v_dual_mov_b32 v48, 0
	s_delay_alu instid0(VALU_DEP_3)
	v_dual_mov_b32 v44, 0 :: v_dual_and_b32 v9, 0xffff, v9
	v_cndmask_b32_e64 v11, 0, 1, vcc_lo
	v_mov_b32_e32 v31, 0
	v_mov_b32_e32 v49, 0
	s_mov_b32 s18, 0
	s_mov_b32 s16, exec_lo
	v_lshl_or_b32 v43, v11, 16, v9
                                        ; implicit-def: $sgpr19
                                        ; implicit-def: $vgpr30
	v_cmpx_gt_u32_e64 s25, v10
	s_cbranch_execz .LBB109_103
; %bb.84:
	v_cmp_ne_u32_e32 vcc_lo, v5, v6
	v_lshrrev_b32_e32 v9, 16, v14
	v_dual_mov_b32 v45, 0 :: v_dual_mov_b32 v46, 0
	v_dual_mov_b32 v47, 0 :: v_dual_mov_b32 v32, 0
	v_cndmask_b32_e64 v11, 0, 1, vcc_lo
	v_cmp_eq_u32_e32 vcc_lo, v5, v6
	v_dual_mov_b32 v29, 0 :: v_dual_add_nc_u32 v10, 13, v51
	v_dual_mov_b32 v48, 0 :: v_dual_mov_b32 v31, 0
	v_cndmask_b32_e32 v5, s44, v9, vcc_lo
	v_mov_b32_e32 v49, 0
	s_mov_b32 s19, 0
	s_mov_b32 s17, exec_lo
                                        ; implicit-def: $sgpr20
                                        ; implicit-def: $vgpr30
	s_delay_alu instid0(VALU_DEP_2) | instskip(NEXT) | instid1(VALU_DEP_1)
	v_and_b32_e32 v5, 0xffff, v5
	v_lshl_or_b32 v44, v11, 16, v5
	v_cmpx_gt_u32_e64 s25, v10
	s_cbranch_execz .LBB109_102
; %bb.85:
	v_cmp_eq_u32_e32 vcc_lo, v6, v7
	v_dual_mov_b32 v32, 0 :: v_dual_add_nc_u32 v9, 14, v51
	v_mov_b32_e32 v47, 0
	v_mov_b32_e32 v29, 0
	v_dual_cndmask_b32 v5, s44, v15 :: v_dual_mov_b32 v46, 0
	v_cmp_ne_u32_e32 vcc_lo, v6, v7
	v_mov_b32_e32 v31, 0
	v_mov_b32_e32 v49, 0
	s_delay_alu instid0(VALU_DEP_4) | instskip(SKIP_3) | instid1(VALU_DEP_1)
	v_dual_mov_b32 v48, 0 :: v_dual_and_b32 v5, 0xffff, v5
	v_cndmask_b32_e64 v6, 0, 1, vcc_lo
	s_mov_b32 s20, 0
	s_mov_b32 s18, exec_lo
                                        ; implicit-def: $sgpr21
                                        ; implicit-def: $vgpr30
	v_lshl_or_b32 v45, v6, 16, v5
	v_cmpx_gt_u32_e64 s25, v9
	s_cbranch_execz .LBB109_101
; %bb.86:
	v_lshrrev_b32_e32 v5, 16, v15
	v_cmp_eq_u32_e32 vcc_lo, v7, v8
	v_dual_mov_b32 v47, 0 :: v_dual_add_nc_u32 v6, 15, v51
	v_dual_mov_b32 v32, 0 :: v_dual_mov_b32 v29, 0
	s_delay_alu instid0(VALU_DEP_4)
	v_dual_mov_b32 v48, 0 :: v_dual_cndmask_b32 v5, s44, v5
	v_cmp_ne_u32_e32 vcc_lo, v7, v8
	v_mov_b32_e32 v31, 0
	v_mov_b32_e32 v49, 0
	s_mov_b32 s21, 0
	v_and_b32_e32 v5, 0xffff, v5
	v_cndmask_b32_e64 v7, 0, 1, vcc_lo
	s_mov_b32 s19, exec_lo
                                        ; implicit-def: $sgpr22
                                        ; implicit-def: $vgpr30
	s_delay_alu instid0(VALU_DEP_1)
	v_lshl_or_b32 v46, v7, 16, v5
	v_cmpx_gt_u32_e64 s25, v6
	s_cbranch_execz .LBB109_100
; %bb.87:
	v_cmp_eq_u32_e32 vcc_lo, v8, v1
	v_dual_mov_b32 v29, 0 :: v_dual_mov_b32 v48, 0
	v_mov_b32_e32 v31, 0
	v_mov_b32_e32 v49, 0
	v_dual_cndmask_b32 v5, s44, v16 :: v_dual_add_nc_u32 v6, 16, v51
	v_cmp_ne_u32_e32 vcc_lo, v8, v1
	s_mov_b32 s22, 0
	s_mov_b32 s20, exec_lo
	s_delay_alu instid0(VALU_DEP_2) | instskip(SKIP_1) | instid1(VALU_DEP_1)
	v_dual_mov_b32 v32, 0 :: v_dual_and_b32 v5, 0xffff, v5
	v_cndmask_b32_e64 v7, 0, 1, vcc_lo
                                        ; implicit-def: $sgpr23
                                        ; implicit-def: $vgpr30
	v_lshl_or_b32 v47, v7, 16, v5
	v_cmpx_gt_u32_e64 s25, v6
	s_cbranch_execz .LBB109_99
; %bb.88:
	v_lshrrev_b32_e32 v5, 16, v16
	v_cmp_eq_u32_e32 vcc_lo, v1, v2
	v_dual_mov_b32 v31, 0 :: v_dual_mov_b32 v48, 0
	v_dual_mov_b32 v49, 0 :: v_dual_add_nc_u32 v6, 17, v51
	s_delay_alu instid0(VALU_DEP_4) | instskip(SKIP_3) | instid1(VALU_DEP_2)
	v_cndmask_b32_e32 v5, s44, v5, vcc_lo
	v_cmp_ne_u32_e32 vcc_lo, v1, v2
	s_mov_b32 s23, 0
	s_mov_b32 s21, exec_lo
	v_dual_mov_b32 v32, 0 :: v_dual_and_b32 v5, 0xffff, v5
	v_cndmask_b32_e64 v1, 0, 1, vcc_lo
                                        ; implicit-def: $sgpr24
                                        ; implicit-def: $vgpr30
	s_delay_alu instid0(VALU_DEP_1)
	v_lshl_or_b32 v29, v1, 16, v5
	v_cmpx_gt_u32_e64 s25, v6
	s_cbranch_execz .LBB109_98
; %bb.89:
	ds_load_b64 v[5:6], v17 offset:34
	v_cmp_eq_u32_e32 vcc_lo, v2, v3
	v_dual_mov_b32 v48, 0 :: v_dual_add_nc_u32 v7, 18, v51
	v_mov_b32_e32 v49, 0
	s_mov_b32 s24, 0
	s_mov_b32 s22, exec_lo
                                        ; implicit-def: $sgpr40
                                        ; implicit-def: $vgpr30
	s_waitcnt lgkmcnt(0)
	v_dual_mov_b32 v32, 0 :: v_dual_cndmask_b32 v1, s44, v5
	v_cmp_ne_u32_e32 vcc_lo, v2, v3
	s_delay_alu instid0(VALU_DEP_2) | instskip(SKIP_1) | instid1(VALU_DEP_1)
	v_and_b32_e32 v1, 0xffff, v1
	v_cndmask_b32_e64 v2, 0, 1, vcc_lo
	v_lshl_or_b32 v31, v2, 16, v1
	v_cmpx_gt_u32_e64 s25, v7
	s_cbranch_execz .LBB109_97
; %bb.90:
	v_lshrrev_b32_e32 v1, 16, v5
	v_cmp_eq_u32_e32 vcc_lo, v3, v4
	v_mov_b32_e32 v49, 0
	s_mov_b32 s40, 0
	s_mov_b32 s23, exec_lo
	v_dual_cndmask_b32 v1, s44, v1 :: v_dual_add_nc_u32 v2, 19, v51
	v_cmp_ne_u32_e32 vcc_lo, v3, v4
                                        ; implicit-def: $sgpr41
                                        ; implicit-def: $vgpr30
	s_delay_alu instid0(VALU_DEP_2) | instskip(SKIP_1) | instid1(VALU_DEP_1)
	v_dual_mov_b32 v48, 0 :: v_dual_and_b32 v1, 0xffff, v1
	v_cndmask_b32_e64 v3, 0, 1, vcc_lo
	v_lshl_or_b32 v32, v3, 16, v1
	v_cmpx_gt_u32_e64 s25, v2
	s_cbranch_execz .LBB109_96
; %bb.91:
	v_cmp_eq_u32_e32 vcc_lo, v4, v25
	v_mov_b32_e32 v49, 0
	s_mov_b32 s24, exec_lo
                                        ; implicit-def: $sgpr41
                                        ; implicit-def: $vgpr30
	v_dual_cndmask_b32 v1, s44, v6 :: v_dual_add_nc_u32 v2, 20, v51
	v_cmp_ne_u32_e32 vcc_lo, v4, v25
	s_delay_alu instid0(VALU_DEP_2) | instskip(SKIP_1) | instid1(VALU_DEP_1)
	v_and_b32_e32 v1, 0xffff, v1
	v_cndmask_b32_e64 v3, 0, 1, vcc_lo
	v_lshl_or_b32 v48, v3, 16, v1
	v_cmpx_gt_u32_e64 s25, v2
	s_cbranch_execz .LBB109_95
; %bb.92:
	v_lshrrev_b32_e32 v1, 16, v6
	v_cmp_eq_u32_e32 vcc_lo, v25, v26
	v_add_nc_u32_e32 v3, 21, v51
                                        ; implicit-def: $sgpr40
                                        ; implicit-def: $vgpr30
	s_delay_alu instid0(VALU_DEP_3) | instskip(SKIP_1) | instid1(VALU_DEP_2)
	v_cndmask_b32_e32 v1, s44, v1, vcc_lo
	v_cmp_ne_u32_e32 vcc_lo, v25, v26
	v_and_b32_e32 v1, 0xffff, v1
	v_cndmask_b32_e64 v2, 0, 1, vcc_lo
	v_cmp_gt_u32_e32 vcc_lo, s25, v3
	s_mov_b32 s25, 0
	s_delay_alu instid0(VALU_DEP_2) | instskip(SKIP_1) | instid1(SALU_CYCLE_1)
	v_lshl_or_b32 v49, v2, 16, v1
	s_and_saveexec_b32 s41, vcc_lo
	s_xor_b32 s41, exec_lo, s41
	s_cbranch_execz .LBB109_94
; %bb.93:
	ds_load_u16 v1, v17 offset:42
	v_cmp_ne_u32_e32 vcc_lo, v26, v50
	s_mov_b32 s25, exec_lo
	s_and_b32 s40, vcc_lo, exec_lo
	s_waitcnt lgkmcnt(0)
	v_cndmask_b32_e64 v30, v1, s44, vcc_lo
.LBB109_94:
	s_or_b32 exec_lo, exec_lo, s41
	s_delay_alu instid0(SALU_CYCLE_1)
	s_and_b32 s41, s40, exec_lo
	s_and_b32 s40, s25, exec_lo
.LBB109_95:
	s_or_b32 exec_lo, exec_lo, s24
	s_delay_alu instid0(SALU_CYCLE_1)
	s_and_b32 s41, s41, exec_lo
	s_and_b32 s24, s40, exec_lo
.LBB109_96:
	s_or_b32 exec_lo, exec_lo, s23
	s_delay_alu instid0(SALU_CYCLE_1)
	s_and_b32 s40, s41, exec_lo
	s_and_b32 s23, s24, exec_lo
.LBB109_97:
	s_or_b32 exec_lo, exec_lo, s22
	s_delay_alu instid0(SALU_CYCLE_1)
	s_and_b32 s24, s40, exec_lo
	s_and_b32 s22, s23, exec_lo
.LBB109_98:
	s_or_b32 exec_lo, exec_lo, s21
	s_delay_alu instid0(SALU_CYCLE_1)
	s_and_b32 s23, s24, exec_lo
	s_and_b32 s21, s22, exec_lo
.LBB109_99:
	s_or_b32 exec_lo, exec_lo, s20
	s_delay_alu instid0(SALU_CYCLE_1)
	s_and_b32 s22, s23, exec_lo
	s_and_b32 s20, s21, exec_lo
.LBB109_100:
	s_or_b32 exec_lo, exec_lo, s19
	s_delay_alu instid0(SALU_CYCLE_1)
	s_and_b32 s21, s22, exec_lo
	s_and_b32 s19, s20, exec_lo
.LBB109_101:
	s_or_b32 exec_lo, exec_lo, s18
	s_delay_alu instid0(SALU_CYCLE_1)
	s_and_b32 s20, s21, exec_lo
	s_and_b32 s18, s19, exec_lo
.LBB109_102:
	s_or_b32 exec_lo, exec_lo, s17
	s_delay_alu instid0(SALU_CYCLE_1)
	s_and_b32 s19, s20, exec_lo
	s_and_b32 s17, s18, exec_lo
.LBB109_103:
	s_or_b32 exec_lo, exec_lo, s16
	s_delay_alu instid0(SALU_CYCLE_1)
	s_and_b32 s18, s19, exec_lo
	s_and_b32 s16, s17, exec_lo
.LBB109_104:
	s_or_b32 exec_lo, exec_lo, s14
	s_delay_alu instid0(SALU_CYCLE_1)
	s_and_b32 s17, s18, exec_lo
	s_and_b32 s14, s16, exec_lo
.LBB109_105:
	s_or_b32 exec_lo, exec_lo, s13
	s_delay_alu instid0(SALU_CYCLE_1)
	s_and_b32 s16, s17, exec_lo
	s_and_b32 s13, s14, exec_lo
.LBB109_106:
	s_or_b32 exec_lo, exec_lo, s12
	s_delay_alu instid0(SALU_CYCLE_1)
	s_and_b32 s14, s16, exec_lo
	s_and_b32 s12, s13, exec_lo
.LBB109_107:
	s_or_b32 exec_lo, exec_lo, s11
	s_delay_alu instid0(SALU_CYCLE_1)
	s_and_b32 s13, s14, exec_lo
	s_and_b32 s11, s12, exec_lo
.LBB109_108:
	s_or_b32 exec_lo, exec_lo, s10
	s_delay_alu instid0(SALU_CYCLE_1)
	s_and_b32 s12, s13, exec_lo
	s_and_b32 s10, s11, exec_lo
.LBB109_109:
	s_or_b32 exec_lo, exec_lo, s9
	s_delay_alu instid0(SALU_CYCLE_1)
	s_and_b32 s11, s12, exec_lo
	s_and_b32 s9, s10, exec_lo
.LBB109_110:
	s_or_b32 exec_lo, exec_lo, s8
	s_delay_alu instid0(SALU_CYCLE_1)
	s_and_b32 s10, s11, exec_lo
	s_and_b32 s8, s9, exec_lo
.LBB109_111:
	s_or_b32 exec_lo, exec_lo, s7
	s_delay_alu instid0(SALU_CYCLE_1)
	s_and_b32 s9, s10, exec_lo
	s_and_b32 s7, s8, exec_lo
.LBB109_112:
	s_or_b32 exec_lo, exec_lo, s6
	s_delay_alu instid0(SALU_CYCLE_1)
	s_and_b32 s8, s9, exec_lo
	s_and_b32 s6, s7, exec_lo
.LBB109_113:
	s_or_b32 exec_lo, exec_lo, s5
	s_delay_alu instid0(SALU_CYCLE_1)
	s_and_b32 s5, s8, exec_lo
	s_and_b32 s7, s6, exec_lo
.LBB109_114:
	s_or_b32 exec_lo, exec_lo, s3
	s_delay_alu instid0(SALU_CYCLE_1)
	s_and_b32 s5, s5, exec_lo
	s_and_b32 s3, s7, exec_lo
.LBB109_115:
	s_or_b32 exec_lo, exec_lo, s4
	s_mov_b32 s4, 0
	s_and_b32 vcc_lo, exec_lo, s2
	s_cbranch_vccnz .LBB109_117
	s_branch .LBB109_122
.LBB109_116:
                                        ; implicit-def: $sgpr5
                                        ; implicit-def: $vgpr30
                                        ; implicit-def: $vgpr34
                                        ; implicit-def: $vgpr35
                                        ; implicit-def: $vgpr36
                                        ; implicit-def: $vgpr27
                                        ; implicit-def: $vgpr37
                                        ; implicit-def: $vgpr28
                                        ; implicit-def: $vgpr38
                                        ; implicit-def: $vgpr39
                                        ; implicit-def: $vgpr40
                                        ; implicit-def: $vgpr41
                                        ; implicit-def: $vgpr42
                                        ; implicit-def: $vgpr43
                                        ; implicit-def: $vgpr44
                                        ; implicit-def: $vgpr45
                                        ; implicit-def: $vgpr46
                                        ; implicit-def: $vgpr47
                                        ; implicit-def: $vgpr29
                                        ; implicit-def: $vgpr31
                                        ; implicit-def: $vgpr32
                                        ; implicit-def: $vgpr48
                                        ; implicit-def: $vgpr49
                                        ; implicit-def: $sgpr4
	s_cbranch_execz .LBB109_122
.LBB109_117:
	v_add_co_u32 v1, s2, s34, v33
	s_delay_alu instid0(VALU_DEP_1)
	v_add_co_ci_u32_e64 v2, null, s35, 0, s2
	s_clause 0x9
	global_load_b32 v3, v33, s[34:35]
	global_load_b32 v4, v33, s[34:35] offset:256
	global_load_b32 v5, v33, s[34:35] offset:512
	;; [unrolled: 1-line block ×9, first 2 shown]
	v_add_co_u32 v1, vcc_lo, 0x1000, v1
	v_add_co_ci_u32_e32 v2, vcc_lo, 0, v2, vcc_lo
	s_clause 0xb
	global_load_b32 v13, v33, s[34:35] offset:2560
	global_load_b32 v14, v33, s[34:35] offset:2816
	;; [unrolled: 1-line block ×6, first 2 shown]
	global_load_b32 v19, v[1:2], off
	global_load_b32 v20, v[1:2], off offset:256
	global_load_b32 v21, v[1:2], off offset:512
	;; [unrolled: 1-line block ×5, first 2 shown]
	v_mad_u32_u24 v24, 0x54, v0, v33
	s_waitcnt vmcnt(20)
	ds_store_2addr_stride64_b32 v33, v3, v4 offset1:1
	s_waitcnt vmcnt(18)
	ds_store_2addr_stride64_b32 v33, v5, v6 offset0:2 offset1:3
	s_waitcnt vmcnt(16)
	ds_store_2addr_stride64_b32 v33, v7, v8 offset0:4 offset1:5
	;; [unrolled: 2-line block ×10, first 2 shown]
	s_waitcnt lgkmcnt(0)
	s_barrier
	buffer_gl0_inv
	s_load_b32 s2, s[34:35], 0x1600
	ds_load_2addr_b64 v[17:20], v24 offset1:1
	ds_load_2addr_b64 v[13:16], v24 offset0:2 offset1:3
	ds_load_2addr_b64 v[9:12], v24 offset0:4 offset1:5
	;; [unrolled: 1-line block ×4, first 2 shown]
	ds_load_b64 v[29:30], v24 offset:80
	v_mad_i32_i24 v21, 0xffffffac, v0, v24
	s_waitcnt lgkmcnt(0)
	ds_store_b32 v21, v17 offset:5888
	s_waitcnt lgkmcnt(0)
	s_barrier
	buffer_gl0_inv
	v_mov_b32_e32 v50, s2
	s_mov_b32 s2, exec_lo
	v_cmpx_ne_u32_e32 63, v0
	s_cbranch_execz .LBB109_119
; %bb.118:
	ds_load_b32 v50, v33 offset:5892
.LBB109_119:
	s_or_b32 exec_lo, exec_lo, s2
	v_lshlrev_b32_e32 v22, 1, v0
	s_waitcnt lgkmcnt(0)
	s_barrier
	buffer_gl0_inv
	v_cmp_eq_u32_e32 vcc_lo, v17, v18
	v_mov_b32_e32 v17, 0x10000
	s_clause 0x15
	global_load_u16 v23, v22, s[26:27]
	global_load_u16 v24, v22, s[26:27] offset:128
	global_load_u16 v25, v22, s[26:27] offset:256
	;; [unrolled: 1-line block ×21, first 2 shown]
	v_sub_nc_u32_e32 v35, v21, v22
	s_waitcnt vmcnt(21)
	ds_store_b16 v35, v23
	s_waitcnt vmcnt(20)
	ds_store_b16 v35, v24 offset:128
	s_waitcnt vmcnt(19)
	ds_store_b16 v35, v25 offset:256
	s_waitcnt vmcnt(18)
	ds_store_b16 v35, v26 offset:384
	s_waitcnt vmcnt(17)
	ds_store_b16 v35, v27 offset:512
	s_waitcnt vmcnt(16)
	ds_store_b16 v35, v28 offset:640
	s_waitcnt vmcnt(15)
	ds_store_b16 v35, v31 offset:768
	s_waitcnt vmcnt(14)
	ds_store_b16 v35, v32 offset:896
	s_waitcnt vmcnt(13)
	ds_store_b16 v35, v34 offset:1024
	s_waitcnt vmcnt(12)
	ds_store_b16 v35, v36 offset:1152
	s_waitcnt vmcnt(11)
	ds_store_b16 v35, v37 offset:1280
	s_waitcnt vmcnt(10)
	ds_store_b16 v35, v38 offset:1408
	s_waitcnt vmcnt(9)
	ds_store_b16 v35, v39 offset:1536
	s_waitcnt vmcnt(8)
	ds_store_b16 v35, v40 offset:1664
	s_waitcnt vmcnt(7)
	ds_store_b16 v35, v41 offset:1792
	s_waitcnt vmcnt(6)
	ds_store_b16 v35, v42 offset:1920
	s_waitcnt vmcnt(5)
	ds_store_b16 v35, v43 offset:2048
	s_waitcnt vmcnt(4)
	ds_store_b16 v35, v44 offset:2176
	s_waitcnt vmcnt(3)
	ds_store_b16 v35, v45 offset:2304
	s_waitcnt vmcnt(2)
	ds_store_b16 v35, v46 offset:2432
	s_waitcnt vmcnt(1)
	ds_store_b16 v35, v47 offset:2560
	s_waitcnt vmcnt(0)
	ds_store_b16 v35, v48 offset:2688
	v_mad_u32_u24 v49, v0, 42, v35
	s_waitcnt lgkmcnt(0)
	s_barrier
	buffer_gl0_inv
	ds_load_b128 v[25:28], v49 offset:2
	ds_load_b128 v[21:24], v49 offset:18
	ds_load_b64 v[31:32], v49 offset:34
	ds_load_u16 v51, v49 offset:42
	v_mov_b32_e32 v34, s44
	s_and_saveexec_b32 s2, vcc_lo
	s_cbranch_execz .LBB109_121
; %bb.120:
	v_mul_u32_u24_e32 v17, 42, v0
	s_delay_alu instid0(VALU_DEP_1)
	v_add_nc_u32_e32 v17, v35, v17
	ds_load_u16 v34, v17
	v_mov_b32_e32 v17, 0
.LBB109_121:
	s_or_b32 exec_lo, exec_lo, s2
	v_cmp_eq_u32_e32 vcc_lo, v18, v19
	s_waitcnt lgkmcnt(3)
	v_lshrrev_b32_e32 v35, 16, v25
	s_waitcnt lgkmcnt(0)
	v_and_b32_e32 v34, 0xffff, v34
	v_lshrrev_b32_e32 v36, 16, v26
	v_lshrrev_b32_e32 v37, 16, v27
	v_cndmask_b32_e32 v25, s44, v25, vcc_lo
	v_cmp_ne_u32_e32 vcc_lo, v18, v19
	v_or_b32_e32 v34, v17, v34
	v_lshrrev_b32_e32 v38, 16, v28
	v_lshrrev_b32_e32 v40, 16, v21
	v_and_b32_e32 v25, 0xffff, v25
	v_cndmask_b32_e64 v18, 0, 1, vcc_lo
	v_cmp_eq_u32_e32 vcc_lo, v19, v20
	v_lshrrev_b32_e32 v42, 16, v22
	v_lshrrev_b32_e32 v44, 16, v23
	;; [unrolled: 1-line block ×4, first 2 shown]
	v_cndmask_b32_e32 v39, s44, v35, vcc_lo
	v_cmp_eq_u32_e32 vcc_lo, v20, v13
	v_lshl_or_b32 v35, v18, 16, v25
	v_lshrrev_b32_e32 v49, 16, v32
	v_cmp_ne_u32_e64 s5, v30, v50
	v_and_b32_e32 v18, 0xffff, v39
	v_cndmask_b32_e32 v17, s44, v26, vcc_lo
	v_cmp_ne_u32_e32 vcc_lo, v19, v20
	s_mov_b32 s3, -1
                                        ; implicit-def: $sgpr4
	s_delay_alu instid0(VALU_DEP_2)
	v_and_b32_e32 v17, 0xffff, v17
	v_cndmask_b32_e64 v19, 0, 1, vcc_lo
	v_cmp_ne_u32_e32 vcc_lo, v20, v13
	v_cndmask_b32_e64 v20, 0, 1, vcc_lo
	v_cmp_eq_u32_e32 vcc_lo, v13, v14
	v_cndmask_b32_e32 v25, s44, v36, vcc_lo
	v_cmp_eq_u32_e32 vcc_lo, v14, v15
	v_lshl_or_b32 v36, v19, 16, v18
	v_cndmask_b32_e32 v18, s44, v27, vcc_lo
	v_cmp_ne_u32_e32 vcc_lo, v13, v14
	v_lshl_or_b32 v27, v20, 16, v17
	v_and_b32_e32 v17, 0xffff, v25
	s_delay_alu instid0(VALU_DEP_4)
	v_and_b32_e32 v18, 0xffff, v18
	v_cndmask_b32_e64 v13, 0, 1, vcc_lo
	v_cmp_ne_u32_e32 vcc_lo, v14, v15
	v_cndmask_b32_e64 v14, 0, 1, vcc_lo
	v_cmp_eq_u32_e32 vcc_lo, v15, v16
	v_cndmask_b32_e32 v19, s44, v37, vcc_lo
	v_cmp_eq_u32_e32 vcc_lo, v16, v9
	v_lshl_or_b32 v37, v13, 16, v17
	v_cndmask_b32_e32 v13, s44, v28, vcc_lo
	v_cmp_ne_u32_e32 vcc_lo, v15, v16
	v_lshl_or_b32 v28, v14, 16, v18
	v_and_b32_e32 v14, 0xffff, v19
	s_delay_alu instid0(VALU_DEP_4) | instskip(SKIP_4) | instid1(VALU_DEP_2)
	v_and_b32_e32 v13, 0xffff, v13
	v_cndmask_b32_e64 v15, 0, 1, vcc_lo
	v_cmp_ne_u32_e32 vcc_lo, v16, v9
	v_cndmask_b32_e64 v16, 0, 1, vcc_lo
	v_cmp_eq_u32_e32 vcc_lo, v9, v10
	v_lshl_or_b32 v39, v16, 16, v13
	v_cndmask_b32_e32 v17, s44, v38, vcc_lo
	v_cmp_eq_u32_e32 vcc_lo, v10, v11
	v_lshl_or_b32 v38, v15, 16, v14
	s_delay_alu instid0(VALU_DEP_3) | instskip(SKIP_2) | instid1(VALU_DEP_2)
	v_and_b32_e32 v13, 0xffff, v17
	v_cndmask_b32_e32 v14, s44, v21, vcc_lo
	v_cmp_ne_u32_e32 vcc_lo, v9, v10
	v_and_b32_e32 v14, 0xffff, v14
	v_cndmask_b32_e64 v9, 0, 1, vcc_lo
	v_cmp_ne_u32_e32 vcc_lo, v10, v11
	v_cndmask_b32_e64 v10, 0, 1, vcc_lo
	v_cmp_eq_u32_e32 vcc_lo, v11, v12
	s_delay_alu instid0(VALU_DEP_2) | instskip(SKIP_3) | instid1(VALU_DEP_3)
	v_lshl_or_b32 v41, v10, 16, v14
	v_cndmask_b32_e32 v15, s44, v40, vcc_lo
	v_cmp_eq_u32_e32 vcc_lo, v12, v5
	v_lshl_or_b32 v40, v9, 16, v13
	v_and_b32_e32 v10, 0xffff, v15
	v_cndmask_b32_e32 v9, s44, v22, vcc_lo
	v_cmp_ne_u32_e32 vcc_lo, v11, v12
	s_delay_alu instid0(VALU_DEP_2) | instskip(SKIP_4) | instid1(VALU_DEP_2)
	v_and_b32_e32 v9, 0xffff, v9
	v_cndmask_b32_e64 v11, 0, 1, vcc_lo
	v_cmp_ne_u32_e32 vcc_lo, v12, v5
	v_cndmask_b32_e64 v12, 0, 1, vcc_lo
	v_cmp_eq_u32_e32 vcc_lo, v5, v6
	v_lshl_or_b32 v43, v12, 16, v9
	v_cndmask_b32_e32 v13, s44, v42, vcc_lo
	v_cmp_eq_u32_e32 vcc_lo, v6, v7
	v_lshl_or_b32 v42, v11, 16, v10
	s_delay_alu instid0(VALU_DEP_3) | instskip(SKIP_2) | instid1(VALU_DEP_2)
	v_and_b32_e32 v9, 0xffff, v13
	v_cndmask_b32_e32 v10, s44, v23, vcc_lo
	v_cmp_ne_u32_e32 vcc_lo, v5, v6
	v_and_b32_e32 v10, 0xffff, v10
	v_cndmask_b32_e64 v5, 0, 1, vcc_lo
	v_cmp_eq_u32_e32 vcc_lo, v7, v8
	v_cndmask_b32_e32 v11, s44, v44, vcc_lo
	v_cmp_eq_u32_e32 vcc_lo, v8, v1
	s_delay_alu instid0(VALU_DEP_4) | instskip(NEXT) | instid1(VALU_DEP_3)
	v_lshl_or_b32 v44, v5, 16, v9
	v_and_b32_e32 v11, 0xffff, v11
	v_cndmask_b32_e32 v12, s44, v24, vcc_lo
	v_cmp_ne_u32_e32 vcc_lo, v6, v7
	s_delay_alu instid0(VALU_DEP_2) | instskip(SKIP_4) | instid1(VALU_DEP_2)
	v_and_b32_e32 v12, 0xffff, v12
	v_cndmask_b32_e64 v6, 0, 1, vcc_lo
	v_cmp_ne_u32_e32 vcc_lo, v7, v8
	v_cndmask_b32_e64 v7, 0, 1, vcc_lo
	v_cmp_ne_u32_e32 vcc_lo, v8, v1
	v_lshl_or_b32 v46, v7, 16, v11
	v_cndmask_b32_e64 v8, 0, 1, vcc_lo
	v_cmp_eq_u32_e32 vcc_lo, v1, v2
	s_delay_alu instid0(VALU_DEP_2) | instskip(SKIP_3) | instid1(VALU_DEP_3)
	v_lshl_or_b32 v47, v8, 16, v12
	v_cndmask_b32_e32 v13, s44, v45, vcc_lo
	v_cmp_eq_u32_e32 vcc_lo, v2, v3
	v_lshl_or_b32 v45, v6, 16, v10
	v_and_b32_e32 v5, 0xffff, v13
	v_cndmask_b32_e32 v6, s44, v31, vcc_lo
	v_cmp_eq_u32_e32 vcc_lo, v3, v4
	s_delay_alu instid0(VALU_DEP_2) | instskip(SKIP_2) | instid1(VALU_DEP_2)
	v_and_b32_e32 v6, 0xffff, v6
	v_cndmask_b32_e32 v7, s44, v48, vcc_lo
	v_cmp_ne_u32_e32 vcc_lo, v1, v2
	v_and_b32_e32 v7, 0xffff, v7
	v_cndmask_b32_e64 v1, 0, 1, vcc_lo
	v_cmp_ne_u32_e32 vcc_lo, v2, v3
	v_cndmask_b32_e64 v2, 0, 1, vcc_lo
	v_cmp_eq_u32_e32 vcc_lo, v4, v29
	s_delay_alu instid0(VALU_DEP_2) | instskip(SKIP_2) | instid1(VALU_DEP_2)
	v_lshl_or_b32 v31, v2, 16, v6
	v_cndmask_b32_e32 v8, s44, v32, vcc_lo
	v_cmp_eq_u32_e32 vcc_lo, v29, v30
	v_and_b32_e32 v8, 0xffff, v8
	v_cndmask_b32_e32 v9, s44, v49, vcc_lo
	v_cmp_ne_u32_e32 vcc_lo, v3, v4
	s_delay_alu instid0(VALU_DEP_2) | instskip(SKIP_2) | instid1(VALU_DEP_2)
	v_and_b32_e32 v9, 0xffff, v9
	v_cndmask_b32_e64 v3, 0, 1, vcc_lo
	v_cmp_ne_u32_e32 vcc_lo, v4, v29
	v_lshl_or_b32 v32, v3, 16, v7
	v_cndmask_b32_e64 v4, 0, 1, vcc_lo
	v_cmp_ne_u32_e32 vcc_lo, v29, v30
	v_lshl_or_b32 v29, v1, 16, v5
	v_cndmask_b32_e64 v30, v51, s44, s5
	s_delay_alu instid0(VALU_DEP_4) | instskip(SKIP_1) | instid1(VALU_DEP_1)
	v_lshl_or_b32 v48, v4, 16, v8
	v_cndmask_b32_e64 v10, 0, 1, vcc_lo
	v_lshl_or_b32 v49, v10, 16, v9
.LBB109_122:
	v_mov_b32_e32 v8, s4
	s_and_saveexec_b32 s2, s3
; %bb.123:
	v_and_b32_e32 v1, 0xffff, v30
	v_cndmask_b32_e64 v2, 0, 0x10000, s5
	s_delay_alu instid0(VALU_DEP_1)
	v_or_b32_e32 v8, v2, v1
; %bb.124:
	s_or_b32 exec_lo, exec_lo, s2
	s_delay_alu instid0(VALU_DEP_1)
	v_or3_b32 v1, v8, v49, v48
	v_cmp_gt_u32_e64 s21, 0x10000, v35
	v_max_i16 v12, v34, v35
	v_cmp_gt_u32_e64 s22, 0x10000, v36
	v_cmp_gt_u32_e64 s20, 0x10000, v27
	;; [unrolled: 1-line block ×20, first 2 shown]
	v_or3_b32 v11, v1, v32, v31
	v_lshrrev_b32_e32 v9, 16, v34
	v_lshrrev_b32_e32 v10, 5, v0
	v_cmp_gt_u32_e32 vcc_lo, 32, v0
	s_cmp_lg_u32 s15, 0
	s_barrier
	buffer_gl0_inv
	s_cbranch_scc0 .LBB109_199
; %bb.125:
	v_cndmask_b32_e64 v1, v35, v12, s21
	v_or3_b32 v2, v11, v29, v47
	v_add_lshl_u32 v3, v10, v0, 2
	s_delay_alu instid0(VALU_DEP_3) | instskip(NEXT) | instid1(VALU_DEP_3)
	v_max_i16 v1, v1, v36
	v_or3_b32 v2, v2, v46, v45
	s_delay_alu instid0(VALU_DEP_2) | instskip(NEXT) | instid1(VALU_DEP_2)
	v_cndmask_b32_e64 v1, v36, v1, s22
	v_or3_b32 v2, v2, v44, v43
	s_delay_alu instid0(VALU_DEP_2) | instskip(NEXT) | instid1(VALU_DEP_2)
	v_max_i16 v1, v1, v27
	v_or3_b32 v2, v2, v42, v41
	s_delay_alu instid0(VALU_DEP_2) | instskip(NEXT) | instid1(VALU_DEP_2)
	v_cndmask_b32_e64 v1, v27, v1, s20
	v_or3_b32 v2, v2, v40, v39
	s_delay_alu instid0(VALU_DEP_2) | instskip(NEXT) | instid1(VALU_DEP_2)
	;; [unrolled: 6-line block ×3, first 2 shown]
	v_max_i16 v1, v1, v28
	v_or3_b32 v2, v2, v36, v35
	s_delay_alu instid0(VALU_DEP_2) | instskip(NEXT) | instid1(VALU_DEP_2)
	v_cndmask_b32_e64 v1, v28, v1, s18
	v_and_b32_e32 v2, 0x10000, v2
	s_delay_alu instid0(VALU_DEP_2) | instskip(NEXT) | instid1(VALU_DEP_1)
	v_max_i16 v1, v1, v38
	v_cndmask_b32_e64 v1, v38, v1, s17
	s_delay_alu instid0(VALU_DEP_1) | instskip(NEXT) | instid1(VALU_DEP_1)
	v_max_i16 v1, v1, v39
	v_cndmask_b32_e64 v1, v39, v1, s16
	s_delay_alu instid0(VALU_DEP_1) | instskip(NEXT) | instid1(VALU_DEP_1)
	v_max_i16 v1, v1, v40
	v_cndmask_b32_e64 v1, v40, v1, s14
	s_delay_alu instid0(VALU_DEP_1) | instskip(NEXT) | instid1(VALU_DEP_1)
	v_max_i16 v1, v1, v41
	v_cndmask_b32_e64 v1, v41, v1, s13
	s_delay_alu instid0(VALU_DEP_1) | instskip(NEXT) | instid1(VALU_DEP_1)
	v_max_i16 v1, v1, v42
	v_cndmask_b32_e64 v1, v42, v1, s12
	s_delay_alu instid0(VALU_DEP_1) | instskip(NEXT) | instid1(VALU_DEP_1)
	v_max_i16 v1, v1, v43
	v_cndmask_b32_e64 v1, v43, v1, s11
	s_delay_alu instid0(VALU_DEP_1) | instskip(NEXT) | instid1(VALU_DEP_1)
	v_max_i16 v1, v1, v44
	v_cndmask_b32_e64 v1, v44, v1, s10
	s_delay_alu instid0(VALU_DEP_1) | instskip(NEXT) | instid1(VALU_DEP_1)
	v_max_i16 v1, v1, v45
	v_cndmask_b32_e64 v1, v45, v1, s9
	s_delay_alu instid0(VALU_DEP_1) | instskip(NEXT) | instid1(VALU_DEP_1)
	v_max_i16 v1, v1, v46
	v_cndmask_b32_e64 v1, v46, v1, s8
	s_delay_alu instid0(VALU_DEP_1) | instskip(NEXT) | instid1(VALU_DEP_1)
	v_max_i16 v1, v1, v47
	v_cndmask_b32_e64 v1, v47, v1, s7
	s_delay_alu instid0(VALU_DEP_1) | instskip(NEXT) | instid1(VALU_DEP_1)
	v_max_i16 v1, v1, v29
	v_cndmask_b32_e64 v1, v29, v1, s6
	s_delay_alu instid0(VALU_DEP_1) | instskip(NEXT) | instid1(VALU_DEP_1)
	v_max_i16 v1, v1, v31
	v_cndmask_b32_e64 v1, v31, v1, s5
	s_delay_alu instid0(VALU_DEP_1) | instskip(NEXT) | instid1(VALU_DEP_1)
	v_max_i16 v1, v1, v32
	v_cndmask_b32_e64 v1, v32, v1, s4
	s_delay_alu instid0(VALU_DEP_1) | instskip(NEXT) | instid1(VALU_DEP_1)
	v_max_i16 v1, v1, v48
	v_cndmask_b32_e64 v1, v48, v1, s3
	s_delay_alu instid0(VALU_DEP_1) | instskip(NEXT) | instid1(VALU_DEP_1)
	v_max_i16 v1, v1, v49
	v_cndmask_b32_e64 v1, v49, v1, s2
	s_delay_alu instid0(VALU_DEP_1) | instskip(NEXT) | instid1(VALU_DEP_1)
	v_max_i16 v1, v1, v8
	v_cndmask_b32_e64 v13, v8, v1, s23
	v_cmp_ne_u32_e64 s23, 0, v2
	s_delay_alu instid0(VALU_DEP_1)
	v_cndmask_b32_e64 v14, v9, 1, s23
	ds_store_b16 v3, v13
	ds_store_b8 v3, v14 offset:2
	s_waitcnt lgkmcnt(0)
	s_barrier
	buffer_gl0_inv
	s_and_saveexec_b32 s27, vcc_lo
	s_cbranch_execz .LBB109_137
; %bb.126:
	v_lshrrev_b32_e32 v1, 2, v0
	s_mov_b32 s26, exec_lo
	s_delay_alu instid0(VALU_DEP_1) | instskip(NEXT) | instid1(VALU_DEP_1)
	v_and_b32_e32 v1, 12, v1
	v_lshl_or_b32 v1, v0, 3, v1
	ds_load_b32 v3, v1
	ds_load_u16 v2, v1 offset:4
	ds_load_u8 v5, v1 offset:6
	s_waitcnt lgkmcnt(2)
	v_and_b32_e32 v4, 0x10000, v3
	s_waitcnt lgkmcnt(1)
	v_max_i16 v6, v3, v2
	s_waitcnt lgkmcnt(0)
	v_and_b32_e32 v15, 1, v5
	v_cmp_eq_u16_e64 s23, 0, v5
	v_and_b32_e32 v5, 0xff000000, v3
	s_delay_alu instid0(VALU_DEP_3) | instskip(NEXT) | instid1(VALU_DEP_3)
	v_cmp_eq_u32_e64 s24, 1, v15
	v_cndmask_b32_e64 v7, v2, v6, s23
	v_mbcnt_lo_u32_b32 v6, -1, 0
	s_delay_alu instid0(VALU_DEP_3) | instskip(NEXT) | instid1(VALU_DEP_3)
	v_cndmask_b32_e64 v15, v4, 0x10000, s24
	v_and_b32_e32 v16, 0xffff, v7
	s_delay_alu instid0(VALU_DEP_2) | instskip(NEXT) | instid1(VALU_DEP_2)
	v_or_b32_e32 v18, v15, v5
	v_or3_b32 v19, v5, v16, v15
	v_and_b32_e32 v16, 15, v6
	s_delay_alu instid0(VALU_DEP_3) | instskip(NEXT) | instid1(VALU_DEP_3)
	v_lshrrev_b32_e32 v15, 16, v18
	v_mov_b32_dpp v17, v19 row_shr:1 row_mask:0xf bank_mask:0xf
	s_delay_alu instid0(VALU_DEP_3)
	v_cmpx_ne_u32_e32 0, v16
	s_cbranch_execz .LBB109_128
; %bb.127:
	s_delay_alu instid0(VALU_DEP_2) | instskip(SKIP_3) | instid1(VALU_DEP_4)
	v_lshrrev_b32_e32 v15, 16, v17
	v_lshrrev_b32_e32 v19, 16, v18
	v_and_b32_e32 v18, 0x10000, v18
	v_max_i16 v17, v17, v7
	v_and_b32_e32 v15, 1, v15
	s_delay_alu instid0(VALU_DEP_4) | instskip(NEXT) | instid1(VALU_DEP_4)
	v_and_b32_e32 v19, 0xff, v19
	v_cmp_ne_u32_e64 s25, 0, v18
	s_delay_alu instid0(VALU_DEP_1) | instskip(NEXT) | instid1(VALU_DEP_3)
	v_cndmask_b32_e64 v15, v15, 1, s25
	v_cmp_eq_u16_e64 s25, 0, v19
	s_delay_alu instid0(VALU_DEP_1) | instskip(NEXT) | instid1(VALU_DEP_3)
	v_cndmask_b32_e64 v7, v7, v17, s25
	v_lshlrev_b32_e32 v17, 16, v15
	s_delay_alu instid0(VALU_DEP_2) | instskip(NEXT) | instid1(VALU_DEP_1)
	v_and_b32_e32 v18, 0xffff, v7
	v_or3_b32 v19, v17, v18, v5
.LBB109_128:
	s_or_b32 exec_lo, exec_lo, s26
	s_delay_alu instid0(VALU_DEP_1)
	v_lshrrev_b32_e32 v18, 16, v19
	v_mov_b32_dpp v20, v19 row_shr:2 row_mask:0xf bank_mask:0xf
	v_mov_b32_e32 v17, v19
	s_mov_b32 s26, exec_lo
	v_cmpx_lt_u32_e32 1, v16
	s_cbranch_execz .LBB109_130
; %bb.129:
	v_and_b32_e32 v15, 0xff, v18
	v_lshrrev_b32_e32 v7, 16, v20
	v_max_i16 v17, v20, v19
	s_delay_alu instid0(VALU_DEP_3) | instskip(NEXT) | instid1(VALU_DEP_3)
	v_cmp_eq_u16_e64 s25, 0, v15
	v_and_b32_e32 v20, 1, v7
	s_delay_alu instid0(VALU_DEP_2) | instskip(NEXT) | instid1(VALU_DEP_1)
	v_cndmask_b32_e64 v7, v19, v17, s25
	v_dual_mov_b32 v17, v7 :: v_dual_and_b32 v18, 0x10000, v19
	s_delay_alu instid0(VALU_DEP_1) | instskip(SKIP_1) | instid1(VALU_DEP_2)
	v_cmp_ne_u32_e64 s25, 0, v18
	v_and_b32_e32 v18, 0xffff, v7
	v_cndmask_b32_e64 v15, v20, 1, s25
	s_delay_alu instid0(VALU_DEP_1) | instskip(NEXT) | instid1(VALU_DEP_1)
	v_lshlrev_b32_e32 v19, 16, v15
	v_or3_b32 v19, v19, v18, v5
	v_mov_b32_e32 v18, v15
.LBB109_130:
	s_or_b32 exec_lo, exec_lo, s26
	s_delay_alu instid0(VALU_DEP_2)
	v_mov_b32_dpp v20, v19 row_shr:4 row_mask:0xf bank_mask:0xf
	s_mov_b32 s26, exec_lo
	v_cmpx_lt_u32_e32 3, v16
	s_cbranch_execz .LBB109_132
; %bb.131:
	v_and_b32_e32 v15, 0xff, v18
	v_lshrrev_b32_e32 v7, 16, v20
	v_max_i16 v19, v20, v17
	s_delay_alu instid0(VALU_DEP_3) | instskip(NEXT) | instid1(VALU_DEP_3)
	v_cmp_eq_u16_e64 s25, 0, v15
	v_and_b32_e32 v20, 1, v7
	s_delay_alu instid0(VALU_DEP_2) | instskip(NEXT) | instid1(VALU_DEP_1)
	v_cndmask_b32_e64 v7, v17, v19, s25
	v_dual_mov_b32 v17, v7 :: v_dual_and_b32 v18, 1, v18
	s_delay_alu instid0(VALU_DEP_1) | instskip(SKIP_1) | instid1(VALU_DEP_2)
	v_cmp_eq_u32_e64 s25, 1, v18
	v_and_b32_e32 v18, 0xffff, v7
	v_cndmask_b32_e64 v15, v20, 1, s25
	s_delay_alu instid0(VALU_DEP_1) | instskip(NEXT) | instid1(VALU_DEP_1)
	v_lshlrev_b32_e32 v19, 16, v15
	v_or3_b32 v19, v19, v18, v5
	v_mov_b32_e32 v18, v15
.LBB109_132:
	s_or_b32 exec_lo, exec_lo, s26
	s_delay_alu instid0(VALU_DEP_2)
	v_mov_b32_dpp v20, v19 row_shr:8 row_mask:0xf bank_mask:0xf
	s_mov_b32 s26, exec_lo
	v_cmpx_lt_u32_e32 7, v16
	s_cbranch_execz .LBB109_134
; %bb.133:
	v_and_b32_e32 v15, 0xff, v18
	v_lshrrev_b32_e32 v7, 16, v20
	v_max_i16 v16, v20, v17
	s_delay_alu instid0(VALU_DEP_3) | instskip(NEXT) | instid1(VALU_DEP_3)
	v_cmp_eq_u16_e64 s25, 0, v15
	v_and_b32_e32 v19, 1, v7
	s_delay_alu instid0(VALU_DEP_2) | instskip(NEXT) | instid1(VALU_DEP_1)
	v_cndmask_b32_e64 v7, v17, v16, s25
	v_dual_mov_b32 v17, v7 :: v_dual_and_b32 v18, 1, v18
	s_delay_alu instid0(VALU_DEP_1) | instskip(SKIP_1) | instid1(VALU_DEP_2)
	v_cmp_eq_u32_e64 s25, 1, v18
	v_and_b32_e32 v16, 0xffff, v7
	v_cndmask_b32_e64 v15, v19, 1, s25
	s_delay_alu instid0(VALU_DEP_1) | instskip(NEXT) | instid1(VALU_DEP_1)
	v_lshlrev_b32_e32 v18, 16, v15
	v_or3_b32 v19, v18, v16, v5
	v_mov_b32_e32 v18, v15
.LBB109_134:
	s_or_b32 exec_lo, exec_lo, s26
	ds_swizzle_b32 v16, v19 offset:swizzle(BROADCAST,32,15)
	v_and_b32_e32 v19, 16, v6
	s_mov_b32 s26, exec_lo
	s_delay_alu instid0(VALU_DEP_1)
	v_cmpx_ne_u32_e32 0, v19
	s_cbranch_execz .LBB109_136
; %bb.135:
	s_waitcnt lgkmcnt(0)
	v_lshrrev_b32_e32 v7, 16, v16
	v_and_b32_e32 v15, 1, v18
	v_and_b32_e32 v18, 0xff, v18
	v_max_i16 v16, v16, v17
	s_delay_alu instid0(VALU_DEP_4) | instskip(NEXT) | instid1(VALU_DEP_4)
	v_and_b32_e32 v7, 1, v7
	v_cmp_eq_u32_e64 s25, 1, v15
	s_delay_alu instid0(VALU_DEP_1) | instskip(SKIP_1) | instid1(VALU_DEP_1)
	v_cndmask_b32_e64 v15, v7, 1, s25
	v_cmp_eq_u16_e64 s25, 0, v18
	v_cndmask_b32_e64 v7, v17, v16, s25
.LBB109_136:
	s_or_b32 exec_lo, exec_lo, s26
	s_waitcnt lgkmcnt(0)
	v_add_nc_u32_e32 v16, -1, v6
	v_and_b32_e32 v15, 0xff, v15
	v_and_b32_e32 v7, 0xffff, v7
	v_cmp_eq_u32_e64 s26, 0, v4
	s_delay_alu instid0(VALU_DEP_4) | instskip(NEXT) | instid1(VALU_DEP_4)
	v_cmp_gt_i32_e64 s25, 0, v16
	v_lshlrev_b32_e32 v15, 16, v15
	s_delay_alu instid0(VALU_DEP_2) | instskip(NEXT) | instid1(VALU_DEP_2)
	v_cndmask_b32_e64 v6, v16, v6, s25
	v_or3_b32 v5, v15, v7, v5
	s_delay_alu instid0(VALU_DEP_2) | instskip(SKIP_2) | instid1(VALU_DEP_1)
	v_lshlrev_b32_e32 v6, 2, v6
	ds_bpermute_b32 v5, v6, v5
	v_and_b32_e32 v6, 0xff0000, v3
	v_cmp_eq_u32_e64 s25, 0, v6
	s_waitcnt lgkmcnt(0)
	v_max_i16 v7, v5, v3
	v_lshrrev_b32_e32 v5, 16, v5
	s_delay_alu instid0(VALU_DEP_2) | instskip(SKIP_1) | instid1(VALU_DEP_3)
	v_cndmask_b32_e64 v3, v3, v7, s25
	v_cmp_eq_u32_e64 s25, 0, v0
	v_and_b32_e32 v5, 1, v5
	s_delay_alu instid0(VALU_DEP_2) | instskip(NEXT) | instid1(VALU_DEP_2)
	v_cndmask_b32_e64 v3, v3, v13, s25
	v_cndmask_b32_e64 v4, 1, v5, s26
	s_delay_alu instid0(VALU_DEP_2) | instskip(NEXT) | instid1(VALU_DEP_2)
	v_max_i16 v5, v3, v2
	v_cndmask_b32_e64 v4, v4, v14, s25
	s_delay_alu instid0(VALU_DEP_2) | instskip(NEXT) | instid1(VALU_DEP_2)
	v_cndmask_b32_e64 v2, v2, v5, s23
	v_cndmask_b32_e64 v5, v4, 1, s24
	ds_store_b16 v1, v3
	ds_store_b8 v1, v4 offset:2
	ds_store_b16 v1, v2 offset:4
	ds_store_b8 v1, v5 offset:6
.LBB109_137:
	s_or_b32 exec_lo, exec_lo, s27
	v_cmp_eq_u32_e64 s23, 0, v0
	s_mov_b32 s25, exec_lo
	s_waitcnt lgkmcnt(0)
	s_barrier
	buffer_gl0_inv
	v_cmpx_ne_u32_e32 0, v0
	s_cbranch_execz .LBB109_139
; %bb.138:
	v_add_nc_u32_e32 v1, -1, v0
	s_delay_alu instid0(VALU_DEP_1) | instskip(NEXT) | instid1(VALU_DEP_1)
	v_lshrrev_b32_e32 v2, 5, v1
	v_add_lshl_u32 v1, v2, v1, 2
	ds_load_u16 v13, v1
	ds_load_u8 v14, v1 offset:2
.LBB109_139:
	s_or_b32 exec_lo, exec_lo, s25
	s_and_saveexec_b32 s25, vcc_lo
	s_cbranch_execz .LBB109_178
; %bb.140:
	v_mov_b32_e32 v4, 0
	v_mbcnt_lo_u32_b32 v24, -1, 0
	s_mov_b32 s27, 0
	ds_load_b32 v1, v4 offset:256
	v_cmp_eq_u32_e64 s24, 0, v24
	s_delay_alu instid0(VALU_DEP_1)
	s_and_saveexec_b32 s34, s24
	s_cbranch_execz .LBB109_142
; %bb.141:
	s_add_i32 s26, s15, 32
	v_mov_b32_e32 v2, 1
	s_lshl_b64 s[26:27], s[26:27], 3
	s_delay_alu instid0(SALU_CYCLE_1)
	s_add_u32 s26, s36, s26
	s_addc_u32 s27, s37, s27
	s_waitcnt lgkmcnt(0)
	global_store_b64 v4, v[1:2], s[26:27]
.LBB109_142:
	s_or_b32 exec_lo, exec_lo, s34
	v_xad_u32 v2, v24, -1, s15
	s_mov_b32 s26, exec_lo
	s_delay_alu instid0(VALU_DEP_1) | instskip(NEXT) | instid1(VALU_DEP_1)
	v_add_nc_u32_e32 v3, 32, v2
	v_lshlrev_b64 v[3:4], 3, v[3:4]
	s_delay_alu instid0(VALU_DEP_1) | instskip(NEXT) | instid1(VALU_DEP_2)
	v_add_co_u32 v6, vcc_lo, s36, v3
	v_add_co_ci_u32_e32 v7, vcc_lo, s37, v4, vcc_lo
	global_load_b64 v[4:5], v[6:7], off glc
	s_waitcnt vmcnt(0)
	v_and_b32_e32 v3, 0xff, v5
	s_delay_alu instid0(VALU_DEP_1)
	v_cmpx_eq_u16_e32 0, v3
	s_cbranch_execz .LBB109_146
; %bb.143:
	s_mov_b32 s27, 0
.LBB109_144:                            ; =>This Inner Loop Header: Depth=1
	global_load_b64 v[4:5], v[6:7], off glc
	s_waitcnt vmcnt(0)
	v_and_b32_e32 v3, 0xff, v5
	s_delay_alu instid0(VALU_DEP_1) | instskip(SKIP_1) | instid1(SALU_CYCLE_1)
	v_cmp_ne_u16_e32 vcc_lo, 0, v3
	s_or_b32 s27, vcc_lo, s27
	s_and_not1_b32 exec_lo, exec_lo, s27
	s_cbranch_execnz .LBB109_144
; %bb.145:
	s_or_b32 exec_lo, exec_lo, s27
.LBB109_146:
	s_delay_alu instid0(SALU_CYCLE_1)
	s_or_b32 exec_lo, exec_lo, s26
	v_cmp_ne_u32_e32 vcc_lo, 31, v24
	v_and_b32_e32 v25, 0xffffff, v4
	v_and_b32_e32 v6, 0xff, v5
	v_lshlrev_b32_e64 v16, v24, -1
	v_add_nc_u32_e32 v17, 1, v24
	v_add_co_ci_u32_e32 v3, vcc_lo, 0, v24, vcc_lo
	s_delay_alu instid0(VALU_DEP_4) | instskip(SKIP_2) | instid1(VALU_DEP_4)
	v_cmp_eq_u16_e32 vcc_lo, 2, v6
	v_lshrrev_b32_e32 v6, 16, v4
	v_bfe_u32 v7, v4, 16, 8
	v_lshlrev_b32_e32 v15, 2, v3
	s_mov_b32 s26, exec_lo
	v_and_or_b32 v3, vcc_lo, v16, 0x80000000
	ds_bpermute_b32 v18, v15, v25
	v_ctz_i32_b32_e32 v3, v3
	s_delay_alu instid0(VALU_DEP_1)
	v_cmpx_le_u32_e64 v17, v3
	s_cbranch_execz .LBB109_148
; %bb.147:
	v_and_b32_e32 v6, 0xff0000, v4
	s_waitcnt lgkmcnt(0)
	v_lshrrev_b32_e32 v7, 16, v18
	v_max_i16 v18, v18, v4
	s_delay_alu instid0(VALU_DEP_3) | instskip(SKIP_1) | instid1(VALU_DEP_3)
	v_and_b32_e32 v19, 0x10000, v6
	v_cmp_eq_u32_e32 vcc_lo, 0, v6
	v_dual_cndmask_b32 v4, v4, v18 :: v_dual_and_b32 v7, 1, v7
	s_delay_alu instid0(VALU_DEP_3) | instskip(NEXT) | instid1(VALU_DEP_2)
	v_cmp_ne_u32_e32 vcc_lo, 0, v19
	v_cndmask_b32_e64 v6, v7, 1, vcc_lo
	s_delay_alu instid0(VALU_DEP_3) | instskip(NEXT) | instid1(VALU_DEP_2)
	v_and_b32_e32 v7, 0xffff, v4
	v_lshlrev_b32_e32 v18, 16, v6
	s_delay_alu instid0(VALU_DEP_1)
	v_or_b32_e32 v25, v18, v7
	v_mov_b32_e32 v7, v6
.LBB109_148:
	s_or_b32 exec_lo, exec_lo, s26
	v_cmp_gt_u32_e32 vcc_lo, 30, v24
	v_add_nc_u32_e32 v19, 2, v24
	s_mov_b32 s26, exec_lo
	s_waitcnt lgkmcnt(0)
	v_cndmask_b32_e64 v18, 0, 1, vcc_lo
	s_delay_alu instid0(VALU_DEP_1) | instskip(NEXT) | instid1(VALU_DEP_1)
	v_lshlrev_b32_e32 v18, 1, v18
	v_add_lshl_u32 v18, v18, v24, 2
	ds_bpermute_b32 v20, v18, v25
	v_cmpx_le_u32_e64 v19, v3
	s_cbranch_execz .LBB109_150
; %bb.149:
	s_waitcnt lgkmcnt(0)
	v_lshrrev_b32_e32 v6, 16, v20
	v_max_i16 v20, v20, v4
	v_cmp_eq_u16_e32 vcc_lo, 0, v7
	v_and_b32_e32 v21, 1, v7
	s_delay_alu instid0(VALU_DEP_4) | instskip(NEXT) | instid1(VALU_DEP_4)
	v_and_b32_e32 v6, 1, v6
	v_cndmask_b32_e32 v4, v4, v20, vcc_lo
	s_delay_alu instid0(VALU_DEP_3) | instskip(NEXT) | instid1(VALU_DEP_2)
	v_cmp_eq_u32_e32 vcc_lo, 1, v21
	v_and_b32_e32 v7, 0xffff, v4
	s_delay_alu instid0(VALU_DEP_4) | instskip(NEXT) | instid1(VALU_DEP_1)
	v_cndmask_b32_e64 v6, v6, 1, vcc_lo
	v_lshlrev_b32_e32 v20, 16, v6
	s_delay_alu instid0(VALU_DEP_1)
	v_or_b32_e32 v25, v20, v7
	v_mov_b32_e32 v7, v6
.LBB109_150:
	s_or_b32 exec_lo, exec_lo, s26
	v_cmp_gt_u32_e32 vcc_lo, 28, v24
	v_add_nc_u32_e32 v21, 4, v24
	s_mov_b32 s26, exec_lo
	s_waitcnt lgkmcnt(0)
	v_cndmask_b32_e64 v20, 0, 1, vcc_lo
	s_delay_alu instid0(VALU_DEP_1) | instskip(NEXT) | instid1(VALU_DEP_1)
	v_lshlrev_b32_e32 v20, 2, v20
	v_add_lshl_u32 v20, v20, v24, 2
	ds_bpermute_b32 v22, v20, v25
	v_cmpx_le_u32_e64 v21, v3
	s_cbranch_execz .LBB109_152
; %bb.151:
	s_waitcnt lgkmcnt(0)
	v_lshrrev_b32_e32 v6, 16, v22
	v_max_i16 v22, v22, v4
	v_cmp_eq_u16_e32 vcc_lo, 0, v7
	v_and_b32_e32 v23, 1, v7
	s_delay_alu instid0(VALU_DEP_4) | instskip(NEXT) | instid1(VALU_DEP_4)
	v_and_b32_e32 v6, 1, v6
	v_cndmask_b32_e32 v4, v4, v22, vcc_lo
	s_delay_alu instid0(VALU_DEP_3) | instskip(NEXT) | instid1(VALU_DEP_2)
	v_cmp_eq_u32_e32 vcc_lo, 1, v23
	v_and_b32_e32 v7, 0xffff, v4
	s_delay_alu instid0(VALU_DEP_4) | instskip(NEXT) | instid1(VALU_DEP_1)
	v_cndmask_b32_e64 v6, v6, 1, vcc_lo
	v_lshlrev_b32_e32 v22, 16, v6
	s_delay_alu instid0(VALU_DEP_1)
	v_or_b32_e32 v25, v22, v7
	v_mov_b32_e32 v7, v6
.LBB109_152:
	s_or_b32 exec_lo, exec_lo, s26
	v_cmp_gt_u32_e32 vcc_lo, 24, v24
	v_add_nc_u32_e32 v23, 8, v24
	s_mov_b32 s26, exec_lo
	s_waitcnt lgkmcnt(0)
	v_cndmask_b32_e64 v22, 0, 1, vcc_lo
	s_delay_alu instid0(VALU_DEP_1) | instskip(NEXT) | instid1(VALU_DEP_1)
	v_lshlrev_b32_e32 v22, 3, v22
	v_add_lshl_u32 v22, v22, v24, 2
	ds_bpermute_b32 v26, v22, v25
	v_cmpx_le_u32_e64 v23, v3
	s_cbranch_execz .LBB109_154
; %bb.153:
	s_waitcnt lgkmcnt(0)
	v_lshrrev_b32_e32 v6, 16, v26
	v_max_i16 v25, v26, v4
	v_and_b32_e32 v26, 1, v7
	v_cmp_eq_u16_e32 vcc_lo, 0, v7
	s_delay_alu instid0(VALU_DEP_4) | instskip(NEXT) | instid1(VALU_DEP_4)
	v_and_b32_e32 v6, 1, v6
	v_cndmask_b32_e32 v4, v4, v25, vcc_lo
	s_delay_alu instid0(VALU_DEP_4) | instskip(NEXT) | instid1(VALU_DEP_3)
	v_cmp_eq_u32_e32 vcc_lo, 1, v26
	v_cndmask_b32_e64 v6, v6, 1, vcc_lo
	s_delay_alu instid0(VALU_DEP_1) | instskip(NEXT) | instid1(VALU_DEP_4)
	v_lshlrev_b32_e32 v25, 16, v6
	v_and_b32_e32 v7, 0xffff, v4
	s_delay_alu instid0(VALU_DEP_1)
	v_or_b32_e32 v25, v25, v7
	v_mov_b32_e32 v7, v6
.LBB109_154:
	s_or_b32 exec_lo, exec_lo, s26
	v_cmp_gt_u32_e32 vcc_lo, 16, v24
	v_add_nc_u32_e32 v30, 16, v24
	s_mov_b32 s26, exec_lo
	s_waitcnt lgkmcnt(0)
	v_cndmask_b32_e64 v26, 0, 1, vcc_lo
	s_delay_alu instid0(VALU_DEP_1) | instskip(NEXT) | instid1(VALU_DEP_1)
	v_lshlrev_b32_e32 v26, 4, v26
	v_add_lshl_u32 v26, v26, v24, 2
	ds_bpermute_b32 v25, v26, v25
	v_cmpx_le_u32_e64 v30, v3
	s_cbranch_execz .LBB109_156
; %bb.155:
	s_waitcnt lgkmcnt(0)
	v_lshrrev_b32_e32 v3, 16, v25
	v_max_i16 v6, v25, v4
	v_and_b32_e32 v24, 1, v7
	v_cmp_eq_u16_e32 vcc_lo, 0, v7
	s_delay_alu instid0(VALU_DEP_3) | instskip(NEXT) | instid1(VALU_DEP_3)
	v_dual_cndmask_b32 v4, v4, v6 :: v_dual_and_b32 v3, 1, v3
	v_cmp_eq_u32_e32 vcc_lo, 1, v24
	s_delay_alu instid0(VALU_DEP_2)
	v_cndmask_b32_e64 v6, v3, 1, vcc_lo
.LBB109_156:
	s_or_b32 exec_lo, exec_lo, s26
	v_mov_b32_e32 v3, 0
	s_branch .LBB109_158
.LBB109_157:                            ;   in Loop: Header=BB109_158 Depth=1
	s_or_b32 exec_lo, exec_lo, s26
	v_and_b32_e32 v6, 0xff, v24
	v_max_i16 v4, v4, v25
	v_and_b32_e32 v50, 1, v24
	v_subrev_nc_u32_e32 v2, 32, v2
	s_delay_alu instid0(VALU_DEP_4) | instskip(NEXT) | instid1(VALU_DEP_4)
	v_cmp_eq_u16_e32 vcc_lo, 0, v6
	v_dual_cndmask_b32 v4, v25, v4 :: v_dual_and_b32 v7, 1, v7
	s_delay_alu instid0(VALU_DEP_4) | instskip(NEXT) | instid1(VALU_DEP_2)
	v_cmp_eq_u32_e32 vcc_lo, 1, v50
	v_cndmask_b32_e64 v6, v7, 1, vcc_lo
.LBB109_158:                            ; =>This Loop Header: Depth=1
                                        ;     Child Loop BB109_161 Depth 2
	s_delay_alu instid0(VALU_DEP_1) | instskip(SKIP_2) | instid1(VALU_DEP_2)
	v_dual_mov_b32 v24, v6 :: v_dual_and_b32 v5, 0xff, v5
	s_waitcnt lgkmcnt(0)
	v_mov_b32_e32 v25, v4
	v_cmp_ne_u16_e32 vcc_lo, 2, v5
	v_cndmask_b32_e64 v5, 0, 1, vcc_lo
	;;#ASMSTART
	;;#ASMEND
	s_delay_alu instid0(VALU_DEP_1)
	v_cmp_ne_u32_e32 vcc_lo, 0, v5
	s_cmp_lg_u32 vcc_lo, exec_lo
	s_cbranch_scc1 .LBB109_173
; %bb.159:                              ;   in Loop: Header=BB109_158 Depth=1
	v_lshlrev_b64 v[4:5], 3, v[2:3]
	s_mov_b32 s26, exec_lo
	s_delay_alu instid0(VALU_DEP_1) | instskip(NEXT) | instid1(VALU_DEP_2)
	v_add_co_u32 v6, vcc_lo, s36, v4
	v_add_co_ci_u32_e32 v7, vcc_lo, s37, v5, vcc_lo
	global_load_b64 v[4:5], v[6:7], off glc
	s_waitcnt vmcnt(0)
	v_and_b32_e32 v50, 0xff, v5
	s_delay_alu instid0(VALU_DEP_1)
	v_cmpx_eq_u16_e32 0, v50
	s_cbranch_execz .LBB109_163
; %bb.160:                              ;   in Loop: Header=BB109_158 Depth=1
	s_mov_b32 s27, 0
.LBB109_161:                            ;   Parent Loop BB109_158 Depth=1
                                        ; =>  This Inner Loop Header: Depth=2
	global_load_b64 v[4:5], v[6:7], off glc
	s_waitcnt vmcnt(0)
	v_and_b32_e32 v50, 0xff, v5
	s_delay_alu instid0(VALU_DEP_1) | instskip(SKIP_1) | instid1(SALU_CYCLE_1)
	v_cmp_ne_u16_e32 vcc_lo, 0, v50
	s_or_b32 s27, vcc_lo, s27
	s_and_not1_b32 exec_lo, exec_lo, s27
	s_cbranch_execnz .LBB109_161
; %bb.162:                              ;   in Loop: Header=BB109_158 Depth=1
	s_or_b32 exec_lo, exec_lo, s27
.LBB109_163:                            ;   in Loop: Header=BB109_158 Depth=1
	s_delay_alu instid0(SALU_CYCLE_1)
	s_or_b32 exec_lo, exec_lo, s26
	v_and_b32_e32 v51, 0xffffff, v4
	v_and_b32_e32 v6, 0xff, v5
	v_lshrrev_b32_e32 v7, 16, v4
	v_bfe_u32 v50, v4, 16, 8
	s_mov_b32 s26, exec_lo
	ds_bpermute_b32 v52, v15, v51
	v_cmp_eq_u16_e32 vcc_lo, 2, v6
	v_and_or_b32 v6, vcc_lo, v16, 0x80000000
	s_delay_alu instid0(VALU_DEP_1) | instskip(NEXT) | instid1(VALU_DEP_1)
	v_ctz_i32_b32_e32 v6, v6
	v_cmpx_le_u32_e64 v17, v6
	s_cbranch_execz .LBB109_165
; %bb.164:                              ;   in Loop: Header=BB109_158 Depth=1
	s_waitcnt lgkmcnt(0)
	v_max_i16 v51, v52, v4
	v_and_b32_e32 v7, 0xff0000, v4
	v_lshrrev_b32_e32 v50, 16, v52
	s_delay_alu instid0(VALU_DEP_2) | instskip(NEXT) | instid1(VALU_DEP_2)
	v_cmp_eq_u32_e32 vcc_lo, 0, v7
	v_and_b32_e32 v50, 1, v50
	v_cndmask_b32_e32 v4, v4, v51, vcc_lo
	v_and_b32_e32 v52, 0x10000, v7
	s_delay_alu instid0(VALU_DEP_1) | instskip(NEXT) | instid1(VALU_DEP_4)
	v_cmp_ne_u32_e32 vcc_lo, 0, v52
	v_cndmask_b32_e64 v7, v50, 1, vcc_lo
	s_delay_alu instid0(VALU_DEP_4) | instskip(NEXT) | instid1(VALU_DEP_2)
	v_and_b32_e32 v50, 0xffff, v4
	v_lshlrev_b32_e32 v51, 16, v7
	s_delay_alu instid0(VALU_DEP_1)
	v_or_b32_e32 v51, v51, v50
	v_mov_b32_e32 v50, v7
.LBB109_165:                            ;   in Loop: Header=BB109_158 Depth=1
	s_or_b32 exec_lo, exec_lo, s26
	s_waitcnt lgkmcnt(0)
	ds_bpermute_b32 v52, v18, v51
	s_mov_b32 s26, exec_lo
	v_cmpx_le_u32_e64 v19, v6
	s_cbranch_execz .LBB109_167
; %bb.166:                              ;   in Loop: Header=BB109_158 Depth=1
	s_waitcnt lgkmcnt(0)
	v_lshrrev_b32_e32 v7, 16, v52
	v_max_i16 v51, v52, v4
	v_and_b32_e32 v52, 1, v50
	v_cmp_eq_u16_e32 vcc_lo, 0, v50
	s_delay_alu instid0(VALU_DEP_4) | instskip(NEXT) | instid1(VALU_DEP_4)
	v_and_b32_e32 v7, 1, v7
	v_cndmask_b32_e32 v4, v4, v51, vcc_lo
	s_delay_alu instid0(VALU_DEP_4) | instskip(NEXT) | instid1(VALU_DEP_2)
	v_cmp_eq_u32_e32 vcc_lo, 1, v52
	v_and_b32_e32 v50, 0xffff, v4
	s_delay_alu instid0(VALU_DEP_4) | instskip(NEXT) | instid1(VALU_DEP_1)
	v_cndmask_b32_e64 v7, v7, 1, vcc_lo
	v_lshlrev_b32_e32 v51, 16, v7
	s_delay_alu instid0(VALU_DEP_1)
	v_or_b32_e32 v51, v51, v50
	v_mov_b32_e32 v50, v7
.LBB109_167:                            ;   in Loop: Header=BB109_158 Depth=1
	s_or_b32 exec_lo, exec_lo, s26
	s_waitcnt lgkmcnt(0)
	ds_bpermute_b32 v52, v20, v51
	s_mov_b32 s26, exec_lo
	v_cmpx_le_u32_e64 v21, v6
	s_cbranch_execz .LBB109_169
; %bb.168:                              ;   in Loop: Header=BB109_158 Depth=1
	s_waitcnt lgkmcnt(0)
	v_lshrrev_b32_e32 v7, 16, v52
	v_max_i16 v51, v52, v4
	v_and_b32_e32 v52, 1, v50
	v_cmp_eq_u16_e32 vcc_lo, 0, v50
	s_delay_alu instid0(VALU_DEP_4) | instskip(NEXT) | instid1(VALU_DEP_4)
	v_and_b32_e32 v7, 1, v7
	v_cndmask_b32_e32 v4, v4, v51, vcc_lo
	s_delay_alu instid0(VALU_DEP_4) | instskip(NEXT) | instid1(VALU_DEP_2)
	v_cmp_eq_u32_e32 vcc_lo, 1, v52
	v_and_b32_e32 v50, 0xffff, v4
	s_delay_alu instid0(VALU_DEP_4) | instskip(NEXT) | instid1(VALU_DEP_1)
	v_cndmask_b32_e64 v7, v7, 1, vcc_lo
	v_lshlrev_b32_e32 v51, 16, v7
	s_delay_alu instid0(VALU_DEP_1)
	v_or_b32_e32 v51, v51, v50
	v_mov_b32_e32 v50, v7
.LBB109_169:                            ;   in Loop: Header=BB109_158 Depth=1
	;; [unrolled: 25-line block ×3, first 2 shown]
	s_or_b32 exec_lo, exec_lo, s26
	ds_bpermute_b32 v51, v26, v51
	s_mov_b32 s26, exec_lo
	v_cmpx_le_u32_e64 v30, v6
	s_cbranch_execz .LBB109_157
; %bb.172:                              ;   in Loop: Header=BB109_158 Depth=1
	s_waitcnt lgkmcnt(0)
	v_max_i16 v6, v51, v4
	v_and_b32_e32 v7, 1, v50
	v_cmp_eq_u16_e32 vcc_lo, 0, v50
	v_lshrrev_b32_e32 v51, 16, v51
	s_delay_alu instid0(VALU_DEP_4) | instskip(NEXT) | instid1(VALU_DEP_4)
	v_cndmask_b32_e32 v4, v4, v6, vcc_lo
	v_cmp_eq_u32_e32 vcc_lo, 1, v7
	s_delay_alu instid0(VALU_DEP_3)
	v_cndmask_b32_e64 v7, v51, 1, vcc_lo
	s_branch .LBB109_157
.LBB109_173:                            ;   in Loop: Header=BB109_158 Depth=1
                                        ; implicit-def: $vgpr6
                                        ; implicit-def: $vgpr4
	s_cbranch_execz .LBB109_158
; %bb.174:
	s_and_saveexec_b32 s26, s24
	s_cbranch_execz .LBB109_176
; %bb.175:
	v_and_b32_e32 v2, 1, v24
	v_and_b32_e32 v3, 0xff0000, v1
	v_max_i16 v4, v25, v1
	s_mov_b32 s35, 0
	s_add_i32 s34, s15, 32
	s_delay_alu instid0(VALU_DEP_2)
	v_cmp_eq_u32_e32 vcc_lo, 0, v3
	v_dual_mov_b32 v3, 0 :: v_dual_lshlrev_b32 v2, 16, v2
	v_and_b32_e32 v5, 0x10000, v1
	s_lshl_b64 s[34:35], s[34:35], 3
	v_cndmask_b32_e32 v1, v1, v4, vcc_lo
	s_add_u32 s34, s36, s34
	s_addc_u32 s35, s37, s35
	v_cmp_eq_u32_e32 vcc_lo, 0, v5
	s_delay_alu instid0(VALU_DEP_2) | instskip(SKIP_1) | instid1(VALU_DEP_1)
	v_and_b32_e32 v1, 0xffff, v1
	v_cndmask_b32_e32 v2, 0x10000, v2, vcc_lo
	v_or_b32_e32 v1, v2, v1
	v_mov_b32_e32 v2, 2
	global_store_b64 v3, v[1:2], s[34:35]
.LBB109_176:
	s_or_b32 exec_lo, exec_lo, s26
	s_delay_alu instid0(SALU_CYCLE_1)
	s_and_b32 exec_lo, exec_lo, s23
	s_cbranch_execz .LBB109_178
; %bb.177:
	v_mov_b32_e32 v1, 0
	ds_store_b16 v1, v25
	ds_store_b8 v1, v24 offset:2
.LBB109_178:
	s_or_b32 exec_lo, exec_lo, s25
	s_waitcnt lgkmcnt(0)
	v_dual_mov_b32 v1, 0 :: v_dual_and_b32 v2, 0xff, v14
	s_waitcnt_vscnt null, 0x0
	s_barrier
	buffer_gl0_inv
	ds_load_b32 v1, v1
	v_cmp_eq_u16_e32 vcc_lo, 0, v2
	s_waitcnt lgkmcnt(0)
	v_max_i16 v3, v1, v13
	s_delay_alu instid0(VALU_DEP_1) | instskip(NEXT) | instid1(VALU_DEP_1)
	v_cndmask_b32_e32 v2, v13, v3, vcc_lo
	v_cndmask_b32_e64 v2, v2, v1, s23
	v_and_b32_e32 v1, 0xff0000, v34
	s_delay_alu instid0(VALU_DEP_2) | instskip(NEXT) | instid1(VALU_DEP_2)
	v_max_i16 v3, v2, v34
	v_cmp_eq_u32_e32 vcc_lo, 0, v1
	s_delay_alu instid0(VALU_DEP_2) | instskip(NEXT) | instid1(VALU_DEP_1)
	v_cndmask_b32_e32 v3, v34, v3, vcc_lo
	v_max_i16 v1, v3, v35
	s_delay_alu instid0(VALU_DEP_1) | instskip(NEXT) | instid1(VALU_DEP_1)
	v_cndmask_b32_e64 v4, v35, v1, s21
	v_max_i16 v1, v4, v36
	s_delay_alu instid0(VALU_DEP_1) | instskip(NEXT) | instid1(VALU_DEP_1)
	v_cndmask_b32_e64 v5, v36, v1, s22
	;; [unrolled: 3-line block ×19, first 2 shown]
	v_max_i16 v1, v50, v49
	s_delay_alu instid0(VALU_DEP_1)
	v_cndmask_b32_e64 v1, v49, v1, s2
	s_branch .LBB109_219
.LBB109_179:
	s_or_b32 exec_lo, exec_lo, s24
                                        ; implicit-def: $vgpr28
	s_and_saveexec_b32 s24, s2
	s_cbranch_execz .LBB109_49
.LBB109_180:
	global_load_u16 v28, v[21:22], off offset:128
	s_or_b32 exec_lo, exec_lo, s24
                                        ; implicit-def: $vgpr29
	s_and_saveexec_b32 s2, s3
	s_cbranch_execnz .LBB109_50
.LBB109_181:
	s_or_b32 exec_lo, exec_lo, s2
                                        ; implicit-def: $vgpr30
	s_and_saveexec_b32 s2, s4
	s_cbranch_execz .LBB109_51
.LBB109_182:
	global_load_u16 v30, v[21:22], off offset:384
	s_or_b32 exec_lo, exec_lo, s2
                                        ; implicit-def: $vgpr31
	s_and_saveexec_b32 s2, s5
	s_cbranch_execnz .LBB109_52
.LBB109_183:
	s_or_b32 exec_lo, exec_lo, s2
                                        ; implicit-def: $vgpr32
	s_and_saveexec_b32 s2, s6
	s_cbranch_execz .LBB109_53
.LBB109_184:
	global_load_u16 v32, v[21:22], off offset:640
	s_or_b32 exec_lo, exec_lo, s2
                                        ; implicit-def: $vgpr34
	s_and_saveexec_b32 s2, s7
	s_cbranch_execnz .LBB109_54
.LBB109_185:
	s_or_b32 exec_lo, exec_lo, s2
                                        ; implicit-def: $vgpr35
	s_and_saveexec_b32 s2, s8
	s_cbranch_execz .LBB109_55
.LBB109_186:
	global_load_u16 v35, v[21:22], off offset:896
	s_or_b32 exec_lo, exec_lo, s2
                                        ; implicit-def: $vgpr36
	s_and_saveexec_b32 s2, s9
	s_cbranch_execnz .LBB109_56
.LBB109_187:
	s_or_b32 exec_lo, exec_lo, s2
                                        ; implicit-def: $vgpr37
	s_and_saveexec_b32 s2, s10
	s_cbranch_execz .LBB109_57
.LBB109_188:
	global_load_u16 v37, v[21:22], off offset:1152
	s_or_b32 exec_lo, exec_lo, s2
                                        ; implicit-def: $vgpr38
	s_and_saveexec_b32 s2, s11
	s_cbranch_execnz .LBB109_58
.LBB109_189:
	s_or_b32 exec_lo, exec_lo, s2
                                        ; implicit-def: $vgpr39
	s_and_saveexec_b32 s2, s12
	s_cbranch_execz .LBB109_59
.LBB109_190:
	global_load_u16 v39, v[21:22], off offset:1408
	s_or_b32 exec_lo, exec_lo, s2
                                        ; implicit-def: $vgpr40
	s_and_saveexec_b32 s2, s13
	s_cbranch_execnz .LBB109_60
.LBB109_191:
	s_or_b32 exec_lo, exec_lo, s2
                                        ; implicit-def: $vgpr41
	s_and_saveexec_b32 s2, s14
	s_cbranch_execz .LBB109_61
.LBB109_192:
	global_load_u16 v41, v[21:22], off offset:1664
	s_or_b32 exec_lo, exec_lo, s2
                                        ; implicit-def: $vgpr42
	s_and_saveexec_b32 s2, s16
	s_cbranch_execnz .LBB109_62
.LBB109_193:
	s_or_b32 exec_lo, exec_lo, s2
                                        ; implicit-def: $vgpr43
	s_and_saveexec_b32 s2, s17
	s_cbranch_execz .LBB109_63
.LBB109_194:
	global_load_u16 v43, v[21:22], off offset:1920
	s_or_b32 exec_lo, exec_lo, s2
                                        ; implicit-def: $vgpr44
	s_and_saveexec_b32 s2, s18
	s_cbranch_execnz .LBB109_64
.LBB109_195:
	s_or_b32 exec_lo, exec_lo, s2
                                        ; implicit-def: $vgpr45
	s_and_saveexec_b32 s2, s19
	s_cbranch_execz .LBB109_65
.LBB109_196:
	global_load_u16 v45, v[21:22], off offset:2176
	s_or_b32 exec_lo, exec_lo, s2
                                        ; implicit-def: $vgpr46
	s_and_saveexec_b32 s2, s20
	s_cbranch_execnz .LBB109_66
.LBB109_197:
	s_or_b32 exec_lo, exec_lo, s2
                                        ; implicit-def: $vgpr47
	s_and_saveexec_b32 s2, s21
	s_cbranch_execz .LBB109_67
.LBB109_198:
	global_load_u16 v47, v[21:22], off offset:2432
	s_or_b32 exec_lo, exec_lo, s2
                                        ; implicit-def: $vgpr48
	s_and_saveexec_b32 s2, s22
	s_cbranch_execz .LBB109_69
	s_branch .LBB109_68
.LBB109_199:
                                        ; implicit-def: $vgpr2
                                        ; implicit-def: $vgpr3
                                        ; implicit-def: $vgpr4
                                        ; implicit-def: $vgpr5
                                        ; implicit-def: $vgpr13
                                        ; implicit-def: $vgpr14
                                        ; implicit-def: $vgpr15
                                        ; implicit-def: $vgpr16
                                        ; implicit-def: $vgpr17
                                        ; implicit-def: $vgpr18
                                        ; implicit-def: $vgpr19
                                        ; implicit-def: $vgpr20
                                        ; implicit-def: $vgpr21
                                        ; implicit-def: $vgpr22
                                        ; implicit-def: $vgpr23
                                        ; implicit-def: $vgpr24
                                        ; implicit-def: $vgpr25
                                        ; implicit-def: $vgpr26
                                        ; implicit-def: $vgpr30
                                        ; implicit-def: $vgpr51
                                        ; implicit-def: $vgpr50
                                        ; implicit-def: $vgpr1
	s_cbranch_execz .LBB109_219
; %bb.200:
	v_mov_b32_e32 v1, s44
	s_cmp_eq_u64 s[30:31], 0
	s_cbranch_scc1 .LBB109_202
; %bb.201:
	v_mov_b32_e32 v1, 0
	global_load_u16 v1, v1, s[30:31]
.LBB109_202:
	v_cmp_gt_u32_e32 vcc_lo, 0x10000, v35
	v_cmp_gt_u32_e64 s2, 0x10000, v36
	v_cmp_gt_u32_e64 s3, 0x10000, v27
	;; [unrolled: 1-line block ×4, first 2 shown]
	v_cndmask_b32_e32 v2, v35, v12, vcc_lo
	v_cmp_gt_u32_e64 s6, 0x10000, v38
	v_cmp_gt_u32_e64 s7, 0x10000, v39
	;; [unrolled: 1-line block ×4, first 2 shown]
	v_max_i16 v2, v2, v36
	v_cmp_gt_u32_e64 s10, 0x10000, v42
	v_cmp_gt_u32_e64 s11, 0x10000, v43
	;; [unrolled: 1-line block ×4, first 2 shown]
	v_cndmask_b32_e64 v2, v36, v2, s2
	v_cmp_gt_u32_e64 s14, 0x10000, v46
	v_cmp_gt_u32_e64 s15, 0x10000, v47
	v_cmp_gt_u32_e64 s16, 0x10000, v29
	v_or3_b32 v3, v11, v29, v47
	v_max_i16 v2, v2, v27
	v_cmp_gt_u32_e64 s18, 0x10000, v31
	v_cmp_gt_u32_e64 s19, 0x10000, v32
	;; [unrolled: 1-line block ×3, first 2 shown]
	v_or3_b32 v3, v3, v46, v45
	v_cndmask_b32_e64 v2, v27, v2, s3
	v_cmp_gt_u32_e64 s17, 0x10000, v49
	v_cmp_gt_u32_e64 s21, 0x10000, v8
	v_add_lshl_u32 v5, v10, v0, 2
	v_or3_b32 v3, v3, v44, v43
	v_max_i16 v2, v2, v37
	s_mov_b32 s25, exec_lo
	s_delay_alu instid0(VALU_DEP_2) | instskip(NEXT) | instid1(VALU_DEP_2)
	v_or3_b32 v3, v3, v42, v41
	v_cndmask_b32_e64 v2, v37, v2, s4
	s_delay_alu instid0(VALU_DEP_2) | instskip(NEXT) | instid1(VALU_DEP_2)
	v_or3_b32 v3, v3, v40, v39
	v_max_i16 v2, v2, v28
	s_delay_alu instid0(VALU_DEP_2) | instskip(NEXT) | instid1(VALU_DEP_2)
	v_or3_b32 v3, v3, v38, v28
	v_cndmask_b32_e64 v2, v28, v2, s5
	s_delay_alu instid0(VALU_DEP_2) | instskip(NEXT) | instid1(VALU_DEP_2)
	v_or3_b32 v3, v3, v37, v27
	v_max_i16 v2, v2, v38
	s_delay_alu instid0(VALU_DEP_2) | instskip(NEXT) | instid1(VALU_DEP_2)
	v_or3_b32 v3, v3, v36, v35
	v_cndmask_b32_e64 v2, v38, v2, s6
	s_delay_alu instid0(VALU_DEP_2) | instskip(NEXT) | instid1(VALU_DEP_2)
	v_and_b32_e32 v4, 0x10000, v3
	v_max_i16 v2, v2, v39
	s_delay_alu instid0(VALU_DEP_1) | instskip(NEXT) | instid1(VALU_DEP_1)
	v_cndmask_b32_e64 v2, v39, v2, s7
	v_max_i16 v2, v2, v40
	s_delay_alu instid0(VALU_DEP_1) | instskip(NEXT) | instid1(VALU_DEP_1)
	v_cndmask_b32_e64 v2, v40, v2, s8
	;; [unrolled: 3-line block ×14, first 2 shown]
	v_max_i16 v2, v2, v8
	s_delay_alu instid0(VALU_DEP_1) | instskip(SKIP_1) | instid1(VALU_DEP_1)
	v_cndmask_b32_e64 v3, v8, v2, s21
	v_cmp_ne_u32_e64 s21, 0, v4
	v_cndmask_b32_e64 v2, v9, 1, s21
	ds_store_b16 v5, v3
	ds_store_b8 v5, v2 offset:2
	s_waitcnt vmcnt(0) lgkmcnt(0)
	s_barrier
	buffer_gl0_inv
	v_cmpx_gt_u32_e32 32, v0
	s_cbranch_execz .LBB109_214
; %bb.203:
	v_lshrrev_b32_e32 v4, 2, v0
	s_mov_b32 s24, exec_lo
	s_delay_alu instid0(VALU_DEP_1) | instskip(NEXT) | instid1(VALU_DEP_1)
	v_and_b32_e32 v4, 12, v4
	v_lshl_or_b32 v4, v0, 3, v4
	ds_load_b32 v6, v4
	ds_load_u16 v5, v4 offset:4
	ds_load_u8 v8, v4 offset:6
	s_waitcnt lgkmcnt(2)
	v_and_b32_e32 v7, 0x10000, v6
	s_waitcnt lgkmcnt(1)
	v_max_i16 v9, v6, v5
	s_waitcnt lgkmcnt(0)
	v_and_b32_e32 v11, 1, v8
	v_cmp_eq_u16_e64 s21, 0, v8
	v_and_b32_e32 v8, 0xff000000, v6
	s_delay_alu instid0(VALU_DEP_3) | instskip(NEXT) | instid1(VALU_DEP_3)
	v_cmp_eq_u32_e64 s22, 1, v11
	v_cndmask_b32_e64 v10, v5, v9, s21
	v_mbcnt_lo_u32_b32 v9, -1, 0
	s_delay_alu instid0(VALU_DEP_3) | instskip(NEXT) | instid1(VALU_DEP_3)
	v_cndmask_b32_e64 v11, v7, 0x10000, s22
	v_and_b32_e32 v12, 0xffff, v10
	s_delay_alu instid0(VALU_DEP_2) | instskip(NEXT) | instid1(VALU_DEP_2)
	v_or_b32_e32 v14, v11, v8
	v_or3_b32 v15, v8, v12, v11
	v_and_b32_e32 v12, 15, v9
	s_delay_alu instid0(VALU_DEP_3) | instskip(NEXT) | instid1(VALU_DEP_3)
	v_lshrrev_b32_e32 v11, 16, v14
	v_mov_b32_dpp v13, v15 row_shr:1 row_mask:0xf bank_mask:0xf
	s_delay_alu instid0(VALU_DEP_3)
	v_cmpx_ne_u32_e32 0, v12
	s_cbranch_execz .LBB109_205
; %bb.204:
	s_delay_alu instid0(VALU_DEP_2) | instskip(SKIP_3) | instid1(VALU_DEP_4)
	v_lshrrev_b32_e32 v11, 16, v13
	v_lshrrev_b32_e32 v15, 16, v14
	v_and_b32_e32 v14, 0x10000, v14
	v_max_i16 v13, v13, v10
	v_and_b32_e32 v11, 1, v11
	s_delay_alu instid0(VALU_DEP_4) | instskip(NEXT) | instid1(VALU_DEP_4)
	v_and_b32_e32 v15, 0xff, v15
	v_cmp_ne_u32_e64 s23, 0, v14
	s_delay_alu instid0(VALU_DEP_1) | instskip(NEXT) | instid1(VALU_DEP_3)
	v_cndmask_b32_e64 v11, v11, 1, s23
	v_cmp_eq_u16_e64 s23, 0, v15
	s_delay_alu instid0(VALU_DEP_1) | instskip(NEXT) | instid1(VALU_DEP_3)
	v_cndmask_b32_e64 v10, v10, v13, s23
	v_lshlrev_b32_e32 v13, 16, v11
	s_delay_alu instid0(VALU_DEP_2) | instskip(NEXT) | instid1(VALU_DEP_1)
	v_and_b32_e32 v14, 0xffff, v10
	v_or3_b32 v15, v13, v14, v8
.LBB109_205:
	s_or_b32 exec_lo, exec_lo, s24
	s_delay_alu instid0(VALU_DEP_1)
	v_lshrrev_b32_e32 v14, 16, v15
	v_mov_b32_dpp v16, v15 row_shr:2 row_mask:0xf bank_mask:0xf
	v_mov_b32_e32 v13, v15
	s_mov_b32 s24, exec_lo
	v_cmpx_lt_u32_e32 1, v12
	s_cbranch_execz .LBB109_207
; %bb.206:
	v_and_b32_e32 v11, 0xff, v14
	v_lshrrev_b32_e32 v10, 16, v16
	v_max_i16 v13, v16, v15
	s_delay_alu instid0(VALU_DEP_3) | instskip(NEXT) | instid1(VALU_DEP_3)
	v_cmp_eq_u16_e64 s23, 0, v11
	v_and_b32_e32 v16, 1, v10
	s_delay_alu instid0(VALU_DEP_2) | instskip(NEXT) | instid1(VALU_DEP_1)
	v_cndmask_b32_e64 v10, v15, v13, s23
	v_dual_mov_b32 v13, v10 :: v_dual_and_b32 v14, 0x10000, v15
	s_delay_alu instid0(VALU_DEP_1) | instskip(SKIP_1) | instid1(VALU_DEP_2)
	v_cmp_ne_u32_e64 s23, 0, v14
	v_and_b32_e32 v14, 0xffff, v10
	v_cndmask_b32_e64 v11, v16, 1, s23
	s_delay_alu instid0(VALU_DEP_1) | instskip(NEXT) | instid1(VALU_DEP_1)
	v_lshlrev_b32_e32 v15, 16, v11
	v_or3_b32 v15, v15, v14, v8
	v_mov_b32_e32 v14, v11
.LBB109_207:
	s_or_b32 exec_lo, exec_lo, s24
	s_delay_alu instid0(VALU_DEP_2)
	v_mov_b32_dpp v16, v15 row_shr:4 row_mask:0xf bank_mask:0xf
	s_mov_b32 s24, exec_lo
	v_cmpx_lt_u32_e32 3, v12
	s_cbranch_execz .LBB109_209
; %bb.208:
	v_and_b32_e32 v11, 0xff, v14
	v_lshrrev_b32_e32 v10, 16, v16
	v_max_i16 v15, v16, v13
	s_delay_alu instid0(VALU_DEP_3) | instskip(NEXT) | instid1(VALU_DEP_3)
	v_cmp_eq_u16_e64 s23, 0, v11
	v_and_b32_e32 v16, 1, v10
	s_delay_alu instid0(VALU_DEP_2) | instskip(NEXT) | instid1(VALU_DEP_1)
	v_cndmask_b32_e64 v10, v13, v15, s23
	v_dual_mov_b32 v13, v10 :: v_dual_and_b32 v14, 1, v14
	s_delay_alu instid0(VALU_DEP_1) | instskip(SKIP_1) | instid1(VALU_DEP_2)
	v_cmp_eq_u32_e64 s23, 1, v14
	v_and_b32_e32 v14, 0xffff, v10
	v_cndmask_b32_e64 v11, v16, 1, s23
	s_delay_alu instid0(VALU_DEP_1) | instskip(NEXT) | instid1(VALU_DEP_1)
	v_lshlrev_b32_e32 v15, 16, v11
	v_or3_b32 v15, v15, v14, v8
	v_mov_b32_e32 v14, v11
.LBB109_209:
	s_or_b32 exec_lo, exec_lo, s24
	s_delay_alu instid0(VALU_DEP_2)
	v_mov_b32_dpp v16, v15 row_shr:8 row_mask:0xf bank_mask:0xf
	s_mov_b32 s24, exec_lo
	v_cmpx_lt_u32_e32 7, v12
	s_cbranch_execz .LBB109_211
; %bb.210:
	v_and_b32_e32 v11, 0xff, v14
	v_lshrrev_b32_e32 v10, 16, v16
	v_max_i16 v12, v16, v13
	s_delay_alu instid0(VALU_DEP_3) | instskip(NEXT) | instid1(VALU_DEP_3)
	v_cmp_eq_u16_e64 s23, 0, v11
	v_and_b32_e32 v15, 1, v10
	s_delay_alu instid0(VALU_DEP_2) | instskip(NEXT) | instid1(VALU_DEP_1)
	v_cndmask_b32_e64 v10, v13, v12, s23
	v_dual_mov_b32 v13, v10 :: v_dual_and_b32 v14, 1, v14
	s_delay_alu instid0(VALU_DEP_1) | instskip(SKIP_1) | instid1(VALU_DEP_2)
	v_cmp_eq_u32_e64 s23, 1, v14
	v_and_b32_e32 v12, 0xffff, v10
	v_cndmask_b32_e64 v11, v15, 1, s23
	s_delay_alu instid0(VALU_DEP_1) | instskip(NEXT) | instid1(VALU_DEP_1)
	v_lshlrev_b32_e32 v14, 16, v11
	v_or3_b32 v15, v14, v12, v8
	v_mov_b32_e32 v14, v11
.LBB109_211:
	s_or_b32 exec_lo, exec_lo, s24
	ds_swizzle_b32 v12, v15 offset:swizzle(BROADCAST,32,15)
	v_and_b32_e32 v15, 16, v9
	s_mov_b32 s24, exec_lo
	s_delay_alu instid0(VALU_DEP_1)
	v_cmpx_ne_u32_e32 0, v15
	s_cbranch_execz .LBB109_213
; %bb.212:
	s_waitcnt lgkmcnt(0)
	v_lshrrev_b32_e32 v10, 16, v12
	v_and_b32_e32 v11, 1, v14
	v_and_b32_e32 v14, 0xff, v14
	v_max_i16 v12, v12, v13
	s_delay_alu instid0(VALU_DEP_4) | instskip(NEXT) | instid1(VALU_DEP_4)
	v_and_b32_e32 v10, 1, v10
	v_cmp_eq_u32_e64 s23, 1, v11
	s_delay_alu instid0(VALU_DEP_1) | instskip(SKIP_1) | instid1(VALU_DEP_1)
	v_cndmask_b32_e64 v11, v10, 1, s23
	v_cmp_eq_u16_e64 s23, 0, v14
	v_cndmask_b32_e64 v10, v13, v12, s23
.LBB109_213:
	s_or_b32 exec_lo, exec_lo, s24
	s_waitcnt lgkmcnt(0)
	v_add_nc_u32_e32 v12, -1, v9
	v_and_b32_e32 v11, 0xff, v11
	v_and_b32_e32 v10, 0xffff, v10
	v_cmp_eq_u32_e64 s24, 0, v7
	s_delay_alu instid0(VALU_DEP_4) | instskip(NEXT) | instid1(VALU_DEP_4)
	v_cmp_gt_i32_e64 s23, 0, v12
	v_lshlrev_b32_e32 v11, 16, v11
	s_delay_alu instid0(VALU_DEP_2) | instskip(NEXT) | instid1(VALU_DEP_2)
	v_cndmask_b32_e64 v9, v12, v9, s23
	v_or3_b32 v8, v11, v10, v8
	s_delay_alu instid0(VALU_DEP_2) | instskip(SKIP_2) | instid1(VALU_DEP_1)
	v_lshlrev_b32_e32 v9, 2, v9
	ds_bpermute_b32 v8, v9, v8
	v_and_b32_e32 v9, 0xff0000, v6
	v_cmp_eq_u32_e64 s23, 0, v9
	s_waitcnt lgkmcnt(0)
	v_max_i16 v10, v8, v6
	v_lshrrev_b32_e32 v8, 16, v8
	s_delay_alu instid0(VALU_DEP_2) | instskip(SKIP_1) | instid1(VALU_DEP_3)
	v_cndmask_b32_e64 v6, v6, v10, s23
	v_cmp_eq_u32_e64 s23, 0, v0
	v_and_b32_e32 v8, 1, v8
	s_delay_alu instid0(VALU_DEP_2) | instskip(NEXT) | instid1(VALU_DEP_2)
	v_cndmask_b32_e64 v3, v6, v3, s23
	v_cndmask_b32_e64 v6, 1, v8, s24
	s_delay_alu instid0(VALU_DEP_2) | instskip(NEXT) | instid1(VALU_DEP_2)
	v_max_i16 v7, v3, v5
	v_cndmask_b32_e64 v2, v6, v2, s23
	s_delay_alu instid0(VALU_DEP_2) | instskip(NEXT) | instid1(VALU_DEP_2)
	v_cndmask_b32_e64 v5, v5, v7, s21
	v_cndmask_b32_e64 v6, v2, 1, s22
	ds_store_b16 v4, v3
	ds_store_b8 v4, v2 offset:2
	ds_store_b16 v4, v5 offset:4
	ds_store_b8 v4, v6 offset:6
.LBB109_214:
	s_or_b32 exec_lo, exec_lo, s25
	v_cmp_eq_u32_e64 s21, 0, v0
	v_mov_b32_e32 v2, v1
	s_mov_b32 s23, exec_lo
	s_waitcnt lgkmcnt(0)
	s_barrier
	buffer_gl0_inv
	v_cmpx_ne_u32_e32 0, v0
	s_cbranch_execz .LBB109_216
; %bb.215:
	v_add_nc_u32_e32 v2, -1, v0
	s_delay_alu instid0(VALU_DEP_1) | instskip(NEXT) | instid1(VALU_DEP_1)
	v_lshrrev_b32_e32 v3, 5, v2
	v_add_lshl_u32 v2, v3, v2, 2
	ds_load_u16 v3, v2
	ds_load_u8 v2, v2 offset:2
	s_waitcnt lgkmcnt(1)
	v_max_i16 v4, v1, v3
	s_waitcnt lgkmcnt(0)
	v_cmp_eq_u16_e64 s22, 0, v2
	s_delay_alu instid0(VALU_DEP_1)
	v_cndmask_b32_e64 v2, v3, v4, s22
.LBB109_216:
	s_or_b32 exec_lo, exec_lo, s23
	v_and_b32_e32 v3, 0xff0000, v34
	s_delay_alu instid0(VALU_DEP_2) | instskip(NEXT) | instid1(VALU_DEP_2)
	v_max_i16 v4, v2, v34
	v_cmp_eq_u32_e64 s22, 0, v3
	s_delay_alu instid0(VALU_DEP_1) | instskip(NEXT) | instid1(VALU_DEP_1)
	v_cndmask_b32_e64 v3, v34, v4, s22
	v_max_i16 v4, v3, v35
	s_delay_alu instid0(VALU_DEP_1) | instskip(NEXT) | instid1(VALU_DEP_1)
	v_cndmask_b32_e32 v4, v35, v4, vcc_lo
	v_max_i16 v5, v4, v36
	s_delay_alu instid0(VALU_DEP_1) | instskip(NEXT) | instid1(VALU_DEP_1)
	v_cndmask_b32_e64 v5, v36, v5, s2
	v_max_i16 v6, v5, v27
	s_delay_alu instid0(VALU_DEP_1) | instskip(NEXT) | instid1(VALU_DEP_1)
	v_cndmask_b32_e64 v13, v27, v6, s3
	;; [unrolled: 3-line block ×18, first 2 shown]
	v_max_i16 v6, v50, v49
	s_and_saveexec_b32 s2, s21
	s_cbranch_execz .LBB109_218
; %bb.217:
	v_mov_b32_e32 v9, 0
	ds_load_u16 v7, v9 offset:256
	ds_load_u8 v8, v9 offset:258
	s_waitcnt lgkmcnt(1)
	v_max_i16 v1, v1, v7
	s_waitcnt lgkmcnt(0)
	v_cmp_eq_u32_e32 vcc_lo, 0, v8
	s_delay_alu instid0(VALU_DEP_2) | instskip(SKIP_1) | instid1(VALU_DEP_2)
	v_cndmask_b32_e32 v1, v7, v1, vcc_lo
	v_dual_mov_b32 v8, 2 :: v_dual_lshlrev_b32 v7, 16, v8
	v_and_b32_e32 v1, 0xffff, v1
	s_delay_alu instid0(VALU_DEP_1)
	v_or_b32_e32 v7, v7, v1
	global_store_b64 v9, v[7:8], s[36:37] offset:256
.LBB109_218:
	s_or_b32 exec_lo, exec_lo, s2
	s_delay_alu instid0(VALU_DEP_1)
	v_cndmask_b32_e64 v1, v49, v6, s17
.LBB109_219:
	s_load_b64 s[0:1], s[0:1], 0x18
	v_mul_u32_u24_e32 v27, 22, v0
	v_perm_b32 v6, v5, v4, 0x5040100
	v_perm_b32 v7, v3, v2, 0x5040100
	;; [unrolled: 1-line block ×10, first 2 shown]
	v_lshlrev_b32_e32 v5, 1, v27
	v_perm_b32 v16, v1, v50, 0x5040100
	s_waitcnt lgkmcnt(0)
	s_add_u32 s0, s0, s28
	s_addc_u32 s1, s1, s29
	s_and_b32 vcc_lo, exec_lo, s39
	s_cbranch_vccz .LBB109_263
; %bb.220:
	v_mad_i32_i24 v1, 0xffffffd6, v0, v5
	s_waitcnt_vscnt null, 0x0
	s_barrier
	buffer_gl0_inv
	ds_store_2addr_b32 v5, v7, v6 offset1:1
	ds_store_2addr_b32 v5, v9, v8 offset0:2 offset1:3
	ds_store_2addr_b32 v5, v11, v10 offset0:4 offset1:5
	;; [unrolled: 1-line block ×4, first 2 shown]
	ds_store_b32 v5, v16 offset:40
	s_waitcnt lgkmcnt(0)
	s_barrier
	buffer_gl0_inv
	ds_load_u16 v37, v1 offset:128
	ds_load_u16 v36, v1 offset:256
	;; [unrolled: 1-line block ×21, first 2 shown]
	v_add_co_u32 v2, s2, s0, v33
	v_mov_b32_e32 v1, 0
	v_add_co_ci_u32_e64 v3, null, s1, 0, s2
	s_add_i32 s33, s33, s38
	s_mov_b32 s2, exec_lo
	v_cmpx_gt_u32_e64 s33, v0
	s_cbranch_execz .LBB109_222
; %bb.221:
	v_mul_i32_i24_e32 v38, 0xffffffd6, v0
	s_delay_alu instid0(VALU_DEP_1)
	v_add_nc_u32_e32 v38, v5, v38
	ds_load_i16 v38, v38
	s_waitcnt lgkmcnt(0)
	v_cvt_f32_i32_e32 v38, v38
	global_store_b32 v[2:3], v38, off
.LBB109_222:
	s_or_b32 exec_lo, exec_lo, s2
	v_or_b32_e32 v38, 64, v0
	s_mov_b32 s2, exec_lo
	s_delay_alu instid0(VALU_DEP_1)
	v_cmpx_gt_u32_e64 s33, v38
	s_cbranch_execz .LBB109_224
; %bb.223:
	s_waitcnt lgkmcnt(20)
	v_bfe_i32 v37, v37, 0, 16
	s_delay_alu instid0(VALU_DEP_1)
	v_cvt_f32_i32_e32 v37, v37
	global_store_b32 v[2:3], v37, off offset:256
.LBB109_224:
	s_or_b32 exec_lo, exec_lo, s2
	s_waitcnt lgkmcnt(20)
	v_or_b32_e32 v37, 0x80, v0
	s_mov_b32 s2, exec_lo
	s_delay_alu instid0(VALU_DEP_1)
	v_cmpx_gt_u32_e64 s33, v37
	s_cbranch_execz .LBB109_226
; %bb.225:
	s_waitcnt lgkmcnt(19)
	v_bfe_i32 v36, v36, 0, 16
	s_delay_alu instid0(VALU_DEP_1)
	v_cvt_f32_i32_e32 v36, v36
	global_store_b32 v[2:3], v36, off offset:512
.LBB109_226:
	s_or_b32 exec_lo, exec_lo, s2
	s_waitcnt lgkmcnt(19)
	;; [unrolled: 14-line block ×15, first 2 shown]
	v_or_b32_e32 v22, 0x400, v0
	s_mov_b32 s2, exec_lo
	s_delay_alu instid0(VALU_DEP_1)
	v_cmpx_gt_u32_e64 s33, v22
	s_cbranch_execz .LBB109_254
; %bb.253:
	s_waitcnt lgkmcnt(5)
	v_bfe_i32 v21, v21, 0, 16
	s_delay_alu instid0(VALU_DEP_1)
	v_cvt_f32_i32_e32 v23, v21
	v_add_co_u32 v21, vcc_lo, 0x1000, v2
	v_add_co_ci_u32_e32 v22, vcc_lo, 0, v3, vcc_lo
	global_store_b32 v[21:22], v23, off
.LBB109_254:
	s_or_b32 exec_lo, exec_lo, s2
	s_waitcnt lgkmcnt(5)
	v_or_b32_e32 v21, 0x440, v0
	s_mov_b32 s2, exec_lo
	s_delay_alu instid0(VALU_DEP_1)
	v_cmpx_gt_u32_e64 s33, v21
	s_cbranch_execz .LBB109_256
; %bb.255:
	s_waitcnt lgkmcnt(4)
	v_bfe_i32 v20, v20, 0, 16
	s_delay_alu instid0(VALU_DEP_1)
	v_cvt_f32_i32_e32 v22, v20
	v_add_co_u32 v20, vcc_lo, 0x1000, v2
	v_add_co_ci_u32_e32 v21, vcc_lo, 0, v3, vcc_lo
	global_store_b32 v[20:21], v22, off offset:256
.LBB109_256:
	s_or_b32 exec_lo, exec_lo, s2
	s_waitcnt lgkmcnt(4)
	v_or_b32_e32 v20, 0x480, v0
	s_mov_b32 s2, exec_lo
	s_delay_alu instid0(VALU_DEP_1)
	v_cmpx_gt_u32_e64 s33, v20
	s_cbranch_execz .LBB109_258
; %bb.257:
	s_waitcnt lgkmcnt(3)
	v_bfe_i32 v19, v19, 0, 16
	s_delay_alu instid0(VALU_DEP_1)
	v_cvt_f32_i32_e32 v21, v19
	v_add_co_u32 v19, vcc_lo, 0x1000, v2
	v_add_co_ci_u32_e32 v20, vcc_lo, 0, v3, vcc_lo
	global_store_b32 v[19:20], v21, off offset:512
.LBB109_258:
	;; [unrolled: 16-line block ×3, first 2 shown]
	s_or_b32 exec_lo, exec_lo, s2
	s_waitcnt lgkmcnt(2)
	v_or_b32_e32 v18, 0x500, v0
	s_mov_b32 s2, exec_lo
	s_delay_alu instid0(VALU_DEP_1)
	v_cmpx_gt_u32_e64 s33, v18
	s_cbranch_execz .LBB109_262
; %bb.261:
	s_waitcnt lgkmcnt(1)
	v_bfe_i32 v17, v17, 0, 16
	v_add_co_u32 v2, vcc_lo, 0x1000, v2
	v_add_co_ci_u32_e32 v3, vcc_lo, 0, v3, vcc_lo
	s_delay_alu instid0(VALU_DEP_3)
	v_cvt_f32_i32_e32 v17, v17
	global_store_b32 v[2:3], v17, off offset:1024
.LBB109_262:
	s_or_b32 exec_lo, exec_lo, s2
	v_or_b32_e32 v2, 0x540, v0
	s_delay_alu instid0(VALU_DEP_1)
	v_cmp_gt_u32_e64 s2, s33, v2
	s_branch .LBB109_265
.LBB109_263:
	s_mov_b32 s2, 0
                                        ; implicit-def: $vgpr4
	s_cbranch_execz .LBB109_265
; %bb.264:
	v_mad_i32_i24 v2, 0xffffffd6, v0, v5
	s_waitcnt lgkmcnt(0)
	s_waitcnt_vscnt null, 0x0
	s_barrier
	buffer_gl0_inv
	ds_store_2addr_b32 v5, v7, v6 offset1:1
	ds_store_2addr_b32 v5, v9, v8 offset0:2 offset1:3
	ds_store_2addr_b32 v5, v11, v10 offset0:4 offset1:5
	;; [unrolled: 1-line block ×4, first 2 shown]
	ds_store_b32 v5, v16 offset:40
	s_waitcnt lgkmcnt(0)
	s_barrier
	buffer_gl0_inv
	ds_load_i16 v3, v2
	ds_load_i16 v5, v2 offset:128
	ds_load_i16 v6, v2 offset:256
	;; [unrolled: 1-line block ×20, first 2 shown]
	ds_load_u16 v4, v2 offset:2688
	s_waitcnt lgkmcnt(20)
	v_cvt_f32_i32_e32 v2, v5
	s_waitcnt lgkmcnt(19)
	v_cvt_f32_i32_e32 v5, v6
	s_clause 0x1
	global_store_b32 v33, v2, s[0:1] offset:256
	global_store_b32 v33, v5, s[0:1] offset:512
	s_waitcnt lgkmcnt(18)
	v_cvt_f32_i32_e32 v2, v7
	v_cvt_f32_i32_e32 v26, v3
	s_waitcnt lgkmcnt(17)
	v_cvt_f32_i32_e32 v3, v8
	s_waitcnt lgkmcnt(16)
	;; [unrolled: 2-line block ×4, first 2 shown]
	v_cvt_f32_i32_e32 v8, v11
	v_add_co_u32 v6, s3, s0, v33
	s_waitcnt lgkmcnt(13)
	v_cvt_f32_i32_e32 v9, v12
	s_waitcnt lgkmcnt(12)
	v_cvt_f32_i32_e32 v10, v13
	;; [unrolled: 2-line block ×3, first 2 shown]
	s_clause 0x7
	global_store_b32 v33, v2, s[0:1] offset:768
	global_store_b32 v33, v3, s[0:1] offset:1024
	;; [unrolled: 1-line block ×8, first 2 shown]
	s_waitcnt lgkmcnt(10)
	v_cvt_f32_i32_e32 v2, v15
	s_waitcnt lgkmcnt(9)
	v_cvt_f32_i32_e32 v3, v16
	v_add_co_ci_u32_e64 v25, null, s1, 0, s3
	s_waitcnt lgkmcnt(8)
	v_cvt_f32_i32_e32 v5, v17
	s_waitcnt lgkmcnt(7)
	v_cvt_f32_i32_e32 v7, v18
	;; [unrolled: 2-line block ×3, first 2 shown]
	s_clause 0x4
	global_store_b32 v33, v2, s[0:1] offset:2816
	global_store_b32 v33, v3, s[0:1] offset:3072
	;; [unrolled: 1-line block ×5, first 2 shown]
	v_add_co_u32 v2, vcc_lo, 0x1000, v6
	v_mov_b32_e32 v1, 0
	s_waitcnt lgkmcnt(5)
	v_cvt_f32_i32_e32 v5, v20
	v_add_co_ci_u32_e32 v3, vcc_lo, 0, v25, vcc_lo
	s_waitcnt lgkmcnt(4)
	v_cvt_f32_i32_e32 v6, v21
	s_waitcnt lgkmcnt(1)
	v_cvt_f32_i32_e32 v9, v24
	v_cvt_f32_i32_e32 v7, v22
	;; [unrolled: 1-line block ×3, first 2 shown]
	s_or_b32 s2, s2, exec_lo
	s_clause 0x5
	global_store_b32 v[2:3], v5, off
	global_store_b32 v[2:3], v6, off offset:256
	global_store_b32 v[2:3], v7, off offset:512
	global_store_b32 v[2:3], v8, off offset:768
	global_store_b32 v33, v26, s[0:1]
	global_store_b32 v[2:3], v9, off offset:1024
.LBB109_265:
	s_delay_alu instid0(VALU_DEP_1)
	s_and_saveexec_b32 s3, s2
	s_cbranch_execz .LBB109_267
; %bb.266:
	v_lshlrev_b64 v[0:1], 2, v[0:1]
	s_waitcnt lgkmcnt(0)
	v_bfe_i32 v2, v4, 0, 16
	s_delay_alu instid0(VALU_DEP_1) | instskip(NEXT) | instid1(VALU_DEP_3)
	v_cvt_f32_i32_e32 v2, v2
	v_add_co_u32 v0, vcc_lo, s0, v0
	s_delay_alu instid0(VALU_DEP_4) | instskip(NEXT) | instid1(VALU_DEP_2)
	v_add_co_ci_u32_e32 v1, vcc_lo, s1, v1, vcc_lo
	v_add_co_u32 v0, vcc_lo, 0x1000, v0
	s_delay_alu instid0(VALU_DEP_2)
	v_add_co_ci_u32_e32 v1, vcc_lo, 0, v1, vcc_lo
	global_store_b32 v[0:1], v2, off offset:1280
	s_nop 0
	s_sendmsg sendmsg(MSG_DEALLOC_VGPRS)
	s_endpgm
.LBB109_267:
	s_nop 0
	s_sendmsg sendmsg(MSG_DEALLOC_VGPRS)
	s_endpgm
	.section	.rodata,"a",@progbits
	.p2align	6, 0x0
	.amdhsa_kernel _ZN7rocprim6detail25device_scan_by_key_kernelILNS0_25lookback_scan_determinismE0ELb1ENS0_26wrapped_scan_by_key_configINS_14default_configEisEEPiN6hipcub22TransformInputIteratorIsNS7_6CastOpIsEEPslEEPfsNS7_8EqualityENS7_3MaxENS0_19lookback_scan_stateINS_5tupleIJsbEEELb0ELb1EEEsEEvT2_T3_T4_T5_T6_T7_T8_mmmPKNSH_IJT9_bEEE
		.amdhsa_group_segment_fixed_size 6144
		.amdhsa_private_segment_fixed_size 0
		.amdhsa_kernarg_size 80
		.amdhsa_user_sgpr_count 15
		.amdhsa_user_sgpr_dispatch_ptr 0
		.amdhsa_user_sgpr_queue_ptr 0
		.amdhsa_user_sgpr_kernarg_segment_ptr 1
		.amdhsa_user_sgpr_dispatch_id 0
		.amdhsa_user_sgpr_private_segment_size 0
		.amdhsa_wavefront_size32 1
		.amdhsa_uses_dynamic_stack 0
		.amdhsa_enable_private_segment 0
		.amdhsa_system_sgpr_workgroup_id_x 1
		.amdhsa_system_sgpr_workgroup_id_y 0
		.amdhsa_system_sgpr_workgroup_id_z 0
		.amdhsa_system_sgpr_workgroup_info 0
		.amdhsa_system_vgpr_workitem_id 0
		.amdhsa_next_free_vgpr 53
		.amdhsa_next_free_sgpr 45
		.amdhsa_reserve_vcc 1
		.amdhsa_float_round_mode_32 0
		.amdhsa_float_round_mode_16_64 0
		.amdhsa_float_denorm_mode_32 3
		.amdhsa_float_denorm_mode_16_64 3
		.amdhsa_dx10_clamp 1
		.amdhsa_ieee_mode 1
		.amdhsa_fp16_overflow 0
		.amdhsa_workgroup_processor_mode 1
		.amdhsa_memory_ordered 1
		.amdhsa_forward_progress 0
		.amdhsa_shared_vgpr_count 0
		.amdhsa_exception_fp_ieee_invalid_op 0
		.amdhsa_exception_fp_denorm_src 0
		.amdhsa_exception_fp_ieee_div_zero 0
		.amdhsa_exception_fp_ieee_overflow 0
		.amdhsa_exception_fp_ieee_underflow 0
		.amdhsa_exception_fp_ieee_inexact 0
		.amdhsa_exception_int_div_zero 0
	.end_amdhsa_kernel
	.section	.text._ZN7rocprim6detail25device_scan_by_key_kernelILNS0_25lookback_scan_determinismE0ELb1ENS0_26wrapped_scan_by_key_configINS_14default_configEisEEPiN6hipcub22TransformInputIteratorIsNS7_6CastOpIsEEPslEEPfsNS7_8EqualityENS7_3MaxENS0_19lookback_scan_stateINS_5tupleIJsbEEELb0ELb1EEEsEEvT2_T3_T4_T5_T6_T7_T8_mmmPKNSH_IJT9_bEEE,"axG",@progbits,_ZN7rocprim6detail25device_scan_by_key_kernelILNS0_25lookback_scan_determinismE0ELb1ENS0_26wrapped_scan_by_key_configINS_14default_configEisEEPiN6hipcub22TransformInputIteratorIsNS7_6CastOpIsEEPslEEPfsNS7_8EqualityENS7_3MaxENS0_19lookback_scan_stateINS_5tupleIJsbEEELb0ELb1EEEsEEvT2_T3_T4_T5_T6_T7_T8_mmmPKNSH_IJT9_bEEE,comdat
.Lfunc_end109:
	.size	_ZN7rocprim6detail25device_scan_by_key_kernelILNS0_25lookback_scan_determinismE0ELb1ENS0_26wrapped_scan_by_key_configINS_14default_configEisEEPiN6hipcub22TransformInputIteratorIsNS7_6CastOpIsEEPslEEPfsNS7_8EqualityENS7_3MaxENS0_19lookback_scan_stateINS_5tupleIJsbEEELb0ELb1EEEsEEvT2_T3_T4_T5_T6_T7_T8_mmmPKNSH_IJT9_bEEE, .Lfunc_end109-_ZN7rocprim6detail25device_scan_by_key_kernelILNS0_25lookback_scan_determinismE0ELb1ENS0_26wrapped_scan_by_key_configINS_14default_configEisEEPiN6hipcub22TransformInputIteratorIsNS7_6CastOpIsEEPslEEPfsNS7_8EqualityENS7_3MaxENS0_19lookback_scan_stateINS_5tupleIJsbEEELb0ELb1EEEsEEvT2_T3_T4_T5_T6_T7_T8_mmmPKNSH_IJT9_bEEE
                                        ; -- End function
	.section	.AMDGPU.csdata,"",@progbits
; Kernel info:
; codeLenInByte = 16848
; NumSgprs: 47
; NumVgprs: 53
; ScratchSize: 0
; MemoryBound: 0
; FloatMode: 240
; IeeeMode: 1
; LDSByteSize: 6144 bytes/workgroup (compile time only)
; SGPRBlocks: 5
; VGPRBlocks: 6
; NumSGPRsForWavesPerEU: 47
; NumVGPRsForWavesPerEU: 53
; Occupancy: 11
; WaveLimiterHint : 1
; COMPUTE_PGM_RSRC2:SCRATCH_EN: 0
; COMPUTE_PGM_RSRC2:USER_SGPR: 15
; COMPUTE_PGM_RSRC2:TRAP_HANDLER: 0
; COMPUTE_PGM_RSRC2:TGID_X_EN: 1
; COMPUTE_PGM_RSRC2:TGID_Y_EN: 0
; COMPUTE_PGM_RSRC2:TGID_Z_EN: 0
; COMPUTE_PGM_RSRC2:TIDIG_COMP_CNT: 0
	.section	.text._ZN7rocprim6detail25device_scan_by_key_kernelILNS0_25lookback_scan_determinismE0ELb1ENS0_26wrapped_scan_by_key_configINS_14default_configEimEEPiN6hipcub22TransformInputIteratorImNS7_6CastOpImEEPmlEESB_mNS7_8EqualityENS7_3SumENS0_19lookback_scan_stateINS_5tupleIJmbEEELb1ELb0EEEmEEvT2_T3_T4_T5_T6_T7_T8_mmmPKNSG_IJT9_bEEE,"axG",@progbits,_ZN7rocprim6detail25device_scan_by_key_kernelILNS0_25lookback_scan_determinismE0ELb1ENS0_26wrapped_scan_by_key_configINS_14default_configEimEEPiN6hipcub22TransformInputIteratorImNS7_6CastOpImEEPmlEESB_mNS7_8EqualityENS7_3SumENS0_19lookback_scan_stateINS_5tupleIJmbEEELb1ELb0EEEmEEvT2_T3_T4_T5_T6_T7_T8_mmmPKNSG_IJT9_bEEE,comdat
	.protected	_ZN7rocprim6detail25device_scan_by_key_kernelILNS0_25lookback_scan_determinismE0ELb1ENS0_26wrapped_scan_by_key_configINS_14default_configEimEEPiN6hipcub22TransformInputIteratorImNS7_6CastOpImEEPmlEESB_mNS7_8EqualityENS7_3SumENS0_19lookback_scan_stateINS_5tupleIJmbEEELb1ELb0EEEmEEvT2_T3_T4_T5_T6_T7_T8_mmmPKNSG_IJT9_bEEE ; -- Begin function _ZN7rocprim6detail25device_scan_by_key_kernelILNS0_25lookback_scan_determinismE0ELb1ENS0_26wrapped_scan_by_key_configINS_14default_configEimEEPiN6hipcub22TransformInputIteratorImNS7_6CastOpImEEPmlEESB_mNS7_8EqualityENS7_3SumENS0_19lookback_scan_stateINS_5tupleIJmbEEELb1ELb0EEEmEEvT2_T3_T4_T5_T6_T7_T8_mmmPKNSG_IJT9_bEEE
	.globl	_ZN7rocprim6detail25device_scan_by_key_kernelILNS0_25lookback_scan_determinismE0ELb1ENS0_26wrapped_scan_by_key_configINS_14default_configEimEEPiN6hipcub22TransformInputIteratorImNS7_6CastOpImEEPmlEESB_mNS7_8EqualityENS7_3SumENS0_19lookback_scan_stateINS_5tupleIJmbEEELb1ELb0EEEmEEvT2_T3_T4_T5_T6_T7_T8_mmmPKNSG_IJT9_bEEE
	.p2align	8
	.type	_ZN7rocprim6detail25device_scan_by_key_kernelILNS0_25lookback_scan_determinismE0ELb1ENS0_26wrapped_scan_by_key_configINS_14default_configEimEEPiN6hipcub22TransformInputIteratorImNS7_6CastOpImEEPmlEESB_mNS7_8EqualityENS7_3SumENS0_19lookback_scan_stateINS_5tupleIJmbEEELb1ELb0EEEmEEvT2_T3_T4_T5_T6_T7_T8_mmmPKNSG_IJT9_bEEE,@function
_ZN7rocprim6detail25device_scan_by_key_kernelILNS0_25lookback_scan_determinismE0ELb1ENS0_26wrapped_scan_by_key_configINS_14default_configEimEEPiN6hipcub22TransformInputIteratorImNS7_6CastOpImEEPmlEESB_mNS7_8EqualityENS7_3SumENS0_19lookback_scan_stateINS_5tupleIJmbEEELb1ELb0EEEmEEvT2_T3_T4_T5_T6_T7_T8_mmmPKNSG_IJT9_bEEE: ; @_ZN7rocprim6detail25device_scan_by_key_kernelILNS0_25lookback_scan_determinismE0ELb1ENS0_26wrapped_scan_by_key_configINS_14default_configEimEEPiN6hipcub22TransformInputIteratorImNS7_6CastOpImEEPmlEESB_mNS7_8EqualityENS7_3SumENS0_19lookback_scan_stateINS_5tupleIJmbEEELb1ELb0EEEmEEvT2_T3_T4_T5_T6_T7_T8_mmmPKNSG_IJT9_bEEE
; %bb.0:
	s_endpgm
	.section	.rodata,"a",@progbits
	.p2align	6, 0x0
	.amdhsa_kernel _ZN7rocprim6detail25device_scan_by_key_kernelILNS0_25lookback_scan_determinismE0ELb1ENS0_26wrapped_scan_by_key_configINS_14default_configEimEEPiN6hipcub22TransformInputIteratorImNS7_6CastOpImEEPmlEESB_mNS7_8EqualityENS7_3SumENS0_19lookback_scan_stateINS_5tupleIJmbEEELb1ELb0EEEmEEvT2_T3_T4_T5_T6_T7_T8_mmmPKNSG_IJT9_bEEE
		.amdhsa_group_segment_fixed_size 0
		.amdhsa_private_segment_fixed_size 0
		.amdhsa_kernarg_size 104
		.amdhsa_user_sgpr_count 15
		.amdhsa_user_sgpr_dispatch_ptr 0
		.amdhsa_user_sgpr_queue_ptr 0
		.amdhsa_user_sgpr_kernarg_segment_ptr 1
		.amdhsa_user_sgpr_dispatch_id 0
		.amdhsa_user_sgpr_private_segment_size 0
		.amdhsa_wavefront_size32 1
		.amdhsa_uses_dynamic_stack 0
		.amdhsa_enable_private_segment 0
		.amdhsa_system_sgpr_workgroup_id_x 1
		.amdhsa_system_sgpr_workgroup_id_y 0
		.amdhsa_system_sgpr_workgroup_id_z 0
		.amdhsa_system_sgpr_workgroup_info 0
		.amdhsa_system_vgpr_workitem_id 0
		.amdhsa_next_free_vgpr 1
		.amdhsa_next_free_sgpr 1
		.amdhsa_reserve_vcc 0
		.amdhsa_float_round_mode_32 0
		.amdhsa_float_round_mode_16_64 0
		.amdhsa_float_denorm_mode_32 3
		.amdhsa_float_denorm_mode_16_64 3
		.amdhsa_dx10_clamp 1
		.amdhsa_ieee_mode 1
		.amdhsa_fp16_overflow 0
		.amdhsa_workgroup_processor_mode 1
		.amdhsa_memory_ordered 1
		.amdhsa_forward_progress 0
		.amdhsa_shared_vgpr_count 0
		.amdhsa_exception_fp_ieee_invalid_op 0
		.amdhsa_exception_fp_denorm_src 0
		.amdhsa_exception_fp_ieee_div_zero 0
		.amdhsa_exception_fp_ieee_overflow 0
		.amdhsa_exception_fp_ieee_underflow 0
		.amdhsa_exception_fp_ieee_inexact 0
		.amdhsa_exception_int_div_zero 0
	.end_amdhsa_kernel
	.section	.text._ZN7rocprim6detail25device_scan_by_key_kernelILNS0_25lookback_scan_determinismE0ELb1ENS0_26wrapped_scan_by_key_configINS_14default_configEimEEPiN6hipcub22TransformInputIteratorImNS7_6CastOpImEEPmlEESB_mNS7_8EqualityENS7_3SumENS0_19lookback_scan_stateINS_5tupleIJmbEEELb1ELb0EEEmEEvT2_T3_T4_T5_T6_T7_T8_mmmPKNSG_IJT9_bEEE,"axG",@progbits,_ZN7rocprim6detail25device_scan_by_key_kernelILNS0_25lookback_scan_determinismE0ELb1ENS0_26wrapped_scan_by_key_configINS_14default_configEimEEPiN6hipcub22TransformInputIteratorImNS7_6CastOpImEEPmlEESB_mNS7_8EqualityENS7_3SumENS0_19lookback_scan_stateINS_5tupleIJmbEEELb1ELb0EEEmEEvT2_T3_T4_T5_T6_T7_T8_mmmPKNSG_IJT9_bEEE,comdat
.Lfunc_end110:
	.size	_ZN7rocprim6detail25device_scan_by_key_kernelILNS0_25lookback_scan_determinismE0ELb1ENS0_26wrapped_scan_by_key_configINS_14default_configEimEEPiN6hipcub22TransformInputIteratorImNS7_6CastOpImEEPmlEESB_mNS7_8EqualityENS7_3SumENS0_19lookback_scan_stateINS_5tupleIJmbEEELb1ELb0EEEmEEvT2_T3_T4_T5_T6_T7_T8_mmmPKNSG_IJT9_bEEE, .Lfunc_end110-_ZN7rocprim6detail25device_scan_by_key_kernelILNS0_25lookback_scan_determinismE0ELb1ENS0_26wrapped_scan_by_key_configINS_14default_configEimEEPiN6hipcub22TransformInputIteratorImNS7_6CastOpImEEPmlEESB_mNS7_8EqualityENS7_3SumENS0_19lookback_scan_stateINS_5tupleIJmbEEELb1ELb0EEEmEEvT2_T3_T4_T5_T6_T7_T8_mmmPKNSG_IJT9_bEEE
                                        ; -- End function
	.section	.AMDGPU.csdata,"",@progbits
; Kernel info:
; codeLenInByte = 4
; NumSgprs: 0
; NumVgprs: 0
; ScratchSize: 0
; MemoryBound: 0
; FloatMode: 240
; IeeeMode: 1
; LDSByteSize: 0 bytes/workgroup (compile time only)
; SGPRBlocks: 0
; VGPRBlocks: 0
; NumSGPRsForWavesPerEU: 1
; NumVGPRsForWavesPerEU: 1
; Occupancy: 16
; WaveLimiterHint : 0
; COMPUTE_PGM_RSRC2:SCRATCH_EN: 0
; COMPUTE_PGM_RSRC2:USER_SGPR: 15
; COMPUTE_PGM_RSRC2:TRAP_HANDLER: 0
; COMPUTE_PGM_RSRC2:TGID_X_EN: 1
; COMPUTE_PGM_RSRC2:TGID_Y_EN: 0
; COMPUTE_PGM_RSRC2:TGID_Z_EN: 0
; COMPUTE_PGM_RSRC2:TIDIG_COMP_CNT: 0
	.section	.text._ZN7rocprim6detail25device_scan_by_key_kernelILNS0_25lookback_scan_determinismE0ELb1ENS0_26wrapped_scan_by_key_configINS_14default_configEimEEPiN6hipcub22TransformInputIteratorImNS7_6CastOpImEEPmlEESB_mNS7_8EqualityENS7_3SumENS0_19lookback_scan_stateINS_5tupleIJmbEEELb0ELb0EEEmEEvT2_T3_T4_T5_T6_T7_T8_mmmPKNSG_IJT9_bEEE,"axG",@progbits,_ZN7rocprim6detail25device_scan_by_key_kernelILNS0_25lookback_scan_determinismE0ELb1ENS0_26wrapped_scan_by_key_configINS_14default_configEimEEPiN6hipcub22TransformInputIteratorImNS7_6CastOpImEEPmlEESB_mNS7_8EqualityENS7_3SumENS0_19lookback_scan_stateINS_5tupleIJmbEEELb0ELb0EEEmEEvT2_T3_T4_T5_T6_T7_T8_mmmPKNSG_IJT9_bEEE,comdat
	.protected	_ZN7rocprim6detail25device_scan_by_key_kernelILNS0_25lookback_scan_determinismE0ELb1ENS0_26wrapped_scan_by_key_configINS_14default_configEimEEPiN6hipcub22TransformInputIteratorImNS7_6CastOpImEEPmlEESB_mNS7_8EqualityENS7_3SumENS0_19lookback_scan_stateINS_5tupleIJmbEEELb0ELb0EEEmEEvT2_T3_T4_T5_T6_T7_T8_mmmPKNSG_IJT9_bEEE ; -- Begin function _ZN7rocprim6detail25device_scan_by_key_kernelILNS0_25lookback_scan_determinismE0ELb1ENS0_26wrapped_scan_by_key_configINS_14default_configEimEEPiN6hipcub22TransformInputIteratorImNS7_6CastOpImEEPmlEESB_mNS7_8EqualityENS7_3SumENS0_19lookback_scan_stateINS_5tupleIJmbEEELb0ELb0EEEmEEvT2_T3_T4_T5_T6_T7_T8_mmmPKNSG_IJT9_bEEE
	.globl	_ZN7rocprim6detail25device_scan_by_key_kernelILNS0_25lookback_scan_determinismE0ELb1ENS0_26wrapped_scan_by_key_configINS_14default_configEimEEPiN6hipcub22TransformInputIteratorImNS7_6CastOpImEEPmlEESB_mNS7_8EqualityENS7_3SumENS0_19lookback_scan_stateINS_5tupleIJmbEEELb0ELb0EEEmEEvT2_T3_T4_T5_T6_T7_T8_mmmPKNSG_IJT9_bEEE
	.p2align	8
	.type	_ZN7rocprim6detail25device_scan_by_key_kernelILNS0_25lookback_scan_determinismE0ELb1ENS0_26wrapped_scan_by_key_configINS_14default_configEimEEPiN6hipcub22TransformInputIteratorImNS7_6CastOpImEEPmlEESB_mNS7_8EqualityENS7_3SumENS0_19lookback_scan_stateINS_5tupleIJmbEEELb0ELb0EEEmEEvT2_T3_T4_T5_T6_T7_T8_mmmPKNSG_IJT9_bEEE,@function
_ZN7rocprim6detail25device_scan_by_key_kernelILNS0_25lookback_scan_determinismE0ELb1ENS0_26wrapped_scan_by_key_configINS_14default_configEimEEPiN6hipcub22TransformInputIteratorImNS7_6CastOpImEEPmlEESB_mNS7_8EqualityENS7_3SumENS0_19lookback_scan_stateINS_5tupleIJmbEEELb0ELb0EEEmEEvT2_T3_T4_T5_T6_T7_T8_mmmPKNSG_IJT9_bEEE: ; @_ZN7rocprim6detail25device_scan_by_key_kernelILNS0_25lookback_scan_determinismE0ELb1ENS0_26wrapped_scan_by_key_configINS_14default_configEimEEPiN6hipcub22TransformInputIteratorImNS7_6CastOpImEEPmlEESB_mNS7_8EqualityENS7_3SumENS0_19lookback_scan_stateINS_5tupleIJmbEEELb0ELb0EEEmEEvT2_T3_T4_T5_T6_T7_T8_mmmPKNSG_IJT9_bEEE
; %bb.0:
	s_clause 0x1
	s_load_b128 s[8:11], s[0:1], 0x0
	s_load_b128 s[36:39], s[0:1], 0x50
	s_mov_b32 s5, 0
	s_lshl_b32 s4, s15, 11
	s_load_b64 s[28:29], s[0:1], 0x60
	s_lshl_b64 s[2:3], s[4:5], 2
	s_clause 0x1
	s_load_b128 s[24:27], s[0:1], 0x18
	s_load_b256 s[16:23], s[0:1], 0x30
	v_lshlrev_b32_e32 v27, 2, v0
	s_waitcnt lgkmcnt(0)
	s_add_u32 s30, s8, s2
	s_addc_u32 s31, s9, s3
	s_lshl_b64 s[12:13], s[4:5], 3
	s_delay_alu instid0(SALU_CYCLE_1)
	s_add_u32 s8, s10, s12
	s_addc_u32 s9, s11, s13
	s_add_u32 s0, s15, s36
	s_addc_u32 s1, 0, s37
	s_add_u32 s10, s38, -1
	s_addc_u32 s11, s39, -1
	s_delay_alu instid0(SALU_CYCLE_1) | instskip(NEXT) | instid1(VALU_DEP_1)
	v_cmp_ge_u64_e64 s11, s[0:1], s[10:11]
	s_and_b32 vcc_lo, exec_lo, s11
	s_cbranch_vccz .LBB111_45
; %bb.1:
	s_load_b32 s7, s[30:31], 0x0
	s_lshl_b32 s0, s10, 11
	s_delay_alu instid0(SALU_CYCLE_1) | instskip(SKIP_1) | instid1(VALU_DEP_1)
	s_sub_i32 s14, s22, s0
	v_add_co_u32 v1, s0, s30, v27
	v_add_co_ci_u32_e64 v2, null, s31, 0, s0
	v_cmp_gt_u32_e32 vcc_lo, s14, v0
	s_waitcnt lgkmcnt(0)
	v_mov_b32_e32 v3, s7
	s_and_saveexec_b32 s0, vcc_lo
	s_cbranch_execz .LBB111_3
; %bb.2:
	global_load_b32 v3, v[1:2], off
.LBB111_3:
	s_or_b32 exec_lo, exec_lo, s0
	v_or_b32_e32 v7, 0x100, v0
	v_mov_b32_e32 v4, s7
	s_delay_alu instid0(VALU_DEP_2) | instskip(NEXT) | instid1(VALU_DEP_1)
	v_cmp_gt_u32_e64 s0, s14, v7
	s_and_saveexec_b32 s1, s0
	s_cbranch_execz .LBB111_5
; %bb.4:
	global_load_b32 v4, v[1:2], off offset:1024
.LBB111_5:
	s_or_b32 exec_lo, exec_lo, s1
	v_or_b32_e32 v9, 0x200, v0
	v_mov_b32_e32 v5, s7
	s_delay_alu instid0(VALU_DEP_2) | instskip(NEXT) | instid1(VALU_DEP_1)
	v_cmp_gt_u32_e64 s3, s14, v9
	s_and_saveexec_b32 s1, s3
	s_cbranch_execz .LBB111_7
; %bb.6:
	global_load_b32 v5, v[1:2], off offset:2048
.LBB111_7:
	;; [unrolled: 10-line block ×3, first 2 shown]
	s_or_b32 exec_lo, exec_lo, s1
	v_or_b32_e32 v12, 0x400, v0
	v_mov_b32_e32 v8, s7
	s_delay_alu instid0(VALU_DEP_2) | instskip(NEXT) | instid1(VALU_DEP_1)
	v_cmp_gt_u32_e64 s1, s14, v12
	s_and_saveexec_b32 s5, s1
	s_cbranch_execz .LBB111_11
; %bb.10:
	v_add_co_u32 v13, s4, 0x1000, v1
	s_delay_alu instid0(VALU_DEP_1)
	v_add_co_ci_u32_e64 v14, s4, 0, v2, s4
	global_load_b32 v8, v[13:14], off
.LBB111_11:
	s_or_b32 exec_lo, exec_lo, s5
	v_or_b32_e32 v14, 0x500, v0
	v_mov_b32_e32 v10, s7
	s_delay_alu instid0(VALU_DEP_2) | instskip(NEXT) | instid1(VALU_DEP_1)
	v_cmp_gt_u32_e64 s4, s14, v14
	s_and_saveexec_b32 s6, s4
	s_cbranch_execz .LBB111_13
; %bb.12:
	v_add_co_u32 v15, s5, 0x1000, v1
	s_delay_alu instid0(VALU_DEP_1)
	v_add_co_ci_u32_e64 v16, s5, 0, v2, s5
	global_load_b32 v10, v[15:16], off offset:1024
.LBB111_13:
	s_or_b32 exec_lo, exec_lo, s6
	v_or_b32_e32 v15, 0x600, v0
	v_mov_b32_e32 v13, s7
	s_delay_alu instid0(VALU_DEP_2) | instskip(NEXT) | instid1(VALU_DEP_1)
	v_cmp_gt_u32_e64 s5, s14, v15
	s_and_saveexec_b32 s23, s5
	s_cbranch_execz .LBB111_15
; %bb.14:
	v_add_co_u32 v16, s6, 0x1000, v1
	s_delay_alu instid0(VALU_DEP_1)
	v_add_co_ci_u32_e64 v17, s6, 0, v2, s6
	global_load_b32 v13, v[16:17], off offset:2048
.LBB111_15:
	s_or_b32 exec_lo, exec_lo, s23
	v_or_b32_e32 v17, 0x700, v0
	v_mov_b32_e32 v16, s7
	s_delay_alu instid0(VALU_DEP_2) | instskip(NEXT) | instid1(VALU_DEP_1)
	v_cmp_gt_u32_e64 s6, s14, v17
	s_and_saveexec_b32 s23, s6
	s_cbranch_execz .LBB111_17
; %bb.16:
	v_add_co_u32 v1, s7, 0x1000, v1
	s_delay_alu instid0(VALU_DEP_1)
	v_add_co_ci_u32_e64 v2, s7, 0, v2, s7
	global_load_b32 v16, v[1:2], off offset:3072
.LBB111_17:
	s_or_b32 exec_lo, exec_lo, s23
	v_lshrrev_b32_e32 v1, 5, v0
	v_lshrrev_b32_e32 v2, 5, v7
	;; [unrolled: 1-line block ×4, first 2 shown]
	v_lshlrev_b32_e32 v31, 3, v0
	v_add_nc_u32_e32 v34, v1, v0
	v_add_nc_u32_e32 v33, v2, v0
	;; [unrolled: 1-line block ×4, first 2 shown]
	v_lshrrev_b32_e32 v9, 5, v12
	v_lshlrev_b32_e32 v1, 2, v34
	v_lshlrev_b32_e32 v2, 2, v33
	;; [unrolled: 1-line block ×4, first 2 shown]
	v_add_nc_u32_e32 v38, v9, v0
	s_waitcnt vmcnt(0)
	ds_store_b32 v1, v3
	ds_store_b32 v2, v4 offset:1024
	ds_store_b32 v7, v5 offset:2048
	v_lshrrev_b32_e32 v1, 5, v14
	v_lshrrev_b32_e32 v2, 5, v15
	;; [unrolled: 1-line block ×3, first 2 shown]
	ds_store_b32 v11, v6 offset:3072
	v_add_nc_u32_e32 v37, v1, v0
	v_add_nc_u32_e32 v36, v2, v0
	;; [unrolled: 1-line block ×3, first 2 shown]
	v_lshrrev_b32_e32 v1, 2, v0
	v_lshlrev_b32_e32 v2, 2, v38
	v_lshlrev_b32_e32 v3, 2, v37
	;; [unrolled: 1-line block ×4, first 2 shown]
	v_add_nc_u32_e32 v1, v1, v31
	ds_store_b32 v2, v8 offset:4096
	ds_store_b32 v3, v10 offset:5120
	;; [unrolled: 1-line block ×4, first 2 shown]
	s_waitcnt lgkmcnt(0)
	s_barrier
	buffer_gl0_inv
	s_load_b32 s23, s[30:31], 0x0
	v_lshlrev_b32_e32 v32, 2, v1
	ds_load_2addr_b32 v[11:12], v32 offset1:1
	ds_load_2addr_b32 v[9:10], v32 offset0:2 offset1:3
	ds_load_2addr_b32 v[7:8], v32 offset0:4 offset1:5
	;; [unrolled: 1-line block ×3, first 2 shown]
	s_waitcnt lgkmcnt(0)
	v_mov_b32_e32 v28, s23
	s_mov_b32 s23, exec_lo
	ds_store_b32 v27, v11 offset:9472
	s_waitcnt lgkmcnt(0)
	s_barrier
	buffer_gl0_inv
	v_cmpx_ne_u32_e32 0xff, v0
	s_cbranch_execz .LBB111_19
; %bb.18:
	ds_load_b32 v28, v27 offset:9476
.LBB111_19:
	s_or_b32 exec_lo, exec_lo, s23
	v_add_co_u32 v3, s7, s8, v31
	s_delay_alu instid0(VALU_DEP_1)
	v_add_co_ci_u32_e64 v4, null, s9, 0, s7
	s_waitcnt lgkmcnt(0)
	s_barrier
	buffer_gl0_inv
                                        ; implicit-def: $vgpr1_vgpr2
	s_and_saveexec_b32 s7, vcc_lo
	s_cbranch_execnz .LBB111_162
; %bb.20:
	s_or_b32 exec_lo, exec_lo, s7
                                        ; implicit-def: $vgpr13_vgpr14
	s_and_saveexec_b32 s7, s0
	s_cbranch_execnz .LBB111_163
.LBB111_21:
	s_or_b32 exec_lo, exec_lo, s7
                                        ; implicit-def: $vgpr15_vgpr16
	s_and_saveexec_b32 s0, s3
	s_cbranch_execnz .LBB111_164
.LBB111_22:
	s_or_b32 exec_lo, exec_lo, s0
                                        ; implicit-def: $vgpr17_vgpr18
	s_and_saveexec_b32 s0, s2
	s_cbranch_execnz .LBB111_165
.LBB111_23:
	s_or_b32 exec_lo, exec_lo, s0
                                        ; implicit-def: $vgpr19_vgpr20
	s_and_saveexec_b32 s0, s1
	s_cbranch_execnz .LBB111_166
.LBB111_24:
	s_or_b32 exec_lo, exec_lo, s0
                                        ; implicit-def: $vgpr21_vgpr22
	s_and_saveexec_b32 s0, s4
	s_cbranch_execnz .LBB111_167
.LBB111_25:
	s_or_b32 exec_lo, exec_lo, s0
                                        ; implicit-def: $vgpr23_vgpr24
	s_and_saveexec_b32 s0, s5
	s_cbranch_execnz .LBB111_168
.LBB111_26:
	s_or_b32 exec_lo, exec_lo, s0
                                        ; implicit-def: $vgpr25_vgpr26
	s_and_saveexec_b32 s0, s6
	s_cbranch_execz .LBB111_28
.LBB111_27:
	v_add_co_u32 v3, vcc_lo, 0x3000, v3
	v_add_co_ci_u32_e32 v4, vcc_lo, 0, v4, vcc_lo
	global_load_b64 v[25:26], v[3:4], off offset:2048
.LBB111_28:
	s_or_b32 exec_lo, exec_lo, s0
	v_lshlrev_b32_e32 v3, 3, v34
	v_lshlrev_b32_e32 v4, 3, v33
	v_dual_mov_b32 v39, 0 :: v_dual_lshlrev_b32 v30, 3, v30
	s_mov_b32 s5, 0
	s_waitcnt vmcnt(0)
	ds_store_b64 v3, v[1:2]
	ds_store_b64 v4, v[13:14] offset:2048
	ds_store_b64 v30, v[15:16] offset:4096
	v_mov_b32_e32 v13, 0
	v_dual_mov_b32 v14, 0 :: v_dual_lshlrev_b32 v29, 3, v29
	v_dual_mov_b32 v30, 0 :: v_dual_lshlrev_b32 v1, 3, v38
	v_lshlrev_b32_e32 v4, 3, v35
	v_lshlrev_b32_e32 v2, 3, v37
	s_delay_alu instid0(VALU_DEP_4)
	v_dual_mov_b32 v16, v14 :: v_dual_lshlrev_b32 v3, 3, v36
	ds_store_b64 v29, v[17:18] offset:6144
	v_mov_b32_e32 v15, v13
	ds_store_b64 v1, v[19:20] offset:8192
	ds_store_b64 v2, v[21:22] offset:10240
	;; [unrolled: 1-line block ×4, first 2 shown]
	v_dual_mov_b32 v26, v14 :: v_dual_mov_b32 v51, 0
	v_dual_mov_b32 v24, v14 :: v_dual_mov_b32 v49, 0
	;; [unrolled: 1-line block ×3, first 2 shown]
	v_mov_b32_e32 v25, v13
	v_dual_mov_b32 v23, v13 :: v_dual_mov_b32 v50, 0
	v_dual_mov_b32 v22, v14 :: v_dual_mov_b32 v21, v13
	;; [unrolled: 1-line block ×4, first 2 shown]
	s_mov_b32 s1, 0
	s_mov_b64 s[2:3], 0
	s_mov_b32 s4, exec_lo
	s_waitcnt lgkmcnt(0)
	s_barrier
	buffer_gl0_inv
                                        ; implicit-def: $sgpr0
                                        ; implicit-def: $vgpr1_vgpr2
	v_cmpx_gt_u32_e64 s14, v31
	s_cbranch_execz .LBB111_44
; %bb.29:
	v_dual_mov_b32 v29, 0 :: v_dual_add_nc_u32 v32, v32, v32
	v_dual_mov_b32 v15, 0 :: v_dual_mov_b32 v30, 0
	v_dual_mov_b32 v16, 0 :: v_dual_mov_b32 v51, 0
	ds_load_b64 v[1:2], v32
	v_cmp_ne_u32_e32 vcc_lo, v11, v12
	v_or_b32_e32 v3, 1, v31
	v_mov_b32_e32 v26, v16
	v_mov_b32_e32 v24, v16
	;; [unrolled: 1-line block ×4, first 2 shown]
	v_dual_mov_b32 v18, v16 :: v_dual_mov_b32 v17, v15
	v_cndmask_b32_e64 v39, 0, 1, vcc_lo
	v_dual_mov_b32 v50, 0 :: v_dual_mov_b32 v49, 0
	v_dual_mov_b32 v48, 0 :: v_dual_mov_b32 v25, v15
	v_mov_b32_e32 v23, v15
	v_mov_b32_e32 v21, v15
	v_mov_b32_e32 v19, v15
	s_mov_b32 s6, 0
	s_mov_b32 s7, 0
	s_mov_b32 s5, exec_lo
	s_waitcnt lgkmcnt(0)
	v_cndmask_b32_e64 v14, v2, s27, vcc_lo
	v_cndmask_b32_e64 v13, v1, s26, vcc_lo
                                        ; implicit-def: $sgpr23
                                        ; implicit-def: $vgpr1_vgpr2
	v_cmpx_gt_u32_e64 s14, v3
	s_cbranch_execz .LBB111_43
; %bb.30:
	ds_load_2addr_b64 v[1:4], v32 offset0:1 offset1:2
	v_dual_mov_b32 v15, 0 :: v_dual_mov_b32 v30, 0
	v_dual_mov_b32 v29, 0 :: v_dual_mov_b32 v16, 0
	v_cmp_ne_u32_e32 vcc_lo, v12, v9
	v_mov_b32_e32 v49, 0
	v_or_b32_e32 v11, 2, v31
	v_dual_mov_b32 v51, 0 :: v_dual_mov_b32 v50, 0
	v_dual_mov_b32 v26, v16 :: v_dual_mov_b32 v25, v15
	;; [unrolled: 1-line block ×4, first 2 shown]
	v_mov_b32_e32 v20, v16
	v_cndmask_b32_e64 v48, 0, 1, vcc_lo
	v_mov_b32_e32 v19, v15
	s_mov_b32 s23, 0
	s_waitcnt lgkmcnt(0)
	v_cndmask_b32_e64 v18, v2, s27, vcc_lo
	v_cndmask_b32_e64 v17, v1, s26, vcc_lo
	s_mov_b32 s6, exec_lo
                                        ; implicit-def: $sgpr33
                                        ; implicit-def: $vgpr1_vgpr2
	v_cmpx_gt_u32_e64 s14, v11
	s_cbranch_execz .LBB111_42
; %bb.31:
	v_dual_mov_b32 v15, 0 :: v_dual_mov_b32 v30, 0
	v_dual_mov_b32 v16, 0 :: v_dual_mov_b32 v29, 0
	v_cmp_ne_u32_e32 vcc_lo, v9, v10
	v_or_b32_e32 v1, 3, v31
	s_delay_alu instid0(VALU_DEP_3)
	v_dual_mov_b32 v51, 0 :: v_dual_mov_b32 v24, v16
	v_dual_mov_b32 v26, v16 :: v_dual_mov_b32 v25, v15
	v_cndmask_b32_e64 v49, 0, 1, vcc_lo
	v_cndmask_b32_e64 v20, v4, s27, vcc_lo
	;; [unrolled: 1-line block ×3, first 2 shown]
	v_cmp_gt_u32_e32 vcc_lo, s14, v1
	v_dual_mov_b32 v23, v15 :: v_dual_mov_b32 v50, 0
	v_dual_mov_b32 v22, v16 :: v_dual_mov_b32 v21, v15
	s_mov_b32 s33, 0
                                        ; implicit-def: $sgpr0
                                        ; implicit-def: $vgpr1_vgpr2
	s_and_saveexec_b32 s7, vcc_lo
	s_cbranch_execz .LBB111_41
; %bb.32:
	ds_load_2addr_b64 v[1:4], v32 offset0:3 offset1:4
	v_dual_mov_b32 v15, 0 :: v_dual_mov_b32 v30, 0
	v_dual_mov_b32 v16, 0 :: v_dual_mov_b32 v29, 0
	v_cmp_ne_u32_e32 vcc_lo, v10, v7
	v_mov_b32_e32 v51, 0
	v_or_b32_e32 v9, 4, v31
	s_delay_alu instid0(VALU_DEP_4)
	v_dual_mov_b32 v26, v16 :: v_dual_mov_b32 v25, v15
	v_mov_b32_e32 v24, v16
	v_cndmask_b32_e64 v50, 0, 1, vcc_lo
	v_mov_b32_e32 v23, v15
	s_mov_b32 s34, 0
	s_mov_b32 s23, exec_lo
                                        ; implicit-def: $sgpr35
	s_waitcnt lgkmcnt(0)
	v_cndmask_b32_e64 v22, v2, s27, vcc_lo
	v_cndmask_b32_e64 v21, v1, s26, vcc_lo
                                        ; implicit-def: $vgpr1_vgpr2
	v_cmpx_gt_u32_e64 s14, v9
	s_cbranch_execz .LBB111_40
; %bb.33:
	v_dual_mov_b32 v15, 0 :: v_dual_mov_b32 v30, 0
	v_cmp_ne_u32_e32 vcc_lo, v7, v8
	v_or_b32_e32 v1, 5, v31
	v_dual_mov_b32 v16, 0 :: v_dual_mov_b32 v29, 0
	s_mov_b32 s35, 0
	v_cndmask_b32_e64 v51, 0, 1, vcc_lo
	v_cndmask_b32_e64 v24, v4, s27, vcc_lo
	;; [unrolled: 1-line block ×3, first 2 shown]
	v_cmp_gt_u32_e32 vcc_lo, s14, v1
	v_dual_mov_b32 v26, v16 :: v_dual_mov_b32 v25, v15
                                        ; implicit-def: $sgpr0
                                        ; implicit-def: $vgpr1_vgpr2
	s_and_saveexec_b32 s33, vcc_lo
	s_cbranch_execz .LBB111_39
; %bb.34:
	ds_load_2addr_b64 v[1:4], v32 offset0:5 offset1:6
	v_cmp_ne_u32_e32 vcc_lo, v8, v5
	v_mov_b32_e32 v15, 0
	v_or_b32_e32 v7, 6, v31
	v_dual_mov_b32 v16, 0 :: v_dual_mov_b32 v29, 0
	v_cndmask_b32_e64 v30, 0, 1, vcc_lo
	s_mov_b32 s34, exec_lo
                                        ; implicit-def: $sgpr36
	s_waitcnt lgkmcnt(0)
	v_cndmask_b32_e64 v26, v2, s27, vcc_lo
	v_cndmask_b32_e64 v25, v1, s26, vcc_lo
                                        ; implicit-def: $vgpr1_vgpr2
	v_cmpx_gt_u32_e64 s14, v7
	s_cbranch_execz .LBB111_38
; %bb.35:
	v_cmp_ne_u32_e32 vcc_lo, v5, v6
	v_or_b32_e32 v1, 7, v31
	s_mov_b32 s0, 0
	v_cndmask_b32_e64 v29, 0, 1, vcc_lo
	v_cndmask_b32_e64 v16, v4, s27, vcc_lo
	;; [unrolled: 1-line block ×3, first 2 shown]
	v_cmp_gt_u32_e32 vcc_lo, s14, v1
                                        ; implicit-def: $sgpr14
                                        ; implicit-def: $vgpr1_vgpr2
	s_and_saveexec_b32 s35, vcc_lo
	s_delay_alu instid0(SALU_CYCLE_1)
	s_xor_b32 s35, exec_lo, s35
	s_cbranch_execz .LBB111_37
; %bb.36:
	ds_load_b64 v[1:2], v32 offset:56
	v_cmp_ne_u32_e32 vcc_lo, v6, v28
	s_mov_b32 s0, exec_lo
	s_and_b32 s14, vcc_lo, exec_lo
	s_waitcnt lgkmcnt(0)
	v_cndmask_b32_e64 v2, v2, s27, vcc_lo
	v_cndmask_b32_e64 v1, v1, s26, vcc_lo
.LBB111_37:
	s_or_b32 exec_lo, exec_lo, s35
	s_delay_alu instid0(SALU_CYCLE_1)
	s_and_b32 s36, s14, exec_lo
	s_and_b32 s35, s0, exec_lo
.LBB111_38:
	s_or_b32 exec_lo, exec_lo, s34
	s_delay_alu instid0(SALU_CYCLE_1)
	s_and_b32 s0, s36, exec_lo
	s_and_b32 s34, s35, exec_lo
.LBB111_39:
	s_or_b32 exec_lo, exec_lo, s33
	s_delay_alu instid0(SALU_CYCLE_1)
	s_and_b32 s35, s0, exec_lo
	s_and_b32 s33, s34, exec_lo
.LBB111_40:
	s_or_b32 exec_lo, exec_lo, s23
	s_delay_alu instid0(SALU_CYCLE_1)
	s_and_b32 s0, s35, exec_lo
	s_and_b32 s23, s33, exec_lo
.LBB111_41:
	s_or_b32 exec_lo, exec_lo, s7
	s_delay_alu instid0(SALU_CYCLE_1)
	s_and_b32 s33, s0, exec_lo
	s_and_b32 s7, s23, exec_lo
.LBB111_42:
	s_or_b32 exec_lo, exec_lo, s6
	s_delay_alu instid0(SALU_CYCLE_1)
	s_and_b32 s23, s33, exec_lo
	s_and_b32 s6, s7, exec_lo
.LBB111_43:
	s_or_b32 exec_lo, exec_lo, s5
	s_delay_alu instid0(SALU_CYCLE_1)
	s_and_b32 s0, s23, exec_lo
	s_and_b32 s5, s6, exec_lo
.LBB111_44:
	s_or_b32 exec_lo, exec_lo, s4
	s_mov_b32 s4, 0
	s_branch .LBB111_46
.LBB111_45:
	s_mov_b32 s1, -1
                                        ; implicit-def: $sgpr0
                                        ; implicit-def: $vgpr1_vgpr2
                                        ; implicit-def: $vgpr13_vgpr14
                                        ; implicit-def: $vgpr29
                                        ; implicit-def: $vgpr15_vgpr16
                                        ; implicit-def: $vgpr30
                                        ; implicit-def: $vgpr25_vgpr26
                                        ; implicit-def: $vgpr51
                                        ; implicit-def: $vgpr23_vgpr24
                                        ; implicit-def: $vgpr50
                                        ; implicit-def: $vgpr21_vgpr22
                                        ; implicit-def: $vgpr49
                                        ; implicit-def: $vgpr19_vgpr20
                                        ; implicit-def: $vgpr48
                                        ; implicit-def: $vgpr17_vgpr18
                                        ; implicit-def: $vgpr39
                                        ; implicit-def: $sgpr4
                                        ; implicit-def: $sgpr2_sgpr3
.LBB111_46:
	v_lshrrev_b32_e32 v45, 5, v0
	v_or_b32_e32 v47, 0x100, v0
	v_or_b32_e32 v46, 0x200, v0
	;; [unrolled: 1-line block ×7, first 2 shown]
	s_and_b32 vcc_lo, exec_lo, s1
	s_cbranch_vccz .LBB111_52
; %bb.47:
	v_add_co_u32 v1, s0, s30, v27
	s_delay_alu instid0(VALU_DEP_1) | instskip(SKIP_1) | instid1(VALU_DEP_3)
	v_add_co_ci_u32_e64 v2, null, s31, 0, s0
	v_lshrrev_b32_e32 v3, 5, v46
	v_add_co_u32 v1, vcc_lo, 0x1000, v1
	s_delay_alu instid0(VALU_DEP_3)
	v_add_co_ci_u32_e32 v2, vcc_lo, 0, v2, vcc_lo
	s_clause 0x7
	global_load_b32 v10, v27, s[30:31]
	global_load_b32 v11, v27, s[30:31] offset:1024
	global_load_b32 v12, v27, s[30:31] offset:2048
	;; [unrolled: 1-line block ×3, first 2 shown]
	global_load_b32 v14, v[1:2], off
	global_load_b32 v15, v[1:2], off offset:1024
	global_load_b32 v16, v[1:2], off offset:2048
	;; [unrolled: 1-line block ×3, first 2 shown]
	v_lshrrev_b32_e32 v2, 5, v47
	v_lshrrev_b32_e32 v4, 5, v44
	;; [unrolled: 1-line block ×3, first 2 shown]
	v_add_nc_u32_e32 v1, v45, v0
	v_lshrrev_b32_e32 v7, 5, v42
	v_lshrrev_b32_e32 v18, 5, v41
	;; [unrolled: 1-line block ×3, first 2 shown]
	v_add_nc_u32_e32 v9, v2, v0
	v_add_nc_u32_e32 v8, v3, v0
	v_lshrrev_b32_e32 v20, 2, v0
	v_add_nc_u32_e32 v6, v4, v0
	v_add_nc_u32_e32 v5, v5, v0
	v_lshlrev_b32_e32 v21, 2, v1
	v_add_nc_u32_e32 v4, v7, v0
	v_add_nc_u32_e32 v3, v18, v0
	;; [unrolled: 1-line block ×3, first 2 shown]
	v_lshlrev_b32_e32 v18, 2, v9
	v_lshlrev_b32_e32 v19, 2, v8
	v_lshl_add_u32 v7, v0, 3, v20
	v_lshlrev_b32_e32 v20, 2, v6
	v_lshlrev_b32_e32 v22, 2, v5
	;; [unrolled: 1-line block ×6, first 2 shown]
	s_waitcnt vmcnt(7)
	ds_store_b32 v21, v10
	s_waitcnt vmcnt(6)
	ds_store_b32 v18, v11 offset:1024
	s_waitcnt vmcnt(5)
	ds_store_b32 v19, v12 offset:2048
	;; [unrolled: 2-line block ×7, first 2 shown]
	s_waitcnt lgkmcnt(0)
	s_barrier
	buffer_gl0_inv
	s_load_b32 s0, s[30:31], 0x2000
	ds_load_2addr_b32 v[21:22], v7 offset1:1
	ds_load_2addr_b32 v[19:20], v7 offset0:2 offset1:3
	ds_load_2addr_b32 v[17:18], v7 offset0:4 offset1:5
	ds_load_2addr_b32 v[15:16], v7 offset0:6 offset1:7
	s_waitcnt lgkmcnt(0)
	ds_store_b32 v27, v21 offset:9472
	s_waitcnt lgkmcnt(0)
	v_mov_b32_e32 v25, s0
	s_mov_b32 s0, exec_lo
	s_barrier
	buffer_gl0_inv
	v_cmpx_ne_u32_e32 0xff, v0
	s_cbranch_execz .LBB111_49
; %bb.48:
	ds_load_b32 v25, v27 offset:9476
.LBB111_49:
	s_or_b32 exec_lo, exec_lo, s0
	v_lshlrev_b32_e32 v14, 3, v0
	s_waitcnt lgkmcnt(0)
	s_barrier
	buffer_gl0_inv
	v_lshlrev_b32_e32 v1, 3, v1
	v_add_co_u32 v26, s0, s8, v14
	s_delay_alu instid0(VALU_DEP_1) | instskip(SKIP_1) | instid1(VALU_DEP_3)
	v_add_co_ci_u32_e64 v27, null, s9, 0, s0
	v_lshlrev_b32_e32 v9, 3, v9
	v_add_co_u32 v10, vcc_lo, 0x1000, v26
	s_delay_alu instid0(VALU_DEP_3)
	v_add_co_ci_u32_e32 v11, vcc_lo, 0, v27, vcc_lo
	v_add_co_u32 v12, vcc_lo, v26, 0x2000
	v_add_co_ci_u32_e32 v13, vcc_lo, 0, v27, vcc_lo
	v_add_co_u32 v23, vcc_lo, 0x2000, v26
	;; [unrolled: 2-line block ×3, first 2 shown]
	v_add_co_ci_u32_e32 v27, vcc_lo, 0, v27, vcc_lo
	s_clause 0x7
	global_load_b64 v[28:29], v14, s[8:9]
	global_load_b64 v[30:31], v14, s[8:9] offset:2048
	global_load_b64 v[32:33], v[12:13], off offset:-4096
	global_load_b64 v[10:11], v[10:11], off offset:2048
	global_load_b64 v[12:13], v[12:13], off
	global_load_b64 v[34:35], v[23:24], off offset:2048
	global_load_b64 v[36:37], v[26:27], off
	global_load_b64 v[26:27], v[26:27], off offset:2048
	v_add_nc_u32_e32 v23, v7, v7
	v_lshlrev_b32_e32 v8, 3, v8
	v_lshlrev_b32_e32 v6, 3, v6
	;; [unrolled: 1-line block ×6, first 2 shown]
	v_cmp_ne_u32_e32 vcc_lo, v21, v22
	s_mov_b32 s1, exec_lo
	s_waitcnt vmcnt(7)
	ds_store_b64 v1, v[28:29]
	s_waitcnt vmcnt(6)
	ds_store_b64 v9, v[30:31] offset:2048
	s_waitcnt vmcnt(5)
	ds_store_b64 v8, v[32:33] offset:4096
	;; [unrolled: 2-line block ×7, first 2 shown]
	v_mov_b32_e32 v13, s26
	s_waitcnt lgkmcnt(0)
	s_barrier
	buffer_gl0_inv
	ds_load_2addr_b64 v[9:12], v23 offset0:1 offset1:2
	ds_load_2addr_b64 v[5:8], v23 offset0:3 offset1:4
	;; [unrolled: 1-line block ×3, first 2 shown]
	ds_load_b64 v[27:28], v23 offset:56
	v_mov_b32_e32 v14, s27
	v_cmpx_eq_u32_e64 v21, v22
	s_cbranch_execz .LBB111_51
; %bb.50:
	ds_load_b64 v[13:14], v23
.LBB111_51:
	s_or_b32 exec_lo, exec_lo, s1
	v_cmp_ne_u32_e64 s0, v19, v20
	v_cndmask_b32_e64 v39, 0, 1, vcc_lo
	v_cmp_ne_u32_e32 vcc_lo, v22, v19
	v_cmp_ne_u32_e64 s1, v20, v17
	v_cmp_ne_u32_e64 s2, v17, v18
	v_cndmask_b32_e64 v49, 0, 1, s0
	v_cmp_ne_u32_e64 s3, v18, v15
	v_cmp_ne_u32_e64 s4, v15, v16
	s_waitcnt lgkmcnt(3)
	v_cndmask_b32_e64 v20, v12, s27, s0
	v_cndmask_b32_e64 v19, v11, s26, s0
	v_cmp_ne_u32_e64 s0, v16, v25
	v_cndmask_b32_e64 v48, 0, 1, vcc_lo
	v_cndmask_b32_e64 v50, 0, 1, s1
	v_cndmask_b32_e64 v51, 0, 1, s2
	;; [unrolled: 1-line block ×4, first 2 shown]
	v_cndmask_b32_e64 v18, v10, s27, vcc_lo
	v_cndmask_b32_e64 v17, v9, s26, vcc_lo
	s_waitcnt lgkmcnt(2)
	v_cndmask_b32_e64 v22, v6, s27, s1
	v_cndmask_b32_e64 v21, v5, s26, s1
	;; [unrolled: 1-line block ×4, first 2 shown]
	s_waitcnt lgkmcnt(1)
	v_cndmask_b32_e64 v26, v2, s27, s3
	v_cndmask_b32_e64 v25, v1, s26, s3
	;; [unrolled: 1-line block ×4, first 2 shown]
	s_waitcnt lgkmcnt(0)
	v_cndmask_b32_e64 v2, v28, s27, s0
	v_cndmask_b32_e64 v1, v27, s26, s0
	s_mov_b32 s5, -1
                                        ; implicit-def: $sgpr4
                                        ; implicit-def: $sgpr2_sgpr3
.LBB111_52:
	v_dual_mov_b32 v28, s3 :: v_dual_mov_b32 v27, s2
	v_mov_b32_e32 v3, s4
	s_and_saveexec_b32 s1, s5
; %bb.53:
	v_cndmask_b32_e64 v3, 0, 1, s0
	v_dual_mov_b32 v28, v2 :: v_dual_mov_b32 v27, v1
; %bb.54:
	s_or_b32 exec_lo, exec_lo, s1
	s_delay_alu instid0(VALU_DEP_2)
	v_or_b32_e32 v1, v3, v29
	v_and_b32_e32 v60, 0xff, v48
	v_and_b32_e32 v59, 0xff, v49
	;; [unrolled: 1-line block ×7, first 2 shown]
	v_or_b32_e32 v55, v1, v30
	v_mbcnt_lo_u32_b32 v52, -1, 0
	s_cmp_lg_u32 s15, 0
	s_barrier
	buffer_gl0_inv
	s_cbranch_scc0 .LBB111_119
; %bb.55:
	v_cmp_eq_u16_e64 s4, 0, v60
	v_cmp_eq_u16_e64 s3, 0, v59
	v_cmp_eq_u16_e64 s2, 0, v58
	v_cmp_eq_u16_e64 s1, 0, v57
	v_cmp_eq_u16_e64 s0, 0, v56
	v_cndmask_b32_e64 v2, 0, v13, s4
	v_cndmask_b32_e64 v1, 0, v14, s4
	v_or_b32_e32 v3, v55, v51
	v_cmp_eq_u16_e64 s5, 0, v54
	s_mov_b32 s7, exec_lo
	v_add_co_u32 v2, vcc_lo, v2, v17
	v_add_co_ci_u32_e32 v1, vcc_lo, v1, v18, vcc_lo
	v_or_b32_e32 v3, v3, v50
	s_delay_alu instid0(VALU_DEP_3) | instskip(NEXT) | instid1(VALU_DEP_3)
	v_cndmask_b32_e64 v2, 0, v2, s3
	v_cndmask_b32_e64 v1, 0, v1, s3
	s_delay_alu instid0(VALU_DEP_3) | instskip(NEXT) | instid1(VALU_DEP_3)
	v_or_b32_e32 v3, v3, v49
	v_add_co_u32 v2, vcc_lo, v2, v19
	s_delay_alu instid0(VALU_DEP_3) | instskip(NEXT) | instid1(VALU_DEP_3)
	v_add_co_ci_u32_e32 v1, vcc_lo, v1, v20, vcc_lo
	v_or_b32_e32 v3, v3, v48
	s_delay_alu instid0(VALU_DEP_3) | instskip(NEXT) | instid1(VALU_DEP_3)
	v_cndmask_b32_e64 v2, 0, v2, s2
	v_cndmask_b32_e64 v1, 0, v1, s2
	s_delay_alu instid0(VALU_DEP_3) | instskip(NEXT) | instid1(VALU_DEP_3)
	v_or_b32_e32 v3, v3, v39
	v_add_co_u32 v2, vcc_lo, v2, v21
	s_delay_alu instid0(VALU_DEP_3) | instskip(NEXT) | instid1(VALU_DEP_3)
	v_add_co_ci_u32_e32 v1, vcc_lo, v1, v22, vcc_lo
	v_and_b32_e32 v5, 1, v3
	s_delay_alu instid0(VALU_DEP_3) | instskip(NEXT) | instid1(VALU_DEP_3)
	v_cndmask_b32_e64 v2, 0, v2, s1
	v_cndmask_b32_e64 v1, 0, v1, s1
	s_delay_alu instid0(VALU_DEP_3) | instskip(NEXT) | instid1(VALU_DEP_3)
	v_mov_b32_dpp v8, v5 row_shr:1 row_mask:0xf bank_mask:0xf
	v_add_co_u32 v2, vcc_lo, v2, v23
	s_delay_alu instid0(VALU_DEP_3) | instskip(NEXT) | instid1(VALU_DEP_2)
	v_add_co_ci_u32_e32 v1, vcc_lo, v1, v24, vcc_lo
	v_cndmask_b32_e64 v2, 0, v2, s0
	s_delay_alu instid0(VALU_DEP_2) | instskip(NEXT) | instid1(VALU_DEP_2)
	v_cndmask_b32_e64 v1, 0, v1, s0
	v_add_co_u32 v2, vcc_lo, v2, v25
	s_delay_alu instid0(VALU_DEP_2) | instskip(NEXT) | instid1(VALU_DEP_2)
	v_add_co_ci_u32_e32 v1, vcc_lo, v1, v26, vcc_lo
	v_cndmask_b32_e64 v2, 0, v2, s5
	s_delay_alu instid0(VALU_DEP_2) | instskip(NEXT) | instid1(VALU_DEP_2)
	v_cndmask_b32_e64 v1, 0, v1, s5
	v_add_co_u32 v2, vcc_lo, v2, v15
	s_delay_alu instid0(VALU_DEP_2) | instskip(SKIP_1) | instid1(VALU_DEP_3)
	v_add_co_ci_u32_e32 v1, vcc_lo, v1, v16, vcc_lo
	v_cmp_eq_u16_e32 vcc_lo, 0, v53
	v_cndmask_b32_e32 v2, 0, v2, vcc_lo
	s_delay_alu instid0(VALU_DEP_3) | instskip(NEXT) | instid1(VALU_DEP_2)
	v_dual_cndmask_b32 v4, 0, v1 :: v_dual_and_b32 v1, 15, v52
	v_add_co_u32 v3, vcc_lo, v2, v27
	s_delay_alu instid0(VALU_DEP_2) | instskip(SKIP_1) | instid1(VALU_DEP_3)
	v_add_co_ci_u32_e32 v4, vcc_lo, v4, v28, vcc_lo
	v_cmp_eq_u32_e32 vcc_lo, 1, v5
	v_mov_b32_dpp v6, v3 row_shr:1 row_mask:0xf bank_mask:0xf
	v_mov_b32_e32 v2, v5
	s_delay_alu instid0(VALU_DEP_4)
	v_mov_b32_dpp v7, v4 row_shr:1 row_mask:0xf bank_mask:0xf
	v_cmpx_ne_u32_e32 0, v1
; %bb.56:
	v_and_b32_e32 v2, 1, v8
	v_cndmask_b32_e64 v6, v6, 0, vcc_lo
	s_delay_alu instid0(VALU_DEP_4) | instskip(NEXT) | instid1(VALU_DEP_3)
	v_cndmask_b32_e64 v7, v7, 0, vcc_lo
	v_or_b32_e32 v5, v2, v5
	s_delay_alu instid0(VALU_DEP_3) | instskip(NEXT) | instid1(VALU_DEP_3)
	v_add_co_u32 v3, vcc_lo, v6, v3
	v_add_co_ci_u32_e32 v4, vcc_lo, v7, v4, vcc_lo
	s_delay_alu instid0(VALU_DEP_3)
	v_and_b32_e32 v2, 0xffff, v5
; %bb.57:
	s_or_b32 exec_lo, exec_lo, s7
	s_delay_alu instid0(VALU_DEP_3) | instskip(NEXT) | instid1(VALU_DEP_3)
	v_mov_b32_dpp v6, v3 row_shr:2 row_mask:0xf bank_mask:0xf
	v_mov_b32_dpp v7, v4 row_shr:2 row_mask:0xf bank_mask:0xf
	s_delay_alu instid0(VALU_DEP_3)
	v_mov_b32_dpp v8, v2 row_shr:2 row_mask:0xf bank_mask:0xf
	s_mov_b32 s8, exec_lo
	v_cmpx_lt_u32_e32 1, v1
	s_cbranch_execz .LBB111_59
; %bb.58:
	s_delay_alu instid0(VALU_DEP_2) | instskip(SKIP_2) | instid1(VALU_DEP_3)
	v_and_b32_e32 v8, 1, v8
	v_cmp_eq_u16_e32 vcc_lo, 0, v5
	v_and_b32_e32 v2, 1, v5
	v_cmp_eq_u32_e64 s7, 1, v8
	v_cndmask_b32_e32 v5, 0, v6, vcc_lo
	s_delay_alu instid0(VALU_DEP_3) | instskip(SKIP_1) | instid1(VALU_DEP_3)
	v_cmp_eq_u32_e64 s6, 1, v2
	v_cndmask_b32_e32 v2, 0, v7, vcc_lo
	v_add_co_u32 v3, vcc_lo, v5, v3
	s_delay_alu instid0(VALU_DEP_3) | instskip(NEXT) | instid1(VALU_DEP_2)
	s_or_b32 s6, s6, s7
	v_add_co_ci_u32_e32 v4, vcc_lo, v2, v4, vcc_lo
	v_cndmask_b32_e64 v6, 0, 1, s6
	v_cndmask_b32_e64 v2, 0, 1, s6
	s_delay_alu instid0(VALU_DEP_2)
	v_mov_b32_e32 v5, v6
.LBB111_59:
	s_or_b32 exec_lo, exec_lo, s8
	v_mov_b32_dpp v6, v3 row_shr:4 row_mask:0xf bank_mask:0xf
	v_mov_b32_dpp v7, v4 row_shr:4 row_mask:0xf bank_mask:0xf
	;; [unrolled: 1-line block ×3, first 2 shown]
	s_mov_b32 s8, exec_lo
	v_cmpx_lt_u32_e32 3, v1
	s_cbranch_execz .LBB111_61
; %bb.60:
	s_delay_alu instid0(VALU_DEP_2) | instskip(SKIP_2) | instid1(VALU_DEP_3)
	v_and_b32_e32 v8, 1, v8
	v_cmp_eq_u16_e32 vcc_lo, 0, v5
	v_and_b32_e32 v2, 1, v5
	v_cmp_eq_u32_e64 s7, 1, v8
	v_cndmask_b32_e32 v5, 0, v6, vcc_lo
	s_delay_alu instid0(VALU_DEP_3) | instskip(SKIP_1) | instid1(VALU_DEP_3)
	v_cmp_eq_u32_e64 s6, 1, v2
	v_cndmask_b32_e32 v2, 0, v7, vcc_lo
	v_add_co_u32 v3, vcc_lo, v5, v3
	s_delay_alu instid0(VALU_DEP_3) | instskip(NEXT) | instid1(VALU_DEP_2)
	s_or_b32 s6, s6, s7
	v_add_co_ci_u32_e32 v4, vcc_lo, v2, v4, vcc_lo
	v_cndmask_b32_e64 v6, 0, 1, s6
	v_cndmask_b32_e64 v2, 0, 1, s6
	s_delay_alu instid0(VALU_DEP_2)
	v_mov_b32_e32 v5, v6
.LBB111_61:
	s_or_b32 exec_lo, exec_lo, s8
	v_mov_b32_dpp v6, v3 row_shr:8 row_mask:0xf bank_mask:0xf
	v_mov_b32_dpp v7, v4 row_shr:8 row_mask:0xf bank_mask:0xf
	;; [unrolled: 1-line block ×3, first 2 shown]
	s_mov_b32 s8, exec_lo
	v_cmpx_lt_u32_e32 7, v1
	s_cbranch_execz .LBB111_63
; %bb.62:
	v_cmp_eq_u16_e32 vcc_lo, 0, v5
	v_and_b32_e32 v1, 1, v5
	v_and_b32_e32 v2, 1, v8
	s_delay_alu instid0(VALU_DEP_1) | instskip(SKIP_1) | instid1(VALU_DEP_4)
	v_cmp_eq_u32_e64 s7, 1, v2
	v_cndmask_b32_e32 v2, 0, v6, vcc_lo
	v_cmp_eq_u32_e64 s6, 1, v1
	v_cndmask_b32_e32 v1, 0, v7, vcc_lo
	s_delay_alu instid0(VALU_DEP_3) | instskip(NEXT) | instid1(VALU_DEP_3)
	v_add_co_u32 v3, vcc_lo, v2, v3
	s_or_b32 s6, s6, s7
	s_delay_alu instid0(VALU_DEP_2)
	v_add_co_ci_u32_e32 v4, vcc_lo, v1, v4, vcc_lo
	v_cndmask_b32_e64 v5, 0, 1, s6
	v_cndmask_b32_e64 v2, 0, 1, s6
.LBB111_63:
	s_or_b32 exec_lo, exec_lo, s8
	ds_swizzle_b32 v1, v3 offset:swizzle(BROADCAST,32,15)
	ds_swizzle_b32 v6, v4 offset:swizzle(BROADCAST,32,15)
	;; [unrolled: 1-line block ×3, first 2 shown]
	v_and_b32_e32 v7, 16, v52
	s_mov_b32 s8, exec_lo
	s_delay_alu instid0(VALU_DEP_1)
	v_cmpx_ne_u32_e32 0, v7
	s_cbranch_execz .LBB111_65
; %bb.64:
	v_cmp_eq_u16_e32 vcc_lo, 0, v5
	v_and_b32_e32 v7, 1, v5
	s_waitcnt lgkmcnt(0)
	v_dual_cndmask_b32 v1, 0, v1 :: v_dual_and_b32 v2, 1, v2
	s_delay_alu instid0(VALU_DEP_1) | instskip(SKIP_2) | instid1(VALU_DEP_4)
	v_cmp_eq_u32_e64 s7, 1, v2
	v_cndmask_b32_e32 v2, 0, v6, vcc_lo
	v_cmp_eq_u32_e64 s6, 1, v7
	v_add_co_u32 v3, vcc_lo, v1, v3
	s_delay_alu instid0(VALU_DEP_3) | instskip(NEXT) | instid1(VALU_DEP_3)
	v_add_co_ci_u32_e32 v4, vcc_lo, v2, v4, vcc_lo
	s_or_b32 s6, s6, s7
	s_delay_alu instid0(SALU_CYCLE_1)
	v_cndmask_b32_e64 v5, 0, 1, s6
.LBB111_65:
	s_or_b32 exec_lo, exec_lo, s8
	s_waitcnt lgkmcnt(2)
	v_or_b32_e32 v1, 31, v0
	s_mov_b32 s6, exec_lo
	s_delay_alu instid0(VALU_DEP_1)
	v_cmpx_eq_u32_e64 v1, v0
	s_cbranch_execz .LBB111_67
; %bb.66:
	v_lshlrev_b32_e32 v1, 4, v45
	ds_store_b64 v1, v[3:4]
	ds_store_b8 v1, v5 offset:8
.LBB111_67:
	s_or_b32 exec_lo, exec_lo, s6
	s_delay_alu instid0(SALU_CYCLE_1)
	s_mov_b32 s8, exec_lo
	s_waitcnt lgkmcnt(0)
	s_barrier
	buffer_gl0_inv
	v_cmpx_gt_u32_e32 8, v0
	s_cbranch_execz .LBB111_75
; %bb.68:
	v_lshlrev_b32_e32 v6, 4, v0
	s_mov_b32 s6, exec_lo
	ds_load_b64 v[1:2], v6
	ds_load_b32 v10, v6 offset:8
	v_and_b32_e32 v7, 7, v52
	s_waitcnt lgkmcnt(1)
	v_mov_b32_dpp v12, v1 row_shr:1 row_mask:0xf bank_mask:0xf
	s_waitcnt lgkmcnt(0)
	v_mov_b32_e32 v8, v10
	v_mov_b32_dpp v29, v2 row_shr:1 row_mask:0xf bank_mask:0xf
	v_and_b32_e32 v9, 0xffffff00, v10
	v_mov_b32_dpp v30, v10 row_shr:1 row_mask:0xf bank_mask:0xf
	v_mov_b32_e32 v11, v10
	v_cmpx_ne_u32_e32 0, v7
; %bb.69:
	v_and_b32_e32 v8, 0xff, v10
	s_delay_alu instid0(VALU_DEP_4) | instskip(NEXT) | instid1(VALU_DEP_2)
	v_or_b32_e32 v10, v30, v10
	v_cmp_eq_u16_e32 vcc_lo, 0, v8
	s_delay_alu instid0(VALU_DEP_2) | instskip(SKIP_2) | instid1(VALU_DEP_2)
	v_and_b32_e32 v8, 1, v10
	v_and_b32_e32 v11, 1, v10
	v_dual_cndmask_b32 v29, 0, v29 :: v_dual_cndmask_b32 v12, 0, v12
	v_or_b32_e32 v10, v11, v9
	s_delay_alu instid0(VALU_DEP_2) | instskip(NEXT) | instid1(VALU_DEP_3)
	v_add_co_u32 v1, vcc_lo, v12, v1
	v_add_co_ci_u32_e32 v2, vcc_lo, v29, v2, vcc_lo
; %bb.70:
	s_or_b32 exec_lo, exec_lo, s6
	s_delay_alu instid0(VALU_DEP_2) | instskip(NEXT) | instid1(VALU_DEP_2)
	v_mov_b32_dpp v12, v1 row_shr:2 row_mask:0xf bank_mask:0xf
	v_mov_b32_dpp v29, v2 row_shr:2 row_mask:0xf bank_mask:0xf
	;; [unrolled: 1-line block ×3, first 2 shown]
	s_mov_b32 s9, exec_lo
	v_cmpx_lt_u32_e32 1, v7
	s_cbranch_execz .LBB111_72
; %bb.71:
	v_and_b32_e32 v8, 1, v11
	v_and_b32_e32 v10, 0xff, v11
	;; [unrolled: 1-line block ×3, first 2 shown]
	s_delay_alu instid0(VALU_DEP_3) | instskip(NEXT) | instid1(VALU_DEP_3)
	v_cmp_eq_u32_e32 vcc_lo, 1, v8
	v_cmp_eq_u16_e64 s6, 0, v10
	s_delay_alu instid0(VALU_DEP_3) | instskip(NEXT) | instid1(VALU_DEP_2)
	v_cmp_eq_u32_e64 s7, 1, v11
	v_cndmask_b32_e64 v10, 0, v29, s6
	v_cndmask_b32_e64 v11, 0, v12, s6
	s_delay_alu instid0(VALU_DEP_3) | instskip(NEXT) | instid1(SALU_CYCLE_1)
	s_or_b32 s6, vcc_lo, s7
	v_cndmask_b32_e64 v8, 0, 1, s6
	v_cndmask_b32_e64 v12, 0, 1, s6
	s_delay_alu instid0(VALU_DEP_3) | instskip(SKIP_1) | instid1(VALU_DEP_4)
	v_add_co_u32 v1, vcc_lo, v11, v1
	v_add_co_ci_u32_e32 v2, vcc_lo, v10, v2, vcc_lo
	v_mov_b32_e32 v11, v8
	s_delay_alu instid0(VALU_DEP_4)
	v_or_b32_e32 v10, v9, v12
.LBB111_72:
	s_or_b32 exec_lo, exec_lo, s9
	v_mov_b32_dpp v9, v1 row_shr:4 row_mask:0xf bank_mask:0xf
	v_mov_b32_dpp v12, v2 row_shr:4 row_mask:0xf bank_mask:0xf
	s_delay_alu instid0(VALU_DEP_3)
	v_mov_b32_dpp v10, v10 row_shr:4 row_mask:0xf bank_mask:0xf
	s_mov_b32 s9, exec_lo
	v_cmpx_lt_u32_e32 3, v7
; %bb.73:
	v_and_b32_e32 v7, 0xff, v11
	s_delay_alu instid0(VALU_DEP_1) | instskip(SKIP_3) | instid1(VALU_DEP_3)
	v_cmp_eq_u16_e32 vcc_lo, 0, v7
	v_and_b32_e32 v8, 1, v11
	v_dual_cndmask_b32 v9, 0, v9 :: v_dual_and_b32 v10, 1, v10
	v_cndmask_b32_e32 v7, 0, v12, vcc_lo
	v_cmp_eq_u32_e64 s6, 1, v8
	s_delay_alu instid0(VALU_DEP_3) | instskip(NEXT) | instid1(VALU_DEP_4)
	v_cmp_eq_u32_e64 s7, 1, v10
	v_add_co_u32 v1, vcc_lo, v9, v1
	s_delay_alu instid0(VALU_DEP_4) | instskip(NEXT) | instid1(VALU_DEP_3)
	v_add_co_ci_u32_e32 v2, vcc_lo, v7, v2, vcc_lo
	s_or_b32 s6, s6, s7
	s_delay_alu instid0(SALU_CYCLE_1)
	v_cndmask_b32_e64 v8, 0, 1, s6
; %bb.74:
	s_or_b32 exec_lo, exec_lo, s9
	ds_store_b64 v6, v[1:2]
	ds_store_b8 v6, v8 offset:8
.LBB111_75:
	s_or_b32 exec_lo, exec_lo, s8
	v_mov_b32_e32 v1, 0
	v_cmp_gt_u32_e32 vcc_lo, 32, v0
	v_dual_mov_b32 v2, 0 :: v_dual_mov_b32 v11, 0
	s_mov_b32 s7, exec_lo
	s_waitcnt lgkmcnt(0)
	s_barrier
	buffer_gl0_inv
	v_cmpx_lt_u32_e32 31, v0
	s_cbranch_execz .LBB111_77
; %bb.76:
	v_lshl_add_u32 v6, v45, 4, -16
	v_cmp_eq_u16_e64 s6, 0, v5
	ds_load_b64 v[1:2], v6
	ds_load_u8 v11, v6 offset:8
	s_waitcnt lgkmcnt(1)
	v_cndmask_b32_e64 v7, 0, v1, s6
	v_cndmask_b32_e64 v6, 0, v2, s6
	s_waitcnt lgkmcnt(0)
	v_or_b32_e32 v5, v5, v11
	s_delay_alu instid0(VALU_DEP_3) | instskip(NEXT) | instid1(VALU_DEP_1)
	v_add_co_u32 v3, s6, v3, v7
	v_add_co_ci_u32_e64 v4, s6, v4, v6, s6
	s_delay_alu instid0(VALU_DEP_3)
	v_and_b32_e32 v5, 1, v5
.LBB111_77:
	s_or_b32 exec_lo, exec_lo, s7
	v_add_nc_u32_e32 v6, -1, v52
	s_delay_alu instid0(VALU_DEP_2) | instskip(NEXT) | instid1(VALU_DEP_2)
	v_and_b32_e32 v5, 0xffff, v5
	v_cmp_gt_i32_e64 s6, 0, v6
	s_delay_alu instid0(VALU_DEP_1) | instskip(SKIP_1) | instid1(VALU_DEP_2)
	v_cndmask_b32_e64 v6, v6, v52, s6
	v_cmp_eq_u32_e64 s6, 0, v52
	v_lshlrev_b32_e32 v6, 2, v6
	ds_bpermute_b32 v31, v6, v3
	ds_bpermute_b32 v12, v6, v4
	;; [unrolled: 1-line block ×3, first 2 shown]
	s_and_saveexec_b32 s9, vcc_lo
	s_cbranch_execz .LBB111_116
; %bb.78:
	v_mov_b32_e32 v7, 0
	ds_load_b64 v[3:4], v7 offset:112
	ds_load_u8 v29, v7 offset:120
	s_and_saveexec_b32 s7, s6
	s_cbranch_execz .LBB111_80
; %bb.79:
	s_add_i32 s30, s15, 32
	s_mov_b32 s31, 0
	v_dual_mov_b32 v5, s30 :: v_dual_mov_b32 v6, 1
	s_lshl_b64 s[34:35], s[30:31], 4
	s_delay_alu instid0(SALU_CYCLE_1)
	s_add_u32 s30, s16, s34
	s_addc_u32 s31, s17, s35
	s_waitcnt lgkmcnt(1)
	global_store_b64 v7, v[3:4], s[30:31]
	s_waitcnt lgkmcnt(0)
	global_store_b8 v7, v29, s[30:31] offset:8
	s_waitcnt_vscnt null, 0x0
	buffer_gl1_inv
	buffer_gl0_inv
	global_store_b8 v5, v6, s[20:21]
.LBB111_80:
	s_or_b32 exec_lo, exec_lo, s7
	v_xad_u32 v5, v52, -1, s15
	s_mov_b32 s8, 0
	s_mov_b32 s7, exec_lo
	s_delay_alu instid0(VALU_DEP_1)
	v_add_nc_u32_e32 v6, 32, v5
	global_load_u8 v30, v6, s[20:21] glc
	s_waitcnt vmcnt(0)
	v_cmpx_eq_u16_e32 0, v30
	s_cbranch_execz .LBB111_84
; %bb.81:
	v_add_co_u32 v8, s14, s20, v6
	s_delay_alu instid0(VALU_DEP_1)
	v_add_co_ci_u32_e64 v9, null, s21, 0, s14
.LBB111_82:                             ; =>This Inner Loop Header: Depth=1
	global_load_u8 v30, v[8:9], off glc
	s_waitcnt vmcnt(0)
	v_cmp_ne_u16_e32 vcc_lo, 0, v30
	s_or_b32 s8, vcc_lo, s8
	s_delay_alu instid0(SALU_CYCLE_1)
	s_and_not1_b32 exec_lo, exec_lo, s8
	s_cbranch_execnz .LBB111_82
; %bb.83:
	s_or_b32 exec_lo, exec_lo, s8
.LBB111_84:
	s_delay_alu instid0(SALU_CYCLE_1)
	s_or_b32 exec_lo, exec_lo, s7
	v_dual_mov_b32 v8, s17 :: v_dual_mov_b32 v9, s16
	v_cmp_eq_u16_e32 vcc_lo, 1, v30
	v_lshlrev_b64 v[6:7], 4, v[6:7]
	s_waitcnt lgkmcnt(0)
	s_waitcnt_vscnt null, 0x0
	buffer_gl1_inv
	buffer_gl0_inv
	v_lshlrev_b32_e64 v34, v52, -1
	v_add_nc_u32_e32 v35, 1, v52
	v_cndmask_b32_e32 v9, s18, v9, vcc_lo
	v_cndmask_b32_e32 v8, s19, v8, vcc_lo
	s_mov_b32 s7, exec_lo
	s_delay_alu instid0(VALU_DEP_2) | instskip(NEXT) | instid1(VALU_DEP_2)
	v_add_co_u32 v6, vcc_lo, v9, v6
	v_add_co_ci_u32_e32 v7, vcc_lo, v8, v7, vcc_lo
	v_cmp_ne_u32_e32 vcc_lo, 31, v52
	s_clause 0x1
	global_load_u8 v67, v[6:7], off offset:8
	global_load_b64 v[9:10], v[6:7], off
	v_add_co_ci_u32_e32 v6, vcc_lo, 0, v52, vcc_lo
	v_cmp_eq_u16_e32 vcc_lo, 2, v30
	s_delay_alu instid0(VALU_DEP_2) | instskip(SKIP_1) | instid1(VALU_DEP_1)
	v_lshlrev_b32_e32 v33, 2, v6
	v_and_or_b32 v6, vcc_lo, v34, 0x80000000
	v_ctz_i32_b32_e32 v6, v6
	s_waitcnt vmcnt(1)
	v_and_b32_e32 v7, 1, v67
	s_waitcnt vmcnt(0)
	ds_bpermute_b32 v8, v33, v9
	ds_bpermute_b32 v36, v33, v10
	;; [unrolled: 1-line block ×3, first 2 shown]
	v_cmpx_le_u32_e64 v35, v6
	s_cbranch_execz .LBB111_86
; %bb.85:
	v_and_b32_e32 v7, 0xff, v67
	s_delay_alu instid0(VALU_DEP_1) | instskip(SKIP_3) | instid1(VALU_DEP_2)
	v_cmp_eq_u16_e32 vcc_lo, 0, v7
	s_waitcnt lgkmcnt(0)
	v_dual_cndmask_b32 v8, 0, v8 :: v_dual_and_b32 v7, 1, v37
	v_cndmask_b32_e32 v36, 0, v36, vcc_lo
	v_or_b32_e32 v67, v7, v67
	s_delay_alu instid0(VALU_DEP_3) | instskip(NEXT) | instid1(VALU_DEP_3)
	v_add_co_u32 v9, vcc_lo, v8, v9
	v_add_co_ci_u32_e32 v10, vcc_lo, v36, v10, vcc_lo
	s_delay_alu instid0(VALU_DEP_3)
	v_and_b32_e32 v7, 0xff, v67
.LBB111_86:
	s_or_b32 exec_lo, exec_lo, s7
	v_cmp_gt_u32_e32 vcc_lo, 30, v52
	s_waitcnt lgkmcnt(0)
	v_add_nc_u32_e32 v37, 2, v52
	s_mov_b32 s14, exec_lo
	v_cndmask_b32_e64 v8, 0, 1, vcc_lo
	s_delay_alu instid0(VALU_DEP_1) | instskip(NEXT) | instid1(VALU_DEP_1)
	v_lshlrev_b32_e32 v8, 1, v8
	v_add_lshl_u32 v36, v8, v52, 2
	ds_bpermute_b32 v8, v36, v9
	ds_bpermute_b32 v38, v36, v10
	ds_bpermute_b32 v61, v36, v7
	v_cmpx_le_u32_e64 v37, v6
	s_cbranch_execz .LBB111_88
; %bb.87:
	v_and_b32_e32 v7, 0xff, v67
	s_waitcnt lgkmcnt(0)
	v_and_b32_e32 v61, 1, v61
	s_delay_alu instid0(VALU_DEP_2) | instskip(SKIP_1) | instid1(VALU_DEP_3)
	v_cmp_eq_u16_e32 vcc_lo, 0, v7
	v_and_b32_e32 v62, 1, v67
	v_cmp_eq_u32_e64 s8, 1, v61
	v_cndmask_b32_e32 v7, 0, v38, vcc_lo
	s_delay_alu instid0(VALU_DEP_3) | instskip(SKIP_1) | instid1(VALU_DEP_2)
	v_cmp_eq_u32_e64 s7, 1, v62
	v_cndmask_b32_e32 v8, 0, v8, vcc_lo
	s_or_b32 s7, s7, s8
	s_delay_alu instid0(VALU_DEP_1)
	v_add_co_u32 v9, vcc_lo, v8, v9
	v_cndmask_b32_e64 v67, 0, 1, s7
	v_add_co_ci_u32_e32 v10, vcc_lo, v7, v10, vcc_lo
	v_cndmask_b32_e64 v7, 0, 1, s7
.LBB111_88:
	s_or_b32 exec_lo, exec_lo, s14
	v_cmp_gt_u32_e32 vcc_lo, 28, v52
	s_waitcnt lgkmcnt(0)
	v_add_nc_u32_e32 v61, 4, v52
	s_mov_b32 s14, exec_lo
	v_cndmask_b32_e64 v8, 0, 1, vcc_lo
	s_delay_alu instid0(VALU_DEP_1) | instskip(NEXT) | instid1(VALU_DEP_1)
	v_lshlrev_b32_e32 v8, 2, v8
	v_add_lshl_u32 v38, v8, v52, 2
	ds_bpermute_b32 v8, v38, v9
	ds_bpermute_b32 v62, v38, v10
	ds_bpermute_b32 v63, v38, v7
	v_cmpx_le_u32_e64 v61, v6
	s_cbranch_execz .LBB111_90
; %bb.89:
	v_and_b32_e32 v7, 0xff, v67
	s_waitcnt lgkmcnt(0)
	v_and_b32_e32 v63, 1, v63
	s_delay_alu instid0(VALU_DEP_2) | instskip(SKIP_1) | instid1(VALU_DEP_3)
	v_cmp_eq_u16_e32 vcc_lo, 0, v7
	v_and_b32_e32 v64, 1, v67
	v_cmp_eq_u32_e64 s8, 1, v63
	v_cndmask_b32_e32 v7, 0, v62, vcc_lo
	s_delay_alu instid0(VALU_DEP_3) | instskip(SKIP_1) | instid1(VALU_DEP_2)
	v_cmp_eq_u32_e64 s7, 1, v64
	v_cndmask_b32_e32 v8, 0, v8, vcc_lo
	s_or_b32 s7, s7, s8
	s_delay_alu instid0(VALU_DEP_1)
	v_add_co_u32 v9, vcc_lo, v8, v9
	v_cndmask_b32_e64 v67, 0, 1, s7
	v_add_co_ci_u32_e32 v10, vcc_lo, v7, v10, vcc_lo
	v_cndmask_b32_e64 v7, 0, 1, s7
.LBB111_90:
	;; [unrolled: 33-line block ×3, first 2 shown]
	s_or_b32 exec_lo, exec_lo, s14
	v_cmp_gt_u32_e32 vcc_lo, 16, v52
	v_add_nc_u32_e32 v66, 16, v52
	s_mov_b32 s14, exec_lo
	s_waitcnt lgkmcnt(2)
	v_cndmask_b32_e64 v8, 0, 1, vcc_lo
	s_delay_alu instid0(VALU_DEP_1) | instskip(SKIP_1) | instid1(VALU_DEP_1)
	v_lshlrev_b32_e32 v8, 4, v8
	s_waitcnt lgkmcnt(0)
	v_add_lshl_u32 v65, v8, v52, 2
	ds_bpermute_b32 v8, v65, v9
	ds_bpermute_b32 v64, v65, v10
	;; [unrolled: 1-line block ×3, first 2 shown]
	v_cmpx_le_u32_e64 v66, v6
	s_cbranch_execz .LBB111_94
; %bb.93:
	v_and_b32_e32 v6, 0xff, v67
	s_delay_alu instid0(VALU_DEP_1) | instskip(SKIP_4) | instid1(VALU_DEP_3)
	v_cmp_eq_u16_e32 vcc_lo, 0, v6
	v_and_b32_e32 v6, 1, v67
	s_waitcnt lgkmcnt(0)
	v_dual_cndmask_b32 v64, 0, v64 :: v_dual_and_b32 v7, 1, v7
	v_cndmask_b32_e32 v8, 0, v8, vcc_lo
	v_cmp_eq_u32_e32 vcc_lo, 1, v6
	s_delay_alu instid0(VALU_DEP_3) | instskip(NEXT) | instid1(VALU_DEP_3)
	v_cmp_eq_u32_e64 s7, 1, v7
	v_add_co_u32 v9, s8, v8, v9
	s_delay_alu instid0(VALU_DEP_2)
	s_or_b32 s7, vcc_lo, s7
	v_add_co_ci_u32_e64 v10, s8, v64, v10, s8
	v_cndmask_b32_e64 v67, 0, 1, s7
.LBB111_94:
	s_or_b32 exec_lo, exec_lo, s14
	v_mov_b32_e32 v6, 0
	s_branch .LBB111_96
.LBB111_95:                             ;   in Loop: Header=BB111_96 Depth=1
	s_or_b32 exec_lo, exec_lo, s23
	v_and_b32_e32 v67, 0xff, v64
	v_subrev_nc_u32_e32 v5, 32, v5
	s_delay_alu instid0(VALU_DEP_2) | instskip(SKIP_2) | instid1(VALU_DEP_2)
	v_cmp_eq_u16_e32 vcc_lo, 0, v67
	v_dual_cndmask_b32 v10, 0, v10 :: v_dual_and_b32 v67, 1, v64
	v_cndmask_b32_e32 v9, 0, v9, vcc_lo
	v_cmp_eq_u32_e32 vcc_lo, 1, v67
	s_delay_alu instid0(VALU_DEP_2) | instskip(NEXT) | instid1(VALU_DEP_1)
	v_add_co_u32 v9, s7, v9, v7
	v_add_co_ci_u32_e64 v10, s7, v10, v8, s7
	s_or_b32 s7, vcc_lo, s14
	s_delay_alu instid0(SALU_CYCLE_1)
	v_cndmask_b32_e64 v67, 0, 1, s7
.LBB111_96:                             ; =>This Loop Header: Depth=1
                                        ;     Child Loop BB111_99 Depth 2
	s_waitcnt lgkmcnt(0)
	s_delay_alu instid0(VALU_DEP_1) | instskip(NEXT) | instid1(VALU_DEP_1)
	v_dual_mov_b32 v64, v67 :: v_dual_and_b32 v7, 0xff, v30
	v_cmp_ne_u16_e32 vcc_lo, 2, v7
	v_cndmask_b32_e64 v7, 0, 1, vcc_lo
	;;#ASMSTART
	;;#ASMEND
	s_delay_alu instid0(VALU_DEP_1)
	v_cmp_ne_u32_e32 vcc_lo, 0, v7
	v_dual_mov_b32 v7, v9 :: v_dual_mov_b32 v8, v10
	s_cmp_lg_u32 vcc_lo, exec_lo
	s_cbranch_scc1 .LBB111_111
; %bb.97:                               ;   in Loop: Header=BB111_96 Depth=1
	global_load_u8 v30, v5, s[20:21] glc
	s_mov_b32 s7, exec_lo
	s_waitcnt vmcnt(0)
	v_cmpx_eq_u16_e32 0, v30
	s_cbranch_execz .LBB111_101
; %bb.98:                               ;   in Loop: Header=BB111_96 Depth=1
	v_add_co_u32 v9, s8, s20, v5
	s_delay_alu instid0(VALU_DEP_1)
	v_add_co_ci_u32_e64 v10, null, s21, 0, s8
	s_mov_b32 s8, 0
.LBB111_99:                             ;   Parent Loop BB111_96 Depth=1
                                        ; =>  This Inner Loop Header: Depth=2
	global_load_u8 v30, v[9:10], off glc
	s_waitcnt vmcnt(0)
	v_cmp_ne_u16_e32 vcc_lo, 0, v30
	s_or_b32 s8, vcc_lo, s8
	s_delay_alu instid0(SALU_CYCLE_1)
	s_and_not1_b32 exec_lo, exec_lo, s8
	s_cbranch_execnz .LBB111_99
; %bb.100:                              ;   in Loop: Header=BB111_96 Depth=1
	s_or_b32 exec_lo, exec_lo, s8
.LBB111_101:                            ;   in Loop: Header=BB111_96 Depth=1
	s_delay_alu instid0(SALU_CYCLE_1)
	s_or_b32 exec_lo, exec_lo, s7
	v_dual_mov_b32 v67, s17 :: v_dual_mov_b32 v68, s16
	v_cmp_eq_u16_e32 vcc_lo, 1, v30
	v_lshlrev_b64 v[9:10], 4, v[5:6]
	buffer_gl1_inv
	buffer_gl0_inv
	s_mov_b32 s8, exec_lo
	v_cndmask_b32_e32 v68, s18, v68, vcc_lo
	v_cndmask_b32_e32 v67, s19, v67, vcc_lo
	s_delay_alu instid0(VALU_DEP_2) | instskip(NEXT) | instid1(VALU_DEP_2)
	v_add_co_u32 v9, vcc_lo, v68, v9
	v_add_co_ci_u32_e32 v10, vcc_lo, v67, v10, vcc_lo
	v_cmp_eq_u16_e32 vcc_lo, 2, v30
	s_clause 0x1
	global_load_u8 v67, v[9:10], off offset:8
	global_load_b64 v[9:10], v[9:10], off
	v_and_or_b32 v68, vcc_lo, v34, 0x80000000
	s_delay_alu instid0(VALU_DEP_1)
	v_ctz_i32_b32_e32 v68, v68
	s_waitcnt vmcnt(1)
	v_and_b32_e32 v69, 1, v67
	s_waitcnt vmcnt(0)
	ds_bpermute_b32 v70, v33, v9
	ds_bpermute_b32 v71, v33, v10
	;; [unrolled: 1-line block ×3, first 2 shown]
	v_cmp_eq_u32_e64 s14, 1, v69
	v_cmpx_le_u32_e64 v35, v68
	s_cbranch_execz .LBB111_103
; %bb.102:                              ;   in Loop: Header=BB111_96 Depth=1
	s_waitcnt lgkmcnt(0)
	v_and_b32_e32 v69, 1, v72
	v_and_b32_e32 v72, 0xff, v67
	s_delay_alu instid0(VALU_DEP_1) | instskip(SKIP_1) | instid1(VALU_DEP_4)
	v_cmp_eq_u16_e32 vcc_lo, 0, v72
	v_cndmask_b32_e32 v70, 0, v70, vcc_lo
	v_or_b32_e32 v67, v69, v67
	v_cndmask_b32_e32 v71, 0, v71, vcc_lo
	s_delay_alu instid0(VALU_DEP_3) | instskip(NEXT) | instid1(VALU_DEP_3)
	v_add_co_u32 v9, s7, v70, v9
	v_and_b32_e32 v69, 1, v67
	s_delay_alu instid0(VALU_DEP_3) | instskip(SKIP_1) | instid1(VALU_DEP_2)
	v_add_co_ci_u32_e64 v10, s7, v71, v10, s7
	s_and_not1_b32 s7, s14, exec_lo
	v_cmp_eq_u32_e32 vcc_lo, 1, v69
	v_and_b32_e32 v69, 0xff, v67
	s_and_b32 s14, vcc_lo, exec_lo
	s_delay_alu instid0(SALU_CYCLE_1)
	s_or_b32 s14, s7, s14
.LBB111_103:                            ;   in Loop: Header=BB111_96 Depth=1
	s_or_b32 exec_lo, exec_lo, s8
	s_waitcnt lgkmcnt(2)
	ds_bpermute_b32 v70, v36, v9
	s_waitcnt lgkmcnt(2)
	ds_bpermute_b32 v71, v36, v10
	s_waitcnt lgkmcnt(2)
	ds_bpermute_b32 v72, v36, v69
	s_mov_b32 s23, exec_lo
	v_cmpx_le_u32_e64 v37, v68
	s_cbranch_execz .LBB111_105
; %bb.104:                              ;   in Loop: Header=BB111_96 Depth=1
	v_and_b32_e32 v69, 1, v67
	v_and_b32_e32 v67, 0xff, v67
	s_waitcnt lgkmcnt(0)
	v_and_b32_e32 v72, 1, v72
	s_delay_alu instid0(VALU_DEP_3) | instskip(NEXT) | instid1(VALU_DEP_3)
	v_cmp_eq_u32_e32 vcc_lo, 1, v69
	v_cmp_eq_u16_e64 s7, 0, v67
	s_delay_alu instid0(VALU_DEP_3) | instskip(NEXT) | instid1(VALU_DEP_2)
	v_cmp_eq_u32_e64 s8, 1, v72
	v_cndmask_b32_e64 v70, 0, v70, s7
	v_cndmask_b32_e64 v71, 0, v71, s7
	s_delay_alu instid0(VALU_DEP_3)
	s_or_b32 s7, vcc_lo, s8
	s_and_not1_b32 s8, s14, exec_lo
	v_cndmask_b32_e64 v67, 0, 1, s7
	v_add_co_u32 v9, vcc_lo, v70, v9
	v_cndmask_b32_e64 v69, 0, 1, s7
	v_add_co_ci_u32_e32 v10, vcc_lo, v71, v10, vcc_lo
	s_and_b32 s7, s7, exec_lo
	s_delay_alu instid0(SALU_CYCLE_1)
	s_or_b32 s14, s8, s7
.LBB111_105:                            ;   in Loop: Header=BB111_96 Depth=1
	s_or_b32 exec_lo, exec_lo, s23
	s_waitcnt lgkmcnt(2)
	ds_bpermute_b32 v70, v38, v9
	s_waitcnt lgkmcnt(2)
	ds_bpermute_b32 v71, v38, v10
	s_waitcnt lgkmcnt(2)
	ds_bpermute_b32 v72, v38, v69
	s_mov_b32 s23, exec_lo
	v_cmpx_le_u32_e64 v61, v68
	s_cbranch_execz .LBB111_107
; %bb.106:                              ;   in Loop: Header=BB111_96 Depth=1
	v_and_b32_e32 v69, 1, v67
	v_and_b32_e32 v67, 0xff, v67
	s_waitcnt lgkmcnt(0)
	v_and_b32_e32 v72, 1, v72
	s_delay_alu instid0(VALU_DEP_3) | instskip(NEXT) | instid1(VALU_DEP_3)
	v_cmp_eq_u32_e32 vcc_lo, 1, v69
	v_cmp_eq_u16_e64 s7, 0, v67
	s_delay_alu instid0(VALU_DEP_3) | instskip(NEXT) | instid1(VALU_DEP_2)
	v_cmp_eq_u32_e64 s8, 1, v72
	v_cndmask_b32_e64 v70, 0, v70, s7
	v_cndmask_b32_e64 v71, 0, v71, s7
	s_delay_alu instid0(VALU_DEP_3)
	s_or_b32 s7, vcc_lo, s8
	s_and_not1_b32 s8, s14, exec_lo
	v_cndmask_b32_e64 v67, 0, 1, s7
	v_add_co_u32 v9, vcc_lo, v70, v9
	v_cndmask_b32_e64 v69, 0, 1, s7
	v_add_co_ci_u32_e32 v10, vcc_lo, v71, v10, vcc_lo
	s_and_b32 s7, s7, exec_lo
	s_delay_alu instid0(SALU_CYCLE_1)
	s_or_b32 s14, s8, s7
.LBB111_107:                            ;   in Loop: Header=BB111_96 Depth=1
	;; [unrolled: 33-line block ×3, first 2 shown]
	s_or_b32 exec_lo, exec_lo, s23
	s_waitcnt lgkmcnt(2)
	ds_bpermute_b32 v70, v65, v9
	s_waitcnt lgkmcnt(2)
	ds_bpermute_b32 v71, v65, v10
	ds_bpermute_b32 v69, v65, v69
	s_mov_b32 s23, exec_lo
	v_cmpx_le_u32_e64 v66, v68
	s_cbranch_execz .LBB111_95
; %bb.110:                              ;   in Loop: Header=BB111_96 Depth=1
	v_and_b32_e32 v68, 0xff, v67
	s_waitcnt lgkmcnt(0)
	v_and_b32_e32 v69, 1, v69
	s_delay_alu instid0(VALU_DEP_2) | instskip(SKIP_1) | instid1(VALU_DEP_3)
	v_cmp_eq_u16_e32 vcc_lo, 0, v68
	v_and_b32_e32 v67, 1, v67
	v_cmp_eq_u32_e64 s8, 1, v69
	v_cndmask_b32_e32 v68, 0, v70, vcc_lo
	s_delay_alu instid0(VALU_DEP_3) | instskip(SKIP_1) | instid1(VALU_DEP_3)
	v_cmp_eq_u32_e64 s7, 1, v67
	v_cndmask_b32_e32 v67, 0, v71, vcc_lo
	v_add_co_u32 v9, vcc_lo, v68, v9
	s_delay_alu instid0(VALU_DEP_3) | instskip(NEXT) | instid1(VALU_DEP_2)
	s_or_b32 s7, s7, s8
	v_add_co_ci_u32_e32 v10, vcc_lo, v67, v10, vcc_lo
	s_and_not1_b32 s8, s14, exec_lo
	s_and_b32 s7, s7, exec_lo
	s_delay_alu instid0(SALU_CYCLE_1)
	s_or_b32 s14, s8, s7
	s_branch .LBB111_95
.LBB111_111:                            ;   in Loop: Header=BB111_96 Depth=1
                                        ; implicit-def: $vgpr67
                                        ; implicit-def: $vgpr9_vgpr10
                                        ; implicit-def: $vgpr30
	s_cbranch_execz .LBB111_96
; %bb.112:
	s_and_saveexec_b32 s7, s6
	s_cbranch_execz .LBB111_114
; %bb.113:
	v_dual_mov_b32 v6, 0 :: v_dual_and_b32 v5, 0xff, v29
	s_mov_b32 s17, 0
	s_add_i32 s16, s15, 32
	s_delay_alu instid0(SALU_CYCLE_1) | instskip(NEXT) | instid1(VALU_DEP_1)
	s_lshl_b64 s[14:15], s[16:17], 4
	v_cmp_eq_u16_e32 vcc_lo, 0, v5
	v_or_b32_e32 v5, v29, v64
	v_dual_mov_b32 v29, 2 :: v_dual_mov_b32 v30, s16
	s_add_u32 s14, s18, s14
	v_dual_cndmask_b32 v9, 0, v8 :: v_dual_cndmask_b32 v10, 0, v7
	s_delay_alu instid0(VALU_DEP_3) | instskip(SKIP_1) | instid1(VALU_DEP_2)
	v_and_b32_e32 v5, 1, v5
	s_addc_u32 s15, s19, s15
	v_add_co_u32 v3, vcc_lo, v10, v3
	s_delay_alu instid0(VALU_DEP_3)
	v_add_co_ci_u32_e32 v4, vcc_lo, v9, v4, vcc_lo
	s_clause 0x1
	global_store_b64 v6, v[3:4], s[14:15]
	global_store_b8 v6, v5, s[14:15] offset:8
	s_waitcnt lgkmcnt(0)
	s_waitcnt_vscnt null, 0x0
	buffer_gl1_inv
	buffer_gl0_inv
	global_store_b8 v30, v29, s[20:21]
.LBB111_114:
	s_or_b32 exec_lo, exec_lo, s7
	v_cmp_eq_u32_e32 vcc_lo, 0, v0
	s_and_b32 exec_lo, exec_lo, vcc_lo
	s_cbranch_execz .LBB111_116
; %bb.115:
	v_mov_b32_e32 v3, 0
	ds_store_b64 v3, v[7:8] offset:112
	ds_store_b8 v3, v64 offset:120
.LBB111_116:
	s_or_b32 exec_lo, exec_lo, s9
	v_mov_b32_e32 v3, 0
	s_waitcnt lgkmcnt(0)
	s_waitcnt_vscnt null, 0x0
	s_barrier
	buffer_gl0_inv
	s_mov_b32 s7, 0
	ds_load_b64 v[29:30], v3 offset:112
	s_mov_b32 s8, exec_lo
	v_cmpx_ne_u32_e32 0, v0
	s_cbranch_execz .LBB111_118
; %bb.117:
	v_cndmask_b32_e64 v3, v32, v11, s6
	v_cndmask_b32_e64 v1, v31, v1, s6
	v_cndmask_b32_e64 v2, v12, v2, s6
	s_delay_alu instid0(VALU_DEP_3) | instskip(NEXT) | instid1(VALU_DEP_1)
	v_and_b32_e32 v3, 0xff, v3
	v_cmp_eq_u16_e32 vcc_lo, 0, v3
	s_waitcnt lgkmcnt(0)
	v_dual_cndmask_b32 v4, 0, v29 :: v_dual_cndmask_b32 v3, 0, v30
	s_delay_alu instid0(VALU_DEP_1) | instskip(NEXT) | instid1(VALU_DEP_2)
	v_add_co_u32 v29, vcc_lo, v1, v4
	v_add_co_ci_u32_e32 v30, vcc_lo, v2, v3, vcc_lo
.LBB111_118:
	s_or_b32 exec_lo, exec_lo, s8
	v_and_b32_e32 v1, 0xff, v39
	s_delay_alu instid0(VALU_DEP_1) | instskip(SKIP_2) | instid1(VALU_DEP_1)
	v_cmp_eq_u16_e32 vcc_lo, 0, v1
	s_waitcnt lgkmcnt(0)
	v_dual_cndmask_b32 v2, 0, v29 :: v_dual_cndmask_b32 v1, 0, v30
	v_add_co_u32 v3, vcc_lo, v2, v13
	s_delay_alu instid0(VALU_DEP_2) | instskip(NEXT) | instid1(VALU_DEP_2)
	v_add_co_ci_u32_e32 v4, vcc_lo, v1, v14, vcc_lo
	v_cndmask_b32_e64 v1, 0, v3, s4
	s_delay_alu instid0(VALU_DEP_2) | instskip(NEXT) | instid1(VALU_DEP_2)
	v_cndmask_b32_e64 v2, 0, v4, s4
	v_add_co_u32 v5, vcc_lo, v1, v17
	s_delay_alu instid0(VALU_DEP_2) | instskip(NEXT) | instid1(VALU_DEP_2)
	v_add_co_ci_u32_e32 v6, vcc_lo, v2, v18, vcc_lo
	v_cndmask_b32_e64 v1, 0, v5, s3
	s_delay_alu instid0(VALU_DEP_2) | instskip(NEXT) | instid1(VALU_DEP_2)
	v_cndmask_b32_e64 v2, 0, v6, s3
	;; [unrolled: 6-line block ×5, first 2 shown]
	v_add_co_u32 v35, vcc_lo, v1, v25
	s_delay_alu instid0(VALU_DEP_2) | instskip(NEXT) | instid1(VALU_DEP_2)
	v_add_co_ci_u32_e32 v36, vcc_lo, v2, v26, vcc_lo
	v_cndmask_b32_e64 v37, 0, v35, s5
	s_delay_alu instid0(VALU_DEP_2)
	v_cndmask_b32_e64 v38, 0, v36, s5
	s_and_b32 vcc_lo, exec_lo, s7
	s_cbranch_vccnz .LBB111_120
	s_branch .LBB111_147
.LBB111_119:
                                        ; implicit-def: $vgpr29_vgpr30
                                        ; implicit-def: $vgpr37_vgpr38
                                        ; implicit-def: $vgpr35_vgpr36
                                        ; implicit-def: $vgpr33_vgpr34
                                        ; implicit-def: $vgpr31_vgpr32
                                        ; implicit-def: $vgpr9_vgpr10_vgpr11_vgpr12
                                        ; implicit-def: $vgpr5_vgpr6_vgpr7_vgpr8
                                        ; implicit-def: $vgpr1_vgpr2_vgpr3_vgpr4
	s_cbranch_execz .LBB111_147
.LBB111_120:
	s_cmp_eq_u64 s[28:29], 0
	s_cbranch_scc1 .LBB111_122
; %bb.121:
	s_load_b64 s[26:27], s[28:29], 0x0
.LBB111_122:
	v_cmp_eq_u16_e64 s3, 0, v60
	v_cmp_eq_u16_e64 s2, 0, v59
	;; [unrolled: 1-line block ×4, first 2 shown]
	v_or_b32_e32 v3, v55, v51
	v_cndmask_b32_e64 v2, 0, v13, s3
	v_cndmask_b32_e64 v1, 0, v14, s3
	s_mov_b32 s7, exec_lo
	s_delay_alu instid0(VALU_DEP_3) | instskip(NEXT) | instid1(VALU_DEP_3)
	v_or_b32_e32 v3, v3, v50
	v_add_co_u32 v2, vcc_lo, v2, v17
	s_delay_alu instid0(VALU_DEP_3) | instskip(NEXT) | instid1(VALU_DEP_3)
	v_add_co_ci_u32_e32 v1, vcc_lo, v1, v18, vcc_lo
	v_or_b32_e32 v3, v3, v49
	s_delay_alu instid0(VALU_DEP_3) | instskip(NEXT) | instid1(VALU_DEP_3)
	v_cndmask_b32_e64 v2, 0, v2, s2
	v_cndmask_b32_e64 v1, 0, v1, s2
	s_delay_alu instid0(VALU_DEP_3) | instskip(NEXT) | instid1(VALU_DEP_3)
	v_or_b32_e32 v3, v3, v48
	v_add_co_u32 v2, vcc_lo, v2, v19
	s_delay_alu instid0(VALU_DEP_3) | instskip(NEXT) | instid1(VALU_DEP_3)
	v_add_co_ci_u32_e32 v1, vcc_lo, v1, v20, vcc_lo
	v_or_b32_e32 v4, v3, v39
	s_delay_alu instid0(VALU_DEP_3) | instskip(NEXT) | instid1(VALU_DEP_3)
	v_cndmask_b32_e64 v2, 0, v2, s1
	v_cndmask_b32_e64 v1, 0, v1, s1
	s_delay_alu instid0(VALU_DEP_3) | instskip(NEXT) | instid1(VALU_DEP_3)
	v_and_b32_e32 v5, 1, v4
	v_add_co_u32 v2, vcc_lo, v2, v21
	s_delay_alu instid0(VALU_DEP_3) | instskip(NEXT) | instid1(VALU_DEP_3)
	v_add_co_ci_u32_e32 v1, vcc_lo, v1, v22, vcc_lo
	v_dual_mov_b32 v4, v5 :: v_dual_and_b32 v3, 15, v52
	s_delay_alu instid0(VALU_DEP_3) | instskip(NEXT) | instid1(VALU_DEP_3)
	v_cndmask_b32_e64 v2, 0, v2, s0
	v_cndmask_b32_e64 v1, 0, v1, s0
	v_mov_b32_dpp v8, v5 row_shr:1 row_mask:0xf bank_mask:0xf
	s_delay_alu instid0(VALU_DEP_3) | instskip(NEXT) | instid1(VALU_DEP_3)
	v_add_co_u32 v2, vcc_lo, v2, v23
	v_add_co_ci_u32_e32 v1, vcc_lo, v1, v24, vcc_lo
	v_cmp_eq_u16_e32 vcc_lo, 0, v56
	s_delay_alu instid0(VALU_DEP_2) | instskip(NEXT) | instid1(VALU_DEP_1)
	v_dual_cndmask_b32 v1, 0, v1 :: v_dual_cndmask_b32 v2, 0, v2
	v_add_co_u32 v2, s4, v2, v25
	s_delay_alu instid0(VALU_DEP_1) | instskip(SKIP_1) | instid1(VALU_DEP_1)
	v_add_co_ci_u32_e64 v1, s4, v1, v26, s4
	v_cmp_eq_u16_e64 s4, 0, v54
	v_cndmask_b32_e64 v2, 0, v2, s4
	s_delay_alu instid0(VALU_DEP_3) | instskip(NEXT) | instid1(VALU_DEP_2)
	v_cndmask_b32_e64 v1, 0, v1, s4
	v_add_co_u32 v2, s5, v2, v15
	s_delay_alu instid0(VALU_DEP_1) | instskip(SKIP_1) | instid1(VALU_DEP_1)
	v_add_co_ci_u32_e64 v1, s5, v1, v16, s5
	v_cmp_eq_u16_e64 s5, 0, v53
	v_cndmask_b32_e64 v6, 0, v1, s5
	s_delay_alu instid0(VALU_DEP_4) | instskip(NEXT) | instid1(VALU_DEP_1)
	v_cndmask_b32_e64 v1, 0, v2, s5
	v_add_co_u32 v1, s5, v1, v27
	s_delay_alu instid0(VALU_DEP_1) | instskip(SKIP_1) | instid1(VALU_DEP_3)
	v_add_co_ci_u32_e64 v2, s5, v6, v28, s5
	v_cmp_eq_u32_e64 s5, 1, v5
	v_mov_b32_dpp v6, v1 row_shr:1 row_mask:0xf bank_mask:0xf
	s_delay_alu instid0(VALU_DEP_3)
	v_mov_b32_dpp v7, v2 row_shr:1 row_mask:0xf bank_mask:0xf
	v_cmpx_ne_u32_e32 0, v3
; %bb.123:
	v_and_b32_e32 v4, 1, v8
	s_delay_alu instid0(VALU_DEP_4) | instskip(NEXT) | instid1(VALU_DEP_4)
	v_cndmask_b32_e64 v6, v6, 0, s5
	v_cndmask_b32_e64 v7, v7, 0, s5
	s_delay_alu instid0(VALU_DEP_3) | instskip(NEXT) | instid1(VALU_DEP_3)
	v_or_b32_e32 v5, v4, v5
	v_add_co_u32 v1, s5, v6, v1
	s_delay_alu instid0(VALU_DEP_1) | instskip(NEXT) | instid1(VALU_DEP_3)
	v_add_co_ci_u32_e64 v2, s5, v7, v2, s5
	v_and_b32_e32 v4, 0xffff, v5
; %bb.124:
	s_or_b32 exec_lo, exec_lo, s7
	s_delay_alu instid0(VALU_DEP_3) | instskip(NEXT) | instid1(VALU_DEP_3)
	v_mov_b32_dpp v6, v1 row_shr:2 row_mask:0xf bank_mask:0xf
	v_mov_b32_dpp v7, v2 row_shr:2 row_mask:0xf bank_mask:0xf
	s_delay_alu instid0(VALU_DEP_3)
	v_mov_b32_dpp v8, v4 row_shr:2 row_mask:0xf bank_mask:0xf
	s_mov_b32 s8, exec_lo
	v_cmpx_lt_u32_e32 1, v3
	s_cbranch_execz .LBB111_126
; %bb.125:
	v_and_b32_e32 v4, 1, v5
	v_and_b32_e32 v8, 1, v8
	v_cmp_eq_u16_e64 s5, 0, v5
	s_delay_alu instid0(VALU_DEP_3) | instskip(NEXT) | instid1(VALU_DEP_3)
	v_cmp_eq_u32_e64 s6, 1, v4
	v_cmp_eq_u32_e64 s7, 1, v8
	s_delay_alu instid0(VALU_DEP_3) | instskip(SKIP_1) | instid1(VALU_DEP_3)
	v_cndmask_b32_e64 v5, 0, v6, s5
	v_cndmask_b32_e64 v4, 0, v7, s5
	s_or_b32 s6, s6, s7
	s_delay_alu instid0(VALU_DEP_2) | instskip(SKIP_1) | instid1(VALU_DEP_3)
	v_add_co_u32 v1, s5, v5, v1
	v_cndmask_b32_e64 v6, 0, 1, s6
	v_add_co_ci_u32_e64 v2, s5, v4, v2, s5
	v_cndmask_b32_e64 v4, 0, 1, s6
	s_delay_alu instid0(VALU_DEP_3)
	v_mov_b32_e32 v5, v6
.LBB111_126:
	s_or_b32 exec_lo, exec_lo, s8
	v_mov_b32_dpp v6, v1 row_shr:4 row_mask:0xf bank_mask:0xf
	v_mov_b32_dpp v7, v2 row_shr:4 row_mask:0xf bank_mask:0xf
	;; [unrolled: 1-line block ×3, first 2 shown]
	s_mov_b32 s8, exec_lo
	v_cmpx_lt_u32_e32 3, v3
	s_cbranch_execz .LBB111_128
; %bb.127:
	v_and_b32_e32 v4, 1, v5
	v_and_b32_e32 v8, 1, v8
	v_cmp_eq_u16_e64 s5, 0, v5
	s_delay_alu instid0(VALU_DEP_3) | instskip(NEXT) | instid1(VALU_DEP_3)
	v_cmp_eq_u32_e64 s6, 1, v4
	v_cmp_eq_u32_e64 s7, 1, v8
	s_delay_alu instid0(VALU_DEP_3) | instskip(SKIP_1) | instid1(VALU_DEP_3)
	v_cndmask_b32_e64 v5, 0, v6, s5
	v_cndmask_b32_e64 v4, 0, v7, s5
	s_or_b32 s6, s6, s7
	s_delay_alu instid0(VALU_DEP_2) | instskip(SKIP_1) | instid1(VALU_DEP_3)
	v_add_co_u32 v1, s5, v5, v1
	v_cndmask_b32_e64 v6, 0, 1, s6
	v_add_co_ci_u32_e64 v2, s5, v4, v2, s5
	v_cndmask_b32_e64 v4, 0, 1, s6
	s_delay_alu instid0(VALU_DEP_3)
	v_mov_b32_e32 v5, v6
.LBB111_128:
	s_or_b32 exec_lo, exec_lo, s8
	v_mov_b32_dpp v6, v1 row_shr:8 row_mask:0xf bank_mask:0xf
	v_mov_b32_dpp v7, v2 row_shr:8 row_mask:0xf bank_mask:0xf
	;; [unrolled: 1-line block ×3, first 2 shown]
	s_mov_b32 s8, exec_lo
	v_cmpx_lt_u32_e32 7, v3
	s_cbranch_execz .LBB111_130
; %bb.129:
	v_and_b32_e32 v3, 1, v5
	v_and_b32_e32 v4, 1, v8
	v_cmp_eq_u16_e64 s5, 0, v5
	s_delay_alu instid0(VALU_DEP_3) | instskip(NEXT) | instid1(VALU_DEP_3)
	v_cmp_eq_u32_e64 s6, 1, v3
	v_cmp_eq_u32_e64 s7, 1, v4
	s_delay_alu instid0(VALU_DEP_3) | instskip(SKIP_1) | instid1(VALU_DEP_3)
	v_cndmask_b32_e64 v4, 0, v6, s5
	v_cndmask_b32_e64 v3, 0, v7, s5
	s_or_b32 s6, s6, s7
	s_delay_alu instid0(VALU_DEP_2) | instskip(SKIP_1) | instid1(VALU_DEP_3)
	v_add_co_u32 v1, s5, v4, v1
	v_cndmask_b32_e64 v5, 0, 1, s6
	v_add_co_ci_u32_e64 v2, s5, v3, v2, s5
	v_cndmask_b32_e64 v4, 0, 1, s6
.LBB111_130:
	s_or_b32 exec_lo, exec_lo, s8
	ds_swizzle_b32 v3, v1 offset:swizzle(BROADCAST,32,15)
	ds_swizzle_b32 v6, v2 offset:swizzle(BROADCAST,32,15)
	;; [unrolled: 1-line block ×3, first 2 shown]
	v_and_b32_e32 v7, 16, v52
	s_mov_b32 s8, exec_lo
	s_delay_alu instid0(VALU_DEP_1)
	v_cmpx_ne_u32_e32 0, v7
	s_cbranch_execz .LBB111_132
; %bb.131:
	v_and_b32_e32 v7, 1, v5
	s_waitcnt lgkmcnt(0)
	v_and_b32_e32 v4, 1, v4
	v_cmp_eq_u16_e64 s5, 0, v5
	s_delay_alu instid0(VALU_DEP_3) | instskip(NEXT) | instid1(VALU_DEP_3)
	v_cmp_eq_u32_e64 s6, 1, v7
	v_cmp_eq_u32_e64 s7, 1, v4
	s_delay_alu instid0(VALU_DEP_3) | instskip(SKIP_1) | instid1(VALU_DEP_3)
	v_cndmask_b32_e64 v3, 0, v3, s5
	v_cndmask_b32_e64 v4, 0, v6, s5
	s_or_b32 s5, s6, s7
	s_delay_alu instid0(SALU_CYCLE_1) | instskip(NEXT) | instid1(VALU_DEP_3)
	v_cndmask_b32_e64 v5, 0, 1, s5
	v_add_co_u32 v1, s5, v3, v1
	s_delay_alu instid0(VALU_DEP_1)
	v_add_co_ci_u32_e64 v2, s5, v4, v2, s5
.LBB111_132:
	s_or_b32 exec_lo, exec_lo, s8
	s_waitcnt lgkmcnt(0)
	v_or_b32_e32 v3, 31, v0
	s_mov_b32 s6, exec_lo
	s_delay_alu instid0(VALU_DEP_1)
	v_cmpx_eq_u32_e64 v3, v0
	s_cbranch_execz .LBB111_134
; %bb.133:
	v_lshlrev_b32_e32 v3, 4, v45
	ds_store_b64 v3, v[1:2]
	ds_store_b8 v3, v5 offset:8
.LBB111_134:
	s_or_b32 exec_lo, exec_lo, s6
	s_delay_alu instid0(SALU_CYCLE_1)
	s_mov_b32 s8, exec_lo
	s_waitcnt lgkmcnt(0)
	s_barrier
	buffer_gl0_inv
	v_cmpx_gt_u32_e32 8, v0
	s_cbranch_execz .LBB111_142
; %bb.135:
	v_lshlrev_b32_e32 v6, 4, v0
	s_mov_b32 s6, exec_lo
	ds_load_b64 v[3:4], v6
	ds_load_b32 v10, v6 offset:8
	v_and_b32_e32 v7, 7, v52
	s_waitcnt lgkmcnt(1)
	v_mov_b32_dpp v12, v3 row_shr:1 row_mask:0xf bank_mask:0xf
	s_waitcnt lgkmcnt(0)
	v_mov_b32_e32 v8, v10
	v_mov_b32_dpp v27, v4 row_shr:1 row_mask:0xf bank_mask:0xf
	v_and_b32_e32 v9, 0xffffff00, v10
	v_mov_b32_dpp v28, v10 row_shr:1 row_mask:0xf bank_mask:0xf
	v_mov_b32_e32 v11, v10
	v_cmpx_ne_u32_e32 0, v7
; %bb.136:
	v_and_b32_e32 v8, 0xff, v10
	s_delay_alu instid0(VALU_DEP_4) | instskip(NEXT) | instid1(VALU_DEP_2)
	v_or_b32_e32 v10, v28, v10
	v_cmp_eq_u16_e64 s5, 0, v8
	s_delay_alu instid0(VALU_DEP_2) | instskip(SKIP_1) | instid1(VALU_DEP_3)
	v_and_b32_e32 v11, 1, v10
	v_and_b32_e32 v8, 1, v10
	v_cndmask_b32_e64 v12, 0, v12, s5
	v_cndmask_b32_e64 v27, 0, v27, s5
	s_delay_alu instid0(VALU_DEP_4) | instskip(NEXT) | instid1(VALU_DEP_3)
	v_or_b32_e32 v10, v11, v9
	v_add_co_u32 v3, s5, v12, v3
	s_delay_alu instid0(VALU_DEP_1)
	v_add_co_ci_u32_e64 v4, s5, v27, v4, s5
; %bb.137:
	s_or_b32 exec_lo, exec_lo, s6
	s_delay_alu instid0(VALU_DEP_2) | instskip(NEXT) | instid1(VALU_DEP_2)
	v_mov_b32_dpp v12, v3 row_shr:2 row_mask:0xf bank_mask:0xf
	v_mov_b32_dpp v27, v4 row_shr:2 row_mask:0xf bank_mask:0xf
	;; [unrolled: 1-line block ×3, first 2 shown]
	s_mov_b32 s9, exec_lo
	v_cmpx_lt_u32_e32 1, v7
	s_cbranch_execz .LBB111_139
; %bb.138:
	v_and_b32_e32 v8, 1, v11
	v_and_b32_e32 v10, 0xff, v11
	;; [unrolled: 1-line block ×3, first 2 shown]
	s_delay_alu instid0(VALU_DEP_3) | instskip(NEXT) | instid1(VALU_DEP_3)
	v_cmp_eq_u32_e64 s5, 1, v8
	v_cmp_eq_u16_e64 s6, 0, v10
	s_delay_alu instid0(VALU_DEP_3) | instskip(NEXT) | instid1(VALU_DEP_2)
	v_cmp_eq_u32_e64 s7, 1, v11
	v_cndmask_b32_e64 v11, 0, v12, s6
	s_delay_alu instid0(VALU_DEP_2) | instskip(SKIP_4) | instid1(VALU_DEP_1)
	s_or_b32 s5, s5, s7
	v_cndmask_b32_e64 v10, 0, v27, s6
	v_cndmask_b32_e64 v8, 0, 1, s5
	;; [unrolled: 1-line block ×3, first 2 shown]
	v_add_co_u32 v3, s5, v11, v3
	v_add_co_ci_u32_e64 v4, s5, v10, v4, s5
	s_delay_alu instid0(VALU_DEP_4) | instskip(NEXT) | instid1(VALU_DEP_4)
	v_mov_b32_e32 v11, v8
	v_or_b32_e32 v10, v9, v12
.LBB111_139:
	s_or_b32 exec_lo, exec_lo, s9
	v_mov_b32_dpp v9, v3 row_shr:4 row_mask:0xf bank_mask:0xf
	v_mov_b32_dpp v12, v4 row_shr:4 row_mask:0xf bank_mask:0xf
	s_delay_alu instid0(VALU_DEP_3)
	v_mov_b32_dpp v10, v10 row_shr:4 row_mask:0xf bank_mask:0xf
	s_mov_b32 s9, exec_lo
	v_cmpx_lt_u32_e32 3, v7
	s_cbranch_execz .LBB111_141
; %bb.140:
	v_and_b32_e32 v7, 0xff, v11
	v_and_b32_e32 v8, 1, v11
	;; [unrolled: 1-line block ×3, first 2 shown]
	s_delay_alu instid0(VALU_DEP_3) | instskip(NEXT) | instid1(VALU_DEP_3)
	v_cmp_eq_u16_e64 s5, 0, v7
	v_cmp_eq_u32_e64 s6, 1, v8
	s_delay_alu instid0(VALU_DEP_3) | instskip(NEXT) | instid1(VALU_DEP_3)
	v_cmp_eq_u32_e64 s7, 1, v10
	v_cndmask_b32_e64 v9, 0, v9, s5
	v_cndmask_b32_e64 v7, 0, v12, s5
	s_delay_alu instid0(VALU_DEP_3) | instskip(NEXT) | instid1(SALU_CYCLE_1)
	s_or_b32 s5, s6, s7
	v_cndmask_b32_e64 v8, 0, 1, s5
	s_delay_alu instid0(VALU_DEP_3) | instskip(NEXT) | instid1(VALU_DEP_1)
	v_add_co_u32 v3, s5, v9, v3
	v_add_co_ci_u32_e64 v4, s5, v7, v4, s5
.LBB111_141:
	s_or_b32 exec_lo, exec_lo, s9
	ds_store_b64 v6, v[3:4]
	ds_store_b8 v6, v8 offset:8
.LBB111_142:
	s_or_b32 exec_lo, exec_lo, s8
	v_dual_mov_b32 v3, s26 :: v_dual_mov_b32 v4, s27
	s_mov_b32 s6, exec_lo
	s_waitcnt lgkmcnt(0)
	s_barrier
	buffer_gl0_inv
	v_cmpx_lt_u32_e32 31, v0
	s_cbranch_execz .LBB111_144
; %bb.143:
	v_lshl_add_u32 v3, v45, 4, -16
	ds_load_u8 v6, v3 offset:8
	ds_load_b64 v[3:4], v3
	s_waitcnt lgkmcnt(1)
	v_cmp_eq_u16_e64 s5, 0, v6
	s_delay_alu instid0(VALU_DEP_1) | instskip(SKIP_2) | instid1(VALU_DEP_2)
	v_cndmask_b32_e64 v7, 0, s26, s5
	v_cndmask_b32_e64 v6, 0, s27, s5
	s_waitcnt lgkmcnt(0)
	v_add_co_u32 v3, s5, v7, v3
	s_delay_alu instid0(VALU_DEP_1)
	v_add_co_ci_u32_e64 v4, s5, v6, v4, s5
.LBB111_144:
	s_or_b32 exec_lo, exec_lo, s6
	v_cmp_eq_u16_e64 s5, 0, v5
	v_add_nc_u32_e32 v5, -1, v52
	s_delay_alu instid0(VALU_DEP_2) | instskip(SKIP_1) | instid1(VALU_DEP_3)
	v_cndmask_b32_e64 v6, 0, v4, s5
	v_cndmask_b32_e64 v7, 0, v3, s5
	v_cmp_gt_i32_e64 s5, 0, v5
	s_delay_alu instid0(VALU_DEP_1) | instskip(NEXT) | instid1(VALU_DEP_3)
	v_cndmask_b32_e64 v5, v5, v52, s5
	v_add_co_u32 v1, s5, v7, v1
	s_delay_alu instid0(VALU_DEP_1) | instskip(NEXT) | instid1(VALU_DEP_3)
	v_add_co_ci_u32_e64 v2, s5, v6, v2, s5
	v_lshlrev_b32_e32 v5, 2, v5
	v_cmp_eq_u32_e64 s5, 0, v52
	ds_bpermute_b32 v2, v5, v2
	ds_bpermute_b32 v1, v5, v1
	s_waitcnt lgkmcnt(1)
	v_cndmask_b32_e64 v30, v2, v4, s5
	s_waitcnt lgkmcnt(0)
	v_cndmask_b32_e64 v29, v1, v3, s5
	v_cmp_eq_u32_e64 s5, 0, v0
	v_and_b32_e32 v1, 0xff, v39
	s_delay_alu instid0(VALU_DEP_2) | instskip(NEXT) | instid1(VALU_DEP_2)
	v_cndmask_b32_e64 v2, v29, s26, s5
	v_cmp_eq_u16_e64 s6, 0, v1
	v_cndmask_b32_e64 v3, v30, s27, s5
	s_delay_alu instid0(VALU_DEP_2) | instskip(NEXT) | instid1(VALU_DEP_2)
	v_cndmask_b32_e64 v2, 0, v2, s6
	v_cndmask_b32_e64 v1, 0, v3, s6
	s_delay_alu instid0(VALU_DEP_2) | instskip(NEXT) | instid1(VALU_DEP_1)
	v_add_co_u32 v3, s6, v2, v13
	v_add_co_ci_u32_e64 v4, s6, v1, v14, s6
	s_delay_alu instid0(VALU_DEP_2) | instskip(NEXT) | instid1(VALU_DEP_2)
	v_cndmask_b32_e64 v1, 0, v3, s3
	v_cndmask_b32_e64 v2, 0, v4, s3
	s_delay_alu instid0(VALU_DEP_2) | instskip(NEXT) | instid1(VALU_DEP_1)
	v_add_co_u32 v5, s3, v1, v17
	v_add_co_ci_u32_e64 v6, s3, v2, v18, s3
	;; [unrolled: 6-line block ×5, first 2 shown]
	s_delay_alu instid0(VALU_DEP_1) | instskip(NEXT) | instid1(VALU_DEP_1)
	v_dual_cndmask_b32 v1, 0, v33 :: v_dual_cndmask_b32 v2, 0, v34
	v_add_co_u32 v35, vcc_lo, v1, v25
	s_delay_alu instid0(VALU_DEP_2) | instskip(NEXT) | instid1(VALU_DEP_2)
	v_add_co_ci_u32_e32 v36, vcc_lo, v2, v26, vcc_lo
	v_cndmask_b32_e64 v37, 0, v35, s4
	s_delay_alu instid0(VALU_DEP_2)
	v_cndmask_b32_e64 v38, 0, v36, s4
	s_and_saveexec_b32 s0, s5
	s_cbranch_execz .LBB111_146
; %bb.145:
	v_dual_mov_b32 v7, 0 :: v_dual_mov_b32 v30, s27
	v_mov_b32_e32 v11, 2
	v_mov_b32_e32 v29, s26
	ds_load_u8 v8, v7 offset:120
	ds_load_b64 v[1:2], v7 offset:112
	s_waitcnt lgkmcnt(1)
	v_cmp_eq_u16_e32 vcc_lo, 0, v8
	s_and_b32 s1, vcc_lo, exec_lo
	s_cselect_b32 s2, s26, 0
	s_cselect_b32 s1, s27, 0
	s_waitcnt lgkmcnt(0)
	v_add_co_u32 v1, vcc_lo, s2, v1
	v_add_co_ci_u32_e32 v2, vcc_lo, s1, v2, vcc_lo
	s_clause 0x1
	global_store_b64 v7, v[1:2], s[18:19] offset:512
	global_store_b8 v7, v8, s[18:19] offset:520
	s_waitcnt_vscnt null, 0x0
	buffer_gl1_inv
	buffer_gl0_inv
	global_store_b8 v7, v11, s[20:21] offset:32
.LBB111_146:
	s_or_b32 exec_lo, exec_lo, s0
.LBB111_147:
	v_add_co_u32 v7, vcc_lo, v37, v15
	v_add_co_ci_u32_e32 v8, vcc_lo, v38, v16, vcc_lo
	v_lshlrev_b32_e32 v27, 1, v0
	v_lshlrev_b32_e32 v2, 3, v0
	s_add_u32 s0, s24, s12
	s_addc_u32 s1, s25, s13
	s_and_b32 vcc_lo, exec_lo, s11
	s_cbranch_vccz .LBB111_157
; %bb.148:
	v_and_b32_e32 v1, 0x1f8, v27
	v_lshrrev_b32_e32 v11, 5, v47
	v_lshrrev_b32_e32 v12, 5, v46
	s_waitcnt_vscnt null, 0x0
	s_barrier
	v_lshl_add_u32 v1, v0, 6, v1
	buffer_gl0_inv
	v_lshrrev_b32_e32 v13, 5, v43
	v_lshrrev_b32_e32 v14, 5, v42
	;; [unrolled: 1-line block ×3, first 2 shown]
	ds_store_2addr_b64 v1, v[29:30], v[3:4] offset1:1
	ds_store_2addr_b64 v1, v[5:6], v[31:32] offset0:2 offset1:3
	ds_store_2addr_b64 v1, v[9:10], v[33:34] offset0:4 offset1:5
	;; [unrolled: 1-line block ×3, first 2 shown]
	v_add_lshl_u32 v1, v11, v0, 3
	v_add_lshl_u32 v11, v12, v0, 3
	v_lshrrev_b32_e32 v12, 5, v44
	v_lshrrev_b32_e32 v16, 5, v40
	v_add_lshl_u32 v13, v13, v0, 3
	v_add_lshl_u32 v14, v14, v0, 3
	s_waitcnt lgkmcnt(0)
	v_add_lshl_u32 v12, v12, v0, 3
	s_barrier
	buffer_gl0_inv
	v_add_lshl_u32 v15, v15, v0, 3
	v_add_lshl_u32 v16, v16, v0, 3
	ds_load_b64 v[25:26], v1 offset:2048
	ds_load_b64 v[23:24], v11 offset:4096
	;; [unrolled: 1-line block ×7, first 2 shown]
	v_add_co_u32 v15, s3, s0, v2
	v_mov_b32_e32 v1, 0
	v_add_co_ci_u32_e64 v16, null, s1, 0, s3
	s_lshl_b32 s2, s10, 11
	s_mov_b32 s3, exec_lo
	s_sub_i32 s2, s22, s2
	s_delay_alu instid0(SALU_CYCLE_1)
	v_cmpx_gt_u32_e64 s2, v0
	s_cbranch_execnz .LBB111_169
; %bb.149:
	s_or_b32 exec_lo, exec_lo, s3
	s_delay_alu instid0(SALU_CYCLE_1)
	s_mov_b32 s3, exec_lo
	v_cmpx_gt_u32_e64 s2, v47
	s_cbranch_execnz .LBB111_170
.LBB111_150:
	s_or_b32 exec_lo, exec_lo, s3
	s_delay_alu instid0(SALU_CYCLE_1)
	s_mov_b32 s3, exec_lo
	v_cmpx_gt_u32_e64 s2, v46
	s_cbranch_execnz .LBB111_171
.LBB111_151:
	s_or_b32 exec_lo, exec_lo, s3
	s_delay_alu instid0(SALU_CYCLE_1)
	s_mov_b32 s3, exec_lo
	v_cmpx_gt_u32_e64 s2, v44
	s_cbranch_execnz .LBB111_172
.LBB111_152:
	s_or_b32 exec_lo, exec_lo, s3
	s_delay_alu instid0(SALU_CYCLE_1)
	s_mov_b32 s3, exec_lo
	v_cmpx_gt_u32_e64 s2, v43
	s_cbranch_execnz .LBB111_173
.LBB111_153:
	s_or_b32 exec_lo, exec_lo, s3
	s_delay_alu instid0(SALU_CYCLE_1)
	s_mov_b32 s3, exec_lo
	v_cmpx_gt_u32_e64 s2, v42
	s_cbranch_execnz .LBB111_174
.LBB111_154:
	s_or_b32 exec_lo, exec_lo, s3
	s_delay_alu instid0(SALU_CYCLE_1)
	s_mov_b32 s3, exec_lo
	v_cmpx_gt_u32_e64 s2, v41
	s_cbranch_execz .LBB111_156
.LBB111_155:
	v_add_co_u32 v15, vcc_lo, 0x3000, v15
	v_add_co_ci_u32_e32 v16, vcc_lo, 0, v16, vcc_lo
	s_waitcnt lgkmcnt(1)
	global_store_b64 v[15:16], v[13:14], off
.LBB111_156:
	s_or_b32 exec_lo, exec_lo, s3
	v_cmp_gt_u32_e64 s2, s2, v40
	s_branch .LBB111_159
.LBB111_157:
	s_mov_b32 s2, 0
                                        ; implicit-def: $vgpr11_vgpr12
	s_cbranch_execz .LBB111_159
; %bb.158:
	v_and_b32_e32 v1, 0x1f8, v27
	s_waitcnt lgkmcnt(0)
	v_lshrrev_b32_e32 v11, 5, v47
	s_waitcnt_vscnt null, 0x0
	s_barrier
	buffer_gl0_inv
	v_lshl_add_u32 v1, v0, 6, v1
	v_add_co_u32 v23, s3, s0, v2
	s_delay_alu instid0(VALU_DEP_1)
	v_add_co_ci_u32_e64 v24, null, s1, 0, s3
	ds_store_2addr_b64 v1, v[29:30], v[3:4] offset1:1
	ds_store_2addr_b64 v1, v[5:6], v[31:32] offset0:2 offset1:3
	ds_store_2addr_b64 v1, v[9:10], v[33:34] offset0:4 offset1:5
	;; [unrolled: 1-line block ×3, first 2 shown]
	v_add_lshl_u32 v3, v45, v0, 3
	v_add_lshl_u32 v5, v11, v0, 3
	s_waitcnt lgkmcnt(0)
	s_barrier
	buffer_gl0_inv
	ds_load_b64 v[3:4], v3
	ds_load_b64 v[5:6], v5 offset:2048
	v_lshrrev_b32_e32 v1, 5, v46
	v_lshrrev_b32_e32 v7, 5, v44
	;; [unrolled: 1-line block ×6, first 2 shown]
	v_add_lshl_u32 v1, v1, v0, 3
	v_add_lshl_u32 v12, v7, v0, 3
	;; [unrolled: 1-line block ×6, first 2 shown]
	ds_load_b64 v[7:8], v1 offset:4096
	ds_load_b64 v[9:10], v12 offset:6144
	;; [unrolled: 1-line block ×6, first 2 shown]
	v_mov_b32_e32 v1, 0
	s_or_b32 s2, s2, exec_lo
	s_waitcnt lgkmcnt(6)
	global_store_b64 v2, v[5:6], s[0:1] offset:2048
	v_add_co_u32 v5, vcc_lo, 0x1000, v23
	v_add_co_ci_u32_e32 v6, vcc_lo, 0, v24, vcc_lo
	v_add_co_u32 v19, vcc_lo, v23, 0x2000
	v_add_co_ci_u32_e32 v20, vcc_lo, 0, v24, vcc_lo
	;; [unrolled: 2-line block ×3, first 2 shown]
	global_store_b64 v2, v[3:4], s[0:1]
	s_waitcnt lgkmcnt(3)
	global_store_b64 v[19:20], v[13:14], off
	v_add_co_u32 v2, vcc_lo, 0x3000, v23
	v_add_co_ci_u32_e32 v3, vcc_lo, 0, v24, vcc_lo
	global_store_b64 v[5:6], v[9:10], off offset:2048
	s_waitcnt lgkmcnt(2)
	s_clause 0x1
	global_store_b64 v[21:22], v[15:16], off offset:2048
	global_store_b64 v[19:20], v[7:8], off offset:-4096
	s_waitcnt lgkmcnt(1)
	global_store_b64 v[2:3], v[17:18], off
.LBB111_159:
	s_delay_alu instid0(VALU_DEP_1)
	s_and_saveexec_b32 s3, s2
	s_cbranch_execnz .LBB111_161
; %bb.160:
	s_nop 0
	s_sendmsg sendmsg(MSG_DEALLOC_VGPRS)
	s_endpgm
.LBB111_161:
	v_lshlrev_b64 v[0:1], 3, v[0:1]
	s_delay_alu instid0(VALU_DEP_1) | instskip(NEXT) | instid1(VALU_DEP_2)
	v_add_co_u32 v0, vcc_lo, s0, v0
	v_add_co_ci_u32_e32 v1, vcc_lo, s1, v1, vcc_lo
	s_delay_alu instid0(VALU_DEP_2) | instskip(NEXT) | instid1(VALU_DEP_2)
	v_add_co_u32 v0, vcc_lo, 0x3000, v0
	v_add_co_ci_u32_e32 v1, vcc_lo, 0, v1, vcc_lo
	s_waitcnt lgkmcnt(0)
	global_store_b64 v[0:1], v[11:12], off offset:2048
	s_nop 0
	s_sendmsg sendmsg(MSG_DEALLOC_VGPRS)
	s_endpgm
.LBB111_162:
	global_load_b64 v[1:2], v[3:4], off
	s_or_b32 exec_lo, exec_lo, s7
                                        ; implicit-def: $vgpr13_vgpr14
	s_and_saveexec_b32 s7, s0
	s_cbranch_execz .LBB111_21
.LBB111_163:
	global_load_b64 v[13:14], v[3:4], off offset:2048
	s_or_b32 exec_lo, exec_lo, s7
                                        ; implicit-def: $vgpr15_vgpr16
	s_and_saveexec_b32 s0, s3
	s_cbranch_execz .LBB111_22
.LBB111_164:
	v_add_co_u32 v15, vcc_lo, 0x1000, v3
	v_add_co_ci_u32_e32 v16, vcc_lo, 0, v4, vcc_lo
	global_load_b64 v[15:16], v[15:16], off
	s_or_b32 exec_lo, exec_lo, s0
                                        ; implicit-def: $vgpr17_vgpr18
	s_and_saveexec_b32 s0, s2
	s_cbranch_execz .LBB111_23
.LBB111_165:
	v_add_co_u32 v17, vcc_lo, 0x1000, v3
	v_add_co_ci_u32_e32 v18, vcc_lo, 0, v4, vcc_lo
	global_load_b64 v[17:18], v[17:18], off offset:2048
	s_or_b32 exec_lo, exec_lo, s0
                                        ; implicit-def: $vgpr19_vgpr20
	s_and_saveexec_b32 s0, s1
	s_cbranch_execz .LBB111_24
.LBB111_166:
	v_add_co_u32 v19, vcc_lo, 0x2000, v3
	v_add_co_ci_u32_e32 v20, vcc_lo, 0, v4, vcc_lo
	global_load_b64 v[19:20], v[19:20], off
	s_or_b32 exec_lo, exec_lo, s0
                                        ; implicit-def: $vgpr21_vgpr22
	s_and_saveexec_b32 s0, s4
	s_cbranch_execz .LBB111_25
.LBB111_167:
	v_add_co_u32 v21, vcc_lo, 0x2000, v3
	v_add_co_ci_u32_e32 v22, vcc_lo, 0, v4, vcc_lo
	global_load_b64 v[21:22], v[21:22], off offset:2048
	s_or_b32 exec_lo, exec_lo, s0
                                        ; implicit-def: $vgpr23_vgpr24
	s_and_saveexec_b32 s0, s5
	s_cbranch_execz .LBB111_26
.LBB111_168:
	v_add_co_u32 v23, vcc_lo, 0x3000, v3
	v_add_co_ci_u32_e32 v24, vcc_lo, 0, v4, vcc_lo
	global_load_b64 v[23:24], v[23:24], off
	s_or_b32 exec_lo, exec_lo, s0
                                        ; implicit-def: $vgpr25_vgpr26
	s_and_saveexec_b32 s0, s6
	s_cbranch_execnz .LBB111_27
	s_branch .LBB111_28
.LBB111_169:
	v_add_lshl_u32 v28, v45, v0, 3
	ds_load_b64 v[37:38], v28
	s_waitcnt lgkmcnt(0)
	global_store_b64 v[15:16], v[37:38], off
	s_or_b32 exec_lo, exec_lo, s3
	s_delay_alu instid0(SALU_CYCLE_1)
	s_mov_b32 s3, exec_lo
	v_cmpx_gt_u32_e64 s2, v47
	s_cbranch_execz .LBB111_150
.LBB111_170:
	s_waitcnt lgkmcnt(6)
	global_store_b64 v[15:16], v[25:26], off offset:2048
	s_or_b32 exec_lo, exec_lo, s3
	s_delay_alu instid0(SALU_CYCLE_1)
	s_mov_b32 s3, exec_lo
	v_cmpx_gt_u32_e64 s2, v46
	s_cbranch_execz .LBB111_151
.LBB111_171:
	s_waitcnt lgkmcnt(6)
	v_add_co_u32 v25, vcc_lo, 0x1000, v15
	v_add_co_ci_u32_e32 v26, vcc_lo, 0, v16, vcc_lo
	s_waitcnt lgkmcnt(5)
	global_store_b64 v[25:26], v[23:24], off
	s_or_b32 exec_lo, exec_lo, s3
	s_delay_alu instid0(SALU_CYCLE_1)
	s_mov_b32 s3, exec_lo
	v_cmpx_gt_u32_e64 s2, v44
	s_cbranch_execz .LBB111_152
.LBB111_172:
	s_waitcnt lgkmcnt(5)
	v_add_co_u32 v23, vcc_lo, 0x1000, v15
	v_add_co_ci_u32_e32 v24, vcc_lo, 0, v16, vcc_lo
	s_waitcnt lgkmcnt(4)
	global_store_b64 v[23:24], v[21:22], off offset:2048
	s_or_b32 exec_lo, exec_lo, s3
	s_delay_alu instid0(SALU_CYCLE_1)
	s_mov_b32 s3, exec_lo
	v_cmpx_gt_u32_e64 s2, v43
	s_cbranch_execz .LBB111_153
.LBB111_173:
	s_waitcnt lgkmcnt(4)
	v_add_co_u32 v21, vcc_lo, 0x2000, v15
	v_add_co_ci_u32_e32 v22, vcc_lo, 0, v16, vcc_lo
	s_waitcnt lgkmcnt(3)
	global_store_b64 v[21:22], v[19:20], off
	s_or_b32 exec_lo, exec_lo, s3
	s_delay_alu instid0(SALU_CYCLE_1)
	s_mov_b32 s3, exec_lo
	v_cmpx_gt_u32_e64 s2, v42
	s_cbranch_execz .LBB111_154
.LBB111_174:
	s_waitcnt lgkmcnt(3)
	v_add_co_u32 v19, vcc_lo, 0x2000, v15
	v_add_co_ci_u32_e32 v20, vcc_lo, 0, v16, vcc_lo
	s_waitcnt lgkmcnt(2)
	global_store_b64 v[19:20], v[17:18], off offset:2048
	s_or_b32 exec_lo, exec_lo, s3
	s_delay_alu instid0(SALU_CYCLE_1)
	s_mov_b32 s3, exec_lo
	v_cmpx_gt_u32_e64 s2, v41
	s_cbranch_execnz .LBB111_155
	s_branch .LBB111_156
	.section	.rodata,"a",@progbits
	.p2align	6, 0x0
	.amdhsa_kernel _ZN7rocprim6detail25device_scan_by_key_kernelILNS0_25lookback_scan_determinismE0ELb1ENS0_26wrapped_scan_by_key_configINS_14default_configEimEEPiN6hipcub22TransformInputIteratorImNS7_6CastOpImEEPmlEESB_mNS7_8EqualityENS7_3SumENS0_19lookback_scan_stateINS_5tupleIJmbEEELb0ELb0EEEmEEvT2_T3_T4_T5_T6_T7_T8_mmmPKNSG_IJT9_bEEE
		.amdhsa_group_segment_fixed_size 16896
		.amdhsa_private_segment_fixed_size 0
		.amdhsa_kernarg_size 104
		.amdhsa_user_sgpr_count 15
		.amdhsa_user_sgpr_dispatch_ptr 0
		.amdhsa_user_sgpr_queue_ptr 0
		.amdhsa_user_sgpr_kernarg_segment_ptr 1
		.amdhsa_user_sgpr_dispatch_id 0
		.amdhsa_user_sgpr_private_segment_size 0
		.amdhsa_wavefront_size32 1
		.amdhsa_uses_dynamic_stack 0
		.amdhsa_enable_private_segment 0
		.amdhsa_system_sgpr_workgroup_id_x 1
		.amdhsa_system_sgpr_workgroup_id_y 0
		.amdhsa_system_sgpr_workgroup_id_z 0
		.amdhsa_system_sgpr_workgroup_info 0
		.amdhsa_system_vgpr_workitem_id 0
		.amdhsa_next_free_vgpr 73
		.amdhsa_next_free_sgpr 40
		.amdhsa_reserve_vcc 1
		.amdhsa_float_round_mode_32 0
		.amdhsa_float_round_mode_16_64 0
		.amdhsa_float_denorm_mode_32 3
		.amdhsa_float_denorm_mode_16_64 3
		.amdhsa_dx10_clamp 1
		.amdhsa_ieee_mode 1
		.amdhsa_fp16_overflow 0
		.amdhsa_workgroup_processor_mode 1
		.amdhsa_memory_ordered 1
		.amdhsa_forward_progress 0
		.amdhsa_shared_vgpr_count 0
		.amdhsa_exception_fp_ieee_invalid_op 0
		.amdhsa_exception_fp_denorm_src 0
		.amdhsa_exception_fp_ieee_div_zero 0
		.amdhsa_exception_fp_ieee_overflow 0
		.amdhsa_exception_fp_ieee_underflow 0
		.amdhsa_exception_fp_ieee_inexact 0
		.amdhsa_exception_int_div_zero 0
	.end_amdhsa_kernel
	.section	.text._ZN7rocprim6detail25device_scan_by_key_kernelILNS0_25lookback_scan_determinismE0ELb1ENS0_26wrapped_scan_by_key_configINS_14default_configEimEEPiN6hipcub22TransformInputIteratorImNS7_6CastOpImEEPmlEESB_mNS7_8EqualityENS7_3SumENS0_19lookback_scan_stateINS_5tupleIJmbEEELb0ELb0EEEmEEvT2_T3_T4_T5_T6_T7_T8_mmmPKNSG_IJT9_bEEE,"axG",@progbits,_ZN7rocprim6detail25device_scan_by_key_kernelILNS0_25lookback_scan_determinismE0ELb1ENS0_26wrapped_scan_by_key_configINS_14default_configEimEEPiN6hipcub22TransformInputIteratorImNS7_6CastOpImEEPmlEESB_mNS7_8EqualityENS7_3SumENS0_19lookback_scan_stateINS_5tupleIJmbEEELb0ELb0EEEmEEvT2_T3_T4_T5_T6_T7_T8_mmmPKNSG_IJT9_bEEE,comdat
.Lfunc_end111:
	.size	_ZN7rocprim6detail25device_scan_by_key_kernelILNS0_25lookback_scan_determinismE0ELb1ENS0_26wrapped_scan_by_key_configINS_14default_configEimEEPiN6hipcub22TransformInputIteratorImNS7_6CastOpImEEPmlEESB_mNS7_8EqualityENS7_3SumENS0_19lookback_scan_stateINS_5tupleIJmbEEELb0ELb0EEEmEEvT2_T3_T4_T5_T6_T7_T8_mmmPKNSG_IJT9_bEEE, .Lfunc_end111-_ZN7rocprim6detail25device_scan_by_key_kernelILNS0_25lookback_scan_determinismE0ELb1ENS0_26wrapped_scan_by_key_configINS_14default_configEimEEPiN6hipcub22TransformInputIteratorImNS7_6CastOpImEEPmlEESB_mNS7_8EqualityENS7_3SumENS0_19lookback_scan_stateINS_5tupleIJmbEEELb0ELb0EEEmEEvT2_T3_T4_T5_T6_T7_T8_mmmPKNSG_IJT9_bEEE
                                        ; -- End function
	.section	.AMDGPU.csdata,"",@progbits
; Kernel info:
; codeLenInByte = 11780
; NumSgprs: 42
; NumVgprs: 73
; ScratchSize: 0
; MemoryBound: 0
; FloatMode: 240
; IeeeMode: 1
; LDSByteSize: 16896 bytes/workgroup (compile time only)
; SGPRBlocks: 5
; VGPRBlocks: 9
; NumSGPRsForWavesPerEU: 42
; NumVGPRsForWavesPerEU: 73
; Occupancy: 14
; WaveLimiterHint : 1
; COMPUTE_PGM_RSRC2:SCRATCH_EN: 0
; COMPUTE_PGM_RSRC2:USER_SGPR: 15
; COMPUTE_PGM_RSRC2:TRAP_HANDLER: 0
; COMPUTE_PGM_RSRC2:TGID_X_EN: 1
; COMPUTE_PGM_RSRC2:TGID_Y_EN: 0
; COMPUTE_PGM_RSRC2:TGID_Z_EN: 0
; COMPUTE_PGM_RSRC2:TIDIG_COMP_CNT: 0
	.section	.text._ZN7rocprim6detail25device_scan_by_key_kernelILNS0_25lookback_scan_determinismE0ELb1ENS0_26wrapped_scan_by_key_configINS_14default_configEiyEEPiN6hipcub22TransformInputIteratorIyNS7_6CastOpIyEEPylEESB_yNS7_8EqualityENS7_3SumENS0_19lookback_scan_stateINS_5tupleIJybEEELb1ELb0EEEyEEvT2_T3_T4_T5_T6_T7_T8_mmmPKNSG_IJT9_bEEE,"axG",@progbits,_ZN7rocprim6detail25device_scan_by_key_kernelILNS0_25lookback_scan_determinismE0ELb1ENS0_26wrapped_scan_by_key_configINS_14default_configEiyEEPiN6hipcub22TransformInputIteratorIyNS7_6CastOpIyEEPylEESB_yNS7_8EqualityENS7_3SumENS0_19lookback_scan_stateINS_5tupleIJybEEELb1ELb0EEEyEEvT2_T3_T4_T5_T6_T7_T8_mmmPKNSG_IJT9_bEEE,comdat
	.protected	_ZN7rocprim6detail25device_scan_by_key_kernelILNS0_25lookback_scan_determinismE0ELb1ENS0_26wrapped_scan_by_key_configINS_14default_configEiyEEPiN6hipcub22TransformInputIteratorIyNS7_6CastOpIyEEPylEESB_yNS7_8EqualityENS7_3SumENS0_19lookback_scan_stateINS_5tupleIJybEEELb1ELb0EEEyEEvT2_T3_T4_T5_T6_T7_T8_mmmPKNSG_IJT9_bEEE ; -- Begin function _ZN7rocprim6detail25device_scan_by_key_kernelILNS0_25lookback_scan_determinismE0ELb1ENS0_26wrapped_scan_by_key_configINS_14default_configEiyEEPiN6hipcub22TransformInputIteratorIyNS7_6CastOpIyEEPylEESB_yNS7_8EqualityENS7_3SumENS0_19lookback_scan_stateINS_5tupleIJybEEELb1ELb0EEEyEEvT2_T3_T4_T5_T6_T7_T8_mmmPKNSG_IJT9_bEEE
	.globl	_ZN7rocprim6detail25device_scan_by_key_kernelILNS0_25lookback_scan_determinismE0ELb1ENS0_26wrapped_scan_by_key_configINS_14default_configEiyEEPiN6hipcub22TransformInputIteratorIyNS7_6CastOpIyEEPylEESB_yNS7_8EqualityENS7_3SumENS0_19lookback_scan_stateINS_5tupleIJybEEELb1ELb0EEEyEEvT2_T3_T4_T5_T6_T7_T8_mmmPKNSG_IJT9_bEEE
	.p2align	8
	.type	_ZN7rocprim6detail25device_scan_by_key_kernelILNS0_25lookback_scan_determinismE0ELb1ENS0_26wrapped_scan_by_key_configINS_14default_configEiyEEPiN6hipcub22TransformInputIteratorIyNS7_6CastOpIyEEPylEESB_yNS7_8EqualityENS7_3SumENS0_19lookback_scan_stateINS_5tupleIJybEEELb1ELb0EEEyEEvT2_T3_T4_T5_T6_T7_T8_mmmPKNSG_IJT9_bEEE,@function
_ZN7rocprim6detail25device_scan_by_key_kernelILNS0_25lookback_scan_determinismE0ELb1ENS0_26wrapped_scan_by_key_configINS_14default_configEiyEEPiN6hipcub22TransformInputIteratorIyNS7_6CastOpIyEEPylEESB_yNS7_8EqualityENS7_3SumENS0_19lookback_scan_stateINS_5tupleIJybEEELb1ELb0EEEyEEvT2_T3_T4_T5_T6_T7_T8_mmmPKNSG_IJT9_bEEE: ; @_ZN7rocprim6detail25device_scan_by_key_kernelILNS0_25lookback_scan_determinismE0ELb1ENS0_26wrapped_scan_by_key_configINS_14default_configEiyEEPiN6hipcub22TransformInputIteratorIyNS7_6CastOpIyEEPylEESB_yNS7_8EqualityENS7_3SumENS0_19lookback_scan_stateINS_5tupleIJybEEELb1ELb0EEEyEEvT2_T3_T4_T5_T6_T7_T8_mmmPKNSG_IJT9_bEEE
; %bb.0:
	s_endpgm
	.section	.rodata,"a",@progbits
	.p2align	6, 0x0
	.amdhsa_kernel _ZN7rocprim6detail25device_scan_by_key_kernelILNS0_25lookback_scan_determinismE0ELb1ENS0_26wrapped_scan_by_key_configINS_14default_configEiyEEPiN6hipcub22TransformInputIteratorIyNS7_6CastOpIyEEPylEESB_yNS7_8EqualityENS7_3SumENS0_19lookback_scan_stateINS_5tupleIJybEEELb1ELb0EEEyEEvT2_T3_T4_T5_T6_T7_T8_mmmPKNSG_IJT9_bEEE
		.amdhsa_group_segment_fixed_size 0
		.amdhsa_private_segment_fixed_size 0
		.amdhsa_kernarg_size 104
		.amdhsa_user_sgpr_count 15
		.amdhsa_user_sgpr_dispatch_ptr 0
		.amdhsa_user_sgpr_queue_ptr 0
		.amdhsa_user_sgpr_kernarg_segment_ptr 1
		.amdhsa_user_sgpr_dispatch_id 0
		.amdhsa_user_sgpr_private_segment_size 0
		.amdhsa_wavefront_size32 1
		.amdhsa_uses_dynamic_stack 0
		.amdhsa_enable_private_segment 0
		.amdhsa_system_sgpr_workgroup_id_x 1
		.amdhsa_system_sgpr_workgroup_id_y 0
		.amdhsa_system_sgpr_workgroup_id_z 0
		.amdhsa_system_sgpr_workgroup_info 0
		.amdhsa_system_vgpr_workitem_id 0
		.amdhsa_next_free_vgpr 1
		.amdhsa_next_free_sgpr 1
		.amdhsa_reserve_vcc 0
		.amdhsa_float_round_mode_32 0
		.amdhsa_float_round_mode_16_64 0
		.amdhsa_float_denorm_mode_32 3
		.amdhsa_float_denorm_mode_16_64 3
		.amdhsa_dx10_clamp 1
		.amdhsa_ieee_mode 1
		.amdhsa_fp16_overflow 0
		.amdhsa_workgroup_processor_mode 1
		.amdhsa_memory_ordered 1
		.amdhsa_forward_progress 0
		.amdhsa_shared_vgpr_count 0
		.amdhsa_exception_fp_ieee_invalid_op 0
		.amdhsa_exception_fp_denorm_src 0
		.amdhsa_exception_fp_ieee_div_zero 0
		.amdhsa_exception_fp_ieee_overflow 0
		.amdhsa_exception_fp_ieee_underflow 0
		.amdhsa_exception_fp_ieee_inexact 0
		.amdhsa_exception_int_div_zero 0
	.end_amdhsa_kernel
	.section	.text._ZN7rocprim6detail25device_scan_by_key_kernelILNS0_25lookback_scan_determinismE0ELb1ENS0_26wrapped_scan_by_key_configINS_14default_configEiyEEPiN6hipcub22TransformInputIteratorIyNS7_6CastOpIyEEPylEESB_yNS7_8EqualityENS7_3SumENS0_19lookback_scan_stateINS_5tupleIJybEEELb1ELb0EEEyEEvT2_T3_T4_T5_T6_T7_T8_mmmPKNSG_IJT9_bEEE,"axG",@progbits,_ZN7rocprim6detail25device_scan_by_key_kernelILNS0_25lookback_scan_determinismE0ELb1ENS0_26wrapped_scan_by_key_configINS_14default_configEiyEEPiN6hipcub22TransformInputIteratorIyNS7_6CastOpIyEEPylEESB_yNS7_8EqualityENS7_3SumENS0_19lookback_scan_stateINS_5tupleIJybEEELb1ELb0EEEyEEvT2_T3_T4_T5_T6_T7_T8_mmmPKNSG_IJT9_bEEE,comdat
.Lfunc_end112:
	.size	_ZN7rocprim6detail25device_scan_by_key_kernelILNS0_25lookback_scan_determinismE0ELb1ENS0_26wrapped_scan_by_key_configINS_14default_configEiyEEPiN6hipcub22TransformInputIteratorIyNS7_6CastOpIyEEPylEESB_yNS7_8EqualityENS7_3SumENS0_19lookback_scan_stateINS_5tupleIJybEEELb1ELb0EEEyEEvT2_T3_T4_T5_T6_T7_T8_mmmPKNSG_IJT9_bEEE, .Lfunc_end112-_ZN7rocprim6detail25device_scan_by_key_kernelILNS0_25lookback_scan_determinismE0ELb1ENS0_26wrapped_scan_by_key_configINS_14default_configEiyEEPiN6hipcub22TransformInputIteratorIyNS7_6CastOpIyEEPylEESB_yNS7_8EqualityENS7_3SumENS0_19lookback_scan_stateINS_5tupleIJybEEELb1ELb0EEEyEEvT2_T3_T4_T5_T6_T7_T8_mmmPKNSG_IJT9_bEEE
                                        ; -- End function
	.section	.AMDGPU.csdata,"",@progbits
; Kernel info:
; codeLenInByte = 4
; NumSgprs: 0
; NumVgprs: 0
; ScratchSize: 0
; MemoryBound: 0
; FloatMode: 240
; IeeeMode: 1
; LDSByteSize: 0 bytes/workgroup (compile time only)
; SGPRBlocks: 0
; VGPRBlocks: 0
; NumSGPRsForWavesPerEU: 1
; NumVGPRsForWavesPerEU: 1
; Occupancy: 16
; WaveLimiterHint : 0
; COMPUTE_PGM_RSRC2:SCRATCH_EN: 0
; COMPUTE_PGM_RSRC2:USER_SGPR: 15
; COMPUTE_PGM_RSRC2:TRAP_HANDLER: 0
; COMPUTE_PGM_RSRC2:TGID_X_EN: 1
; COMPUTE_PGM_RSRC2:TGID_Y_EN: 0
; COMPUTE_PGM_RSRC2:TGID_Z_EN: 0
; COMPUTE_PGM_RSRC2:TIDIG_COMP_CNT: 0
	.section	.text._ZN7rocprim6detail25device_scan_by_key_kernelILNS0_25lookback_scan_determinismE0ELb1ENS0_26wrapped_scan_by_key_configINS_14default_configEiyEEPiN6hipcub22TransformInputIteratorIyNS7_6CastOpIyEEPylEESB_yNS7_8EqualityENS7_3SumENS0_19lookback_scan_stateINS_5tupleIJybEEELb0ELb0EEEyEEvT2_T3_T4_T5_T6_T7_T8_mmmPKNSG_IJT9_bEEE,"axG",@progbits,_ZN7rocprim6detail25device_scan_by_key_kernelILNS0_25lookback_scan_determinismE0ELb1ENS0_26wrapped_scan_by_key_configINS_14default_configEiyEEPiN6hipcub22TransformInputIteratorIyNS7_6CastOpIyEEPylEESB_yNS7_8EqualityENS7_3SumENS0_19lookback_scan_stateINS_5tupleIJybEEELb0ELb0EEEyEEvT2_T3_T4_T5_T6_T7_T8_mmmPKNSG_IJT9_bEEE,comdat
	.protected	_ZN7rocprim6detail25device_scan_by_key_kernelILNS0_25lookback_scan_determinismE0ELb1ENS0_26wrapped_scan_by_key_configINS_14default_configEiyEEPiN6hipcub22TransformInputIteratorIyNS7_6CastOpIyEEPylEESB_yNS7_8EqualityENS7_3SumENS0_19lookback_scan_stateINS_5tupleIJybEEELb0ELb0EEEyEEvT2_T3_T4_T5_T6_T7_T8_mmmPKNSG_IJT9_bEEE ; -- Begin function _ZN7rocprim6detail25device_scan_by_key_kernelILNS0_25lookback_scan_determinismE0ELb1ENS0_26wrapped_scan_by_key_configINS_14default_configEiyEEPiN6hipcub22TransformInputIteratorIyNS7_6CastOpIyEEPylEESB_yNS7_8EqualityENS7_3SumENS0_19lookback_scan_stateINS_5tupleIJybEEELb0ELb0EEEyEEvT2_T3_T4_T5_T6_T7_T8_mmmPKNSG_IJT9_bEEE
	.globl	_ZN7rocprim6detail25device_scan_by_key_kernelILNS0_25lookback_scan_determinismE0ELb1ENS0_26wrapped_scan_by_key_configINS_14default_configEiyEEPiN6hipcub22TransformInputIteratorIyNS7_6CastOpIyEEPylEESB_yNS7_8EqualityENS7_3SumENS0_19lookback_scan_stateINS_5tupleIJybEEELb0ELb0EEEyEEvT2_T3_T4_T5_T6_T7_T8_mmmPKNSG_IJT9_bEEE
	.p2align	8
	.type	_ZN7rocprim6detail25device_scan_by_key_kernelILNS0_25lookback_scan_determinismE0ELb1ENS0_26wrapped_scan_by_key_configINS_14default_configEiyEEPiN6hipcub22TransformInputIteratorIyNS7_6CastOpIyEEPylEESB_yNS7_8EqualityENS7_3SumENS0_19lookback_scan_stateINS_5tupleIJybEEELb0ELb0EEEyEEvT2_T3_T4_T5_T6_T7_T8_mmmPKNSG_IJT9_bEEE,@function
_ZN7rocprim6detail25device_scan_by_key_kernelILNS0_25lookback_scan_determinismE0ELb1ENS0_26wrapped_scan_by_key_configINS_14default_configEiyEEPiN6hipcub22TransformInputIteratorIyNS7_6CastOpIyEEPylEESB_yNS7_8EqualityENS7_3SumENS0_19lookback_scan_stateINS_5tupleIJybEEELb0ELb0EEEyEEvT2_T3_T4_T5_T6_T7_T8_mmmPKNSG_IJT9_bEEE: ; @_ZN7rocprim6detail25device_scan_by_key_kernelILNS0_25lookback_scan_determinismE0ELb1ENS0_26wrapped_scan_by_key_configINS_14default_configEiyEEPiN6hipcub22TransformInputIteratorIyNS7_6CastOpIyEEPylEESB_yNS7_8EqualityENS7_3SumENS0_19lookback_scan_stateINS_5tupleIJybEEELb0ELb0EEEyEEvT2_T3_T4_T5_T6_T7_T8_mmmPKNSG_IJT9_bEEE
; %bb.0:
	s_clause 0x1
	s_load_b128 s[8:11], s[0:1], 0x0
	s_load_b128 s[36:39], s[0:1], 0x50
	s_mov_b32 s5, 0
	s_lshl_b32 s4, s15, 11
	s_load_b64 s[28:29], s[0:1], 0x60
	s_lshl_b64 s[2:3], s[4:5], 2
	s_clause 0x1
	s_load_b128 s[24:27], s[0:1], 0x18
	s_load_b256 s[16:23], s[0:1], 0x30
	v_lshlrev_b32_e32 v27, 2, v0
	s_waitcnt lgkmcnt(0)
	s_add_u32 s30, s8, s2
	s_addc_u32 s31, s9, s3
	s_lshl_b64 s[12:13], s[4:5], 3
	s_delay_alu instid0(SALU_CYCLE_1)
	s_add_u32 s8, s10, s12
	s_addc_u32 s9, s11, s13
	s_add_u32 s0, s15, s36
	s_addc_u32 s1, 0, s37
	s_add_u32 s10, s38, -1
	s_addc_u32 s11, s39, -1
	s_delay_alu instid0(SALU_CYCLE_1) | instskip(NEXT) | instid1(VALU_DEP_1)
	v_cmp_ge_u64_e64 s11, s[0:1], s[10:11]
	s_and_b32 vcc_lo, exec_lo, s11
	s_cbranch_vccz .LBB113_45
; %bb.1:
	s_load_b32 s7, s[30:31], 0x0
	s_lshl_b32 s0, s10, 11
	s_delay_alu instid0(SALU_CYCLE_1) | instskip(SKIP_1) | instid1(VALU_DEP_1)
	s_sub_i32 s14, s22, s0
	v_add_co_u32 v1, s0, s30, v27
	v_add_co_ci_u32_e64 v2, null, s31, 0, s0
	v_cmp_gt_u32_e32 vcc_lo, s14, v0
	s_waitcnt lgkmcnt(0)
	v_mov_b32_e32 v3, s7
	s_and_saveexec_b32 s0, vcc_lo
	s_cbranch_execz .LBB113_3
; %bb.2:
	global_load_b32 v3, v[1:2], off
.LBB113_3:
	s_or_b32 exec_lo, exec_lo, s0
	v_or_b32_e32 v7, 0x100, v0
	v_mov_b32_e32 v4, s7
	s_delay_alu instid0(VALU_DEP_2) | instskip(NEXT) | instid1(VALU_DEP_1)
	v_cmp_gt_u32_e64 s0, s14, v7
	s_and_saveexec_b32 s1, s0
	s_cbranch_execz .LBB113_5
; %bb.4:
	global_load_b32 v4, v[1:2], off offset:1024
.LBB113_5:
	s_or_b32 exec_lo, exec_lo, s1
	v_or_b32_e32 v9, 0x200, v0
	v_mov_b32_e32 v5, s7
	s_delay_alu instid0(VALU_DEP_2) | instskip(NEXT) | instid1(VALU_DEP_1)
	v_cmp_gt_u32_e64 s3, s14, v9
	s_and_saveexec_b32 s1, s3
	s_cbranch_execz .LBB113_7
; %bb.6:
	global_load_b32 v5, v[1:2], off offset:2048
.LBB113_7:
	;; [unrolled: 10-line block ×3, first 2 shown]
	s_or_b32 exec_lo, exec_lo, s1
	v_or_b32_e32 v12, 0x400, v0
	v_mov_b32_e32 v8, s7
	s_delay_alu instid0(VALU_DEP_2) | instskip(NEXT) | instid1(VALU_DEP_1)
	v_cmp_gt_u32_e64 s1, s14, v12
	s_and_saveexec_b32 s5, s1
	s_cbranch_execz .LBB113_11
; %bb.10:
	v_add_co_u32 v13, s4, 0x1000, v1
	s_delay_alu instid0(VALU_DEP_1)
	v_add_co_ci_u32_e64 v14, s4, 0, v2, s4
	global_load_b32 v8, v[13:14], off
.LBB113_11:
	s_or_b32 exec_lo, exec_lo, s5
	v_or_b32_e32 v14, 0x500, v0
	v_mov_b32_e32 v10, s7
	s_delay_alu instid0(VALU_DEP_2) | instskip(NEXT) | instid1(VALU_DEP_1)
	v_cmp_gt_u32_e64 s4, s14, v14
	s_and_saveexec_b32 s6, s4
	s_cbranch_execz .LBB113_13
; %bb.12:
	v_add_co_u32 v15, s5, 0x1000, v1
	s_delay_alu instid0(VALU_DEP_1)
	v_add_co_ci_u32_e64 v16, s5, 0, v2, s5
	global_load_b32 v10, v[15:16], off offset:1024
.LBB113_13:
	s_or_b32 exec_lo, exec_lo, s6
	v_or_b32_e32 v15, 0x600, v0
	v_mov_b32_e32 v13, s7
	s_delay_alu instid0(VALU_DEP_2) | instskip(NEXT) | instid1(VALU_DEP_1)
	v_cmp_gt_u32_e64 s5, s14, v15
	s_and_saveexec_b32 s23, s5
	s_cbranch_execz .LBB113_15
; %bb.14:
	v_add_co_u32 v16, s6, 0x1000, v1
	s_delay_alu instid0(VALU_DEP_1)
	v_add_co_ci_u32_e64 v17, s6, 0, v2, s6
	global_load_b32 v13, v[16:17], off offset:2048
.LBB113_15:
	s_or_b32 exec_lo, exec_lo, s23
	v_or_b32_e32 v17, 0x700, v0
	v_mov_b32_e32 v16, s7
	s_delay_alu instid0(VALU_DEP_2) | instskip(NEXT) | instid1(VALU_DEP_1)
	v_cmp_gt_u32_e64 s6, s14, v17
	s_and_saveexec_b32 s23, s6
	s_cbranch_execz .LBB113_17
; %bb.16:
	v_add_co_u32 v1, s7, 0x1000, v1
	s_delay_alu instid0(VALU_DEP_1)
	v_add_co_ci_u32_e64 v2, s7, 0, v2, s7
	global_load_b32 v16, v[1:2], off offset:3072
.LBB113_17:
	s_or_b32 exec_lo, exec_lo, s23
	v_lshrrev_b32_e32 v1, 5, v0
	v_lshrrev_b32_e32 v2, 5, v7
	;; [unrolled: 1-line block ×4, first 2 shown]
	v_lshlrev_b32_e32 v31, 3, v0
	v_add_nc_u32_e32 v34, v1, v0
	v_add_nc_u32_e32 v33, v2, v0
	;; [unrolled: 1-line block ×4, first 2 shown]
	v_lshrrev_b32_e32 v9, 5, v12
	v_lshlrev_b32_e32 v1, 2, v34
	v_lshlrev_b32_e32 v2, 2, v33
	;; [unrolled: 1-line block ×4, first 2 shown]
	v_add_nc_u32_e32 v38, v9, v0
	s_waitcnt vmcnt(0)
	ds_store_b32 v1, v3
	ds_store_b32 v2, v4 offset:1024
	ds_store_b32 v7, v5 offset:2048
	v_lshrrev_b32_e32 v1, 5, v14
	v_lshrrev_b32_e32 v2, 5, v15
	v_lshrrev_b32_e32 v3, 5, v17
	ds_store_b32 v11, v6 offset:3072
	v_add_nc_u32_e32 v37, v1, v0
	v_add_nc_u32_e32 v36, v2, v0
	;; [unrolled: 1-line block ×3, first 2 shown]
	v_lshrrev_b32_e32 v1, 2, v0
	v_lshlrev_b32_e32 v2, 2, v38
	v_lshlrev_b32_e32 v3, 2, v37
	;; [unrolled: 1-line block ×4, first 2 shown]
	v_add_nc_u32_e32 v1, v1, v31
	ds_store_b32 v2, v8 offset:4096
	ds_store_b32 v3, v10 offset:5120
	;; [unrolled: 1-line block ×4, first 2 shown]
	s_waitcnt lgkmcnt(0)
	s_barrier
	buffer_gl0_inv
	s_load_b32 s23, s[30:31], 0x0
	v_lshlrev_b32_e32 v32, 2, v1
	ds_load_2addr_b32 v[11:12], v32 offset1:1
	ds_load_2addr_b32 v[9:10], v32 offset0:2 offset1:3
	ds_load_2addr_b32 v[7:8], v32 offset0:4 offset1:5
	;; [unrolled: 1-line block ×3, first 2 shown]
	s_waitcnt lgkmcnt(0)
	v_mov_b32_e32 v28, s23
	s_mov_b32 s23, exec_lo
	ds_store_b32 v27, v11 offset:9472
	s_waitcnt lgkmcnt(0)
	s_barrier
	buffer_gl0_inv
	v_cmpx_ne_u32_e32 0xff, v0
	s_cbranch_execz .LBB113_19
; %bb.18:
	ds_load_b32 v28, v27 offset:9476
.LBB113_19:
	s_or_b32 exec_lo, exec_lo, s23
	v_add_co_u32 v3, s7, s8, v31
	s_delay_alu instid0(VALU_DEP_1)
	v_add_co_ci_u32_e64 v4, null, s9, 0, s7
	s_waitcnt lgkmcnt(0)
	s_barrier
	buffer_gl0_inv
                                        ; implicit-def: $vgpr1_vgpr2
	s_and_saveexec_b32 s7, vcc_lo
	s_cbranch_execnz .LBB113_162
; %bb.20:
	s_or_b32 exec_lo, exec_lo, s7
                                        ; implicit-def: $vgpr13_vgpr14
	s_and_saveexec_b32 s7, s0
	s_cbranch_execnz .LBB113_163
.LBB113_21:
	s_or_b32 exec_lo, exec_lo, s7
                                        ; implicit-def: $vgpr15_vgpr16
	s_and_saveexec_b32 s0, s3
	s_cbranch_execnz .LBB113_164
.LBB113_22:
	s_or_b32 exec_lo, exec_lo, s0
                                        ; implicit-def: $vgpr17_vgpr18
	s_and_saveexec_b32 s0, s2
	s_cbranch_execnz .LBB113_165
.LBB113_23:
	s_or_b32 exec_lo, exec_lo, s0
                                        ; implicit-def: $vgpr19_vgpr20
	s_and_saveexec_b32 s0, s1
	s_cbranch_execnz .LBB113_166
.LBB113_24:
	s_or_b32 exec_lo, exec_lo, s0
                                        ; implicit-def: $vgpr21_vgpr22
	s_and_saveexec_b32 s0, s4
	s_cbranch_execnz .LBB113_167
.LBB113_25:
	s_or_b32 exec_lo, exec_lo, s0
                                        ; implicit-def: $vgpr23_vgpr24
	s_and_saveexec_b32 s0, s5
	s_cbranch_execnz .LBB113_168
.LBB113_26:
	s_or_b32 exec_lo, exec_lo, s0
                                        ; implicit-def: $vgpr25_vgpr26
	s_and_saveexec_b32 s0, s6
	s_cbranch_execz .LBB113_28
.LBB113_27:
	v_add_co_u32 v3, vcc_lo, 0x3000, v3
	v_add_co_ci_u32_e32 v4, vcc_lo, 0, v4, vcc_lo
	global_load_b64 v[25:26], v[3:4], off offset:2048
.LBB113_28:
	s_or_b32 exec_lo, exec_lo, s0
	v_lshlrev_b32_e32 v3, 3, v34
	v_lshlrev_b32_e32 v4, 3, v33
	v_dual_mov_b32 v39, 0 :: v_dual_lshlrev_b32 v30, 3, v30
	s_mov_b32 s5, 0
	s_waitcnt vmcnt(0)
	ds_store_b64 v3, v[1:2]
	ds_store_b64 v4, v[13:14] offset:2048
	ds_store_b64 v30, v[15:16] offset:4096
	v_mov_b32_e32 v13, 0
	v_dual_mov_b32 v14, 0 :: v_dual_lshlrev_b32 v29, 3, v29
	v_dual_mov_b32 v30, 0 :: v_dual_lshlrev_b32 v1, 3, v38
	v_lshlrev_b32_e32 v4, 3, v35
	v_lshlrev_b32_e32 v2, 3, v37
	s_delay_alu instid0(VALU_DEP_4)
	v_dual_mov_b32 v16, v14 :: v_dual_lshlrev_b32 v3, 3, v36
	ds_store_b64 v29, v[17:18] offset:6144
	v_mov_b32_e32 v15, v13
	ds_store_b64 v1, v[19:20] offset:8192
	ds_store_b64 v2, v[21:22] offset:10240
	;; [unrolled: 1-line block ×4, first 2 shown]
	v_dual_mov_b32 v26, v14 :: v_dual_mov_b32 v51, 0
	v_dual_mov_b32 v24, v14 :: v_dual_mov_b32 v49, 0
	;; [unrolled: 1-line block ×3, first 2 shown]
	v_mov_b32_e32 v25, v13
	v_dual_mov_b32 v23, v13 :: v_dual_mov_b32 v50, 0
	v_dual_mov_b32 v22, v14 :: v_dual_mov_b32 v21, v13
	;; [unrolled: 1-line block ×4, first 2 shown]
	s_mov_b32 s1, 0
	s_mov_b64 s[2:3], 0
	s_mov_b32 s4, exec_lo
	s_waitcnt lgkmcnt(0)
	s_barrier
	buffer_gl0_inv
                                        ; implicit-def: $sgpr0
                                        ; implicit-def: $vgpr1_vgpr2
	v_cmpx_gt_u32_e64 s14, v31
	s_cbranch_execz .LBB113_44
; %bb.29:
	v_dual_mov_b32 v29, 0 :: v_dual_add_nc_u32 v32, v32, v32
	v_dual_mov_b32 v15, 0 :: v_dual_mov_b32 v30, 0
	v_dual_mov_b32 v16, 0 :: v_dual_mov_b32 v51, 0
	ds_load_b64 v[1:2], v32
	v_cmp_ne_u32_e32 vcc_lo, v11, v12
	v_or_b32_e32 v3, 1, v31
	v_mov_b32_e32 v26, v16
	v_mov_b32_e32 v24, v16
	;; [unrolled: 1-line block ×4, first 2 shown]
	v_dual_mov_b32 v18, v16 :: v_dual_mov_b32 v17, v15
	v_cndmask_b32_e64 v39, 0, 1, vcc_lo
	v_dual_mov_b32 v50, 0 :: v_dual_mov_b32 v49, 0
	v_dual_mov_b32 v48, 0 :: v_dual_mov_b32 v25, v15
	v_mov_b32_e32 v23, v15
	v_mov_b32_e32 v21, v15
	v_mov_b32_e32 v19, v15
	s_mov_b32 s6, 0
	s_mov_b32 s7, 0
	s_mov_b32 s5, exec_lo
	s_waitcnt lgkmcnt(0)
	v_cndmask_b32_e64 v14, v2, s27, vcc_lo
	v_cndmask_b32_e64 v13, v1, s26, vcc_lo
                                        ; implicit-def: $sgpr23
                                        ; implicit-def: $vgpr1_vgpr2
	v_cmpx_gt_u32_e64 s14, v3
	s_cbranch_execz .LBB113_43
; %bb.30:
	ds_load_2addr_b64 v[1:4], v32 offset0:1 offset1:2
	v_dual_mov_b32 v15, 0 :: v_dual_mov_b32 v30, 0
	v_dual_mov_b32 v29, 0 :: v_dual_mov_b32 v16, 0
	v_cmp_ne_u32_e32 vcc_lo, v12, v9
	v_mov_b32_e32 v49, 0
	v_or_b32_e32 v11, 2, v31
	v_dual_mov_b32 v51, 0 :: v_dual_mov_b32 v50, 0
	v_dual_mov_b32 v26, v16 :: v_dual_mov_b32 v25, v15
	;; [unrolled: 1-line block ×4, first 2 shown]
	v_mov_b32_e32 v20, v16
	v_cndmask_b32_e64 v48, 0, 1, vcc_lo
	v_mov_b32_e32 v19, v15
	s_mov_b32 s23, 0
	s_waitcnt lgkmcnt(0)
	v_cndmask_b32_e64 v18, v2, s27, vcc_lo
	v_cndmask_b32_e64 v17, v1, s26, vcc_lo
	s_mov_b32 s6, exec_lo
                                        ; implicit-def: $sgpr33
                                        ; implicit-def: $vgpr1_vgpr2
	v_cmpx_gt_u32_e64 s14, v11
	s_cbranch_execz .LBB113_42
; %bb.31:
	v_dual_mov_b32 v15, 0 :: v_dual_mov_b32 v30, 0
	v_dual_mov_b32 v16, 0 :: v_dual_mov_b32 v29, 0
	v_cmp_ne_u32_e32 vcc_lo, v9, v10
	v_or_b32_e32 v1, 3, v31
	s_delay_alu instid0(VALU_DEP_3)
	v_dual_mov_b32 v51, 0 :: v_dual_mov_b32 v24, v16
	v_dual_mov_b32 v26, v16 :: v_dual_mov_b32 v25, v15
	v_cndmask_b32_e64 v49, 0, 1, vcc_lo
	v_cndmask_b32_e64 v20, v4, s27, vcc_lo
	;; [unrolled: 1-line block ×3, first 2 shown]
	v_cmp_gt_u32_e32 vcc_lo, s14, v1
	v_dual_mov_b32 v23, v15 :: v_dual_mov_b32 v50, 0
	v_dual_mov_b32 v22, v16 :: v_dual_mov_b32 v21, v15
	s_mov_b32 s33, 0
                                        ; implicit-def: $sgpr0
                                        ; implicit-def: $vgpr1_vgpr2
	s_and_saveexec_b32 s7, vcc_lo
	s_cbranch_execz .LBB113_41
; %bb.32:
	ds_load_2addr_b64 v[1:4], v32 offset0:3 offset1:4
	v_dual_mov_b32 v15, 0 :: v_dual_mov_b32 v30, 0
	v_dual_mov_b32 v16, 0 :: v_dual_mov_b32 v29, 0
	v_cmp_ne_u32_e32 vcc_lo, v10, v7
	v_mov_b32_e32 v51, 0
	v_or_b32_e32 v9, 4, v31
	s_delay_alu instid0(VALU_DEP_4)
	v_dual_mov_b32 v26, v16 :: v_dual_mov_b32 v25, v15
	v_mov_b32_e32 v24, v16
	v_cndmask_b32_e64 v50, 0, 1, vcc_lo
	v_mov_b32_e32 v23, v15
	s_mov_b32 s34, 0
	s_mov_b32 s23, exec_lo
                                        ; implicit-def: $sgpr35
	s_waitcnt lgkmcnt(0)
	v_cndmask_b32_e64 v22, v2, s27, vcc_lo
	v_cndmask_b32_e64 v21, v1, s26, vcc_lo
                                        ; implicit-def: $vgpr1_vgpr2
	v_cmpx_gt_u32_e64 s14, v9
	s_cbranch_execz .LBB113_40
; %bb.33:
	v_dual_mov_b32 v15, 0 :: v_dual_mov_b32 v30, 0
	v_cmp_ne_u32_e32 vcc_lo, v7, v8
	v_or_b32_e32 v1, 5, v31
	v_dual_mov_b32 v16, 0 :: v_dual_mov_b32 v29, 0
	s_mov_b32 s35, 0
	v_cndmask_b32_e64 v51, 0, 1, vcc_lo
	v_cndmask_b32_e64 v24, v4, s27, vcc_lo
	;; [unrolled: 1-line block ×3, first 2 shown]
	v_cmp_gt_u32_e32 vcc_lo, s14, v1
	v_dual_mov_b32 v26, v16 :: v_dual_mov_b32 v25, v15
                                        ; implicit-def: $sgpr0
                                        ; implicit-def: $vgpr1_vgpr2
	s_and_saveexec_b32 s33, vcc_lo
	s_cbranch_execz .LBB113_39
; %bb.34:
	ds_load_2addr_b64 v[1:4], v32 offset0:5 offset1:6
	v_cmp_ne_u32_e32 vcc_lo, v8, v5
	v_mov_b32_e32 v15, 0
	v_or_b32_e32 v7, 6, v31
	v_dual_mov_b32 v16, 0 :: v_dual_mov_b32 v29, 0
	v_cndmask_b32_e64 v30, 0, 1, vcc_lo
	s_mov_b32 s34, exec_lo
                                        ; implicit-def: $sgpr36
	s_waitcnt lgkmcnt(0)
	v_cndmask_b32_e64 v26, v2, s27, vcc_lo
	v_cndmask_b32_e64 v25, v1, s26, vcc_lo
                                        ; implicit-def: $vgpr1_vgpr2
	v_cmpx_gt_u32_e64 s14, v7
	s_cbranch_execz .LBB113_38
; %bb.35:
	v_cmp_ne_u32_e32 vcc_lo, v5, v6
	v_or_b32_e32 v1, 7, v31
	s_mov_b32 s0, 0
	v_cndmask_b32_e64 v29, 0, 1, vcc_lo
	v_cndmask_b32_e64 v16, v4, s27, vcc_lo
	;; [unrolled: 1-line block ×3, first 2 shown]
	v_cmp_gt_u32_e32 vcc_lo, s14, v1
                                        ; implicit-def: $sgpr14
                                        ; implicit-def: $vgpr1_vgpr2
	s_and_saveexec_b32 s35, vcc_lo
	s_delay_alu instid0(SALU_CYCLE_1)
	s_xor_b32 s35, exec_lo, s35
	s_cbranch_execz .LBB113_37
; %bb.36:
	ds_load_b64 v[1:2], v32 offset:56
	v_cmp_ne_u32_e32 vcc_lo, v6, v28
	s_mov_b32 s0, exec_lo
	s_and_b32 s14, vcc_lo, exec_lo
	s_waitcnt lgkmcnt(0)
	v_cndmask_b32_e64 v2, v2, s27, vcc_lo
	v_cndmask_b32_e64 v1, v1, s26, vcc_lo
.LBB113_37:
	s_or_b32 exec_lo, exec_lo, s35
	s_delay_alu instid0(SALU_CYCLE_1)
	s_and_b32 s36, s14, exec_lo
	s_and_b32 s35, s0, exec_lo
.LBB113_38:
	s_or_b32 exec_lo, exec_lo, s34
	s_delay_alu instid0(SALU_CYCLE_1)
	s_and_b32 s0, s36, exec_lo
	s_and_b32 s34, s35, exec_lo
.LBB113_39:
	s_or_b32 exec_lo, exec_lo, s33
	s_delay_alu instid0(SALU_CYCLE_1)
	s_and_b32 s35, s0, exec_lo
	s_and_b32 s33, s34, exec_lo
.LBB113_40:
	s_or_b32 exec_lo, exec_lo, s23
	s_delay_alu instid0(SALU_CYCLE_1)
	s_and_b32 s0, s35, exec_lo
	s_and_b32 s23, s33, exec_lo
.LBB113_41:
	s_or_b32 exec_lo, exec_lo, s7
	s_delay_alu instid0(SALU_CYCLE_1)
	s_and_b32 s33, s0, exec_lo
	s_and_b32 s7, s23, exec_lo
.LBB113_42:
	s_or_b32 exec_lo, exec_lo, s6
	s_delay_alu instid0(SALU_CYCLE_1)
	s_and_b32 s23, s33, exec_lo
	s_and_b32 s6, s7, exec_lo
.LBB113_43:
	s_or_b32 exec_lo, exec_lo, s5
	s_delay_alu instid0(SALU_CYCLE_1)
	s_and_b32 s0, s23, exec_lo
	s_and_b32 s5, s6, exec_lo
.LBB113_44:
	s_or_b32 exec_lo, exec_lo, s4
	s_mov_b32 s4, 0
	s_branch .LBB113_46
.LBB113_45:
	s_mov_b32 s1, -1
                                        ; implicit-def: $sgpr0
                                        ; implicit-def: $vgpr1_vgpr2
                                        ; implicit-def: $vgpr13_vgpr14
                                        ; implicit-def: $vgpr29
                                        ; implicit-def: $vgpr15_vgpr16
                                        ; implicit-def: $vgpr30
                                        ; implicit-def: $vgpr25_vgpr26
                                        ; implicit-def: $vgpr51
                                        ; implicit-def: $vgpr23_vgpr24
                                        ; implicit-def: $vgpr50
                                        ; implicit-def: $vgpr21_vgpr22
                                        ; implicit-def: $vgpr49
                                        ; implicit-def: $vgpr19_vgpr20
                                        ; implicit-def: $vgpr48
                                        ; implicit-def: $vgpr17_vgpr18
                                        ; implicit-def: $vgpr39
                                        ; implicit-def: $sgpr4
                                        ; implicit-def: $sgpr2_sgpr3
.LBB113_46:
	v_lshrrev_b32_e32 v45, 5, v0
	v_or_b32_e32 v47, 0x100, v0
	v_or_b32_e32 v46, 0x200, v0
	;; [unrolled: 1-line block ×7, first 2 shown]
	s_and_b32 vcc_lo, exec_lo, s1
	s_cbranch_vccz .LBB113_52
; %bb.47:
	v_add_co_u32 v1, s0, s30, v27
	s_delay_alu instid0(VALU_DEP_1) | instskip(SKIP_1) | instid1(VALU_DEP_3)
	v_add_co_ci_u32_e64 v2, null, s31, 0, s0
	v_lshrrev_b32_e32 v3, 5, v46
	v_add_co_u32 v1, vcc_lo, 0x1000, v1
	s_delay_alu instid0(VALU_DEP_3)
	v_add_co_ci_u32_e32 v2, vcc_lo, 0, v2, vcc_lo
	s_clause 0x7
	global_load_b32 v10, v27, s[30:31]
	global_load_b32 v11, v27, s[30:31] offset:1024
	global_load_b32 v12, v27, s[30:31] offset:2048
	;; [unrolled: 1-line block ×3, first 2 shown]
	global_load_b32 v14, v[1:2], off
	global_load_b32 v15, v[1:2], off offset:1024
	global_load_b32 v16, v[1:2], off offset:2048
	;; [unrolled: 1-line block ×3, first 2 shown]
	v_lshrrev_b32_e32 v2, 5, v47
	v_lshrrev_b32_e32 v4, 5, v44
	;; [unrolled: 1-line block ×3, first 2 shown]
	v_add_nc_u32_e32 v1, v45, v0
	v_lshrrev_b32_e32 v7, 5, v42
	v_lshrrev_b32_e32 v18, 5, v41
	;; [unrolled: 1-line block ×3, first 2 shown]
	v_add_nc_u32_e32 v9, v2, v0
	v_add_nc_u32_e32 v8, v3, v0
	v_lshrrev_b32_e32 v20, 2, v0
	v_add_nc_u32_e32 v6, v4, v0
	v_add_nc_u32_e32 v5, v5, v0
	v_lshlrev_b32_e32 v21, 2, v1
	v_add_nc_u32_e32 v4, v7, v0
	v_add_nc_u32_e32 v3, v18, v0
	;; [unrolled: 1-line block ×3, first 2 shown]
	v_lshlrev_b32_e32 v18, 2, v9
	v_lshlrev_b32_e32 v19, 2, v8
	v_lshl_add_u32 v7, v0, 3, v20
	v_lshlrev_b32_e32 v20, 2, v6
	v_lshlrev_b32_e32 v22, 2, v5
	v_lshlrev_b32_e32 v23, 2, v4
	v_lshlrev_b32_e32 v24, 2, v3
	v_lshlrev_b32_e32 v25, 2, v2
	v_lshlrev_b32_e32 v7, 2, v7
	s_waitcnt vmcnt(7)
	ds_store_b32 v21, v10
	s_waitcnt vmcnt(6)
	ds_store_b32 v18, v11 offset:1024
	s_waitcnt vmcnt(5)
	ds_store_b32 v19, v12 offset:2048
	;; [unrolled: 2-line block ×7, first 2 shown]
	s_waitcnt lgkmcnt(0)
	s_barrier
	buffer_gl0_inv
	s_load_b32 s0, s[30:31], 0x2000
	ds_load_2addr_b32 v[21:22], v7 offset1:1
	ds_load_2addr_b32 v[19:20], v7 offset0:2 offset1:3
	ds_load_2addr_b32 v[17:18], v7 offset0:4 offset1:5
	;; [unrolled: 1-line block ×3, first 2 shown]
	s_waitcnt lgkmcnt(0)
	ds_store_b32 v27, v21 offset:9472
	s_waitcnt lgkmcnt(0)
	v_mov_b32_e32 v25, s0
	s_mov_b32 s0, exec_lo
	s_barrier
	buffer_gl0_inv
	v_cmpx_ne_u32_e32 0xff, v0
	s_cbranch_execz .LBB113_49
; %bb.48:
	ds_load_b32 v25, v27 offset:9476
.LBB113_49:
	s_or_b32 exec_lo, exec_lo, s0
	v_lshlrev_b32_e32 v14, 3, v0
	s_waitcnt lgkmcnt(0)
	s_barrier
	buffer_gl0_inv
	v_lshlrev_b32_e32 v1, 3, v1
	v_add_co_u32 v26, s0, s8, v14
	s_delay_alu instid0(VALU_DEP_1) | instskip(SKIP_1) | instid1(VALU_DEP_3)
	v_add_co_ci_u32_e64 v27, null, s9, 0, s0
	v_lshlrev_b32_e32 v9, 3, v9
	v_add_co_u32 v10, vcc_lo, 0x1000, v26
	s_delay_alu instid0(VALU_DEP_3)
	v_add_co_ci_u32_e32 v11, vcc_lo, 0, v27, vcc_lo
	v_add_co_u32 v12, vcc_lo, v26, 0x2000
	v_add_co_ci_u32_e32 v13, vcc_lo, 0, v27, vcc_lo
	v_add_co_u32 v23, vcc_lo, 0x2000, v26
	;; [unrolled: 2-line block ×3, first 2 shown]
	v_add_co_ci_u32_e32 v27, vcc_lo, 0, v27, vcc_lo
	s_clause 0x7
	global_load_b64 v[28:29], v14, s[8:9]
	global_load_b64 v[30:31], v14, s[8:9] offset:2048
	global_load_b64 v[32:33], v[12:13], off offset:-4096
	global_load_b64 v[10:11], v[10:11], off offset:2048
	global_load_b64 v[12:13], v[12:13], off
	global_load_b64 v[34:35], v[23:24], off offset:2048
	global_load_b64 v[36:37], v[26:27], off
	global_load_b64 v[26:27], v[26:27], off offset:2048
	v_add_nc_u32_e32 v23, v7, v7
	v_lshlrev_b32_e32 v8, 3, v8
	v_lshlrev_b32_e32 v6, 3, v6
	;; [unrolled: 1-line block ×6, first 2 shown]
	v_cmp_ne_u32_e32 vcc_lo, v21, v22
	s_mov_b32 s1, exec_lo
	s_waitcnt vmcnt(7)
	ds_store_b64 v1, v[28:29]
	s_waitcnt vmcnt(6)
	ds_store_b64 v9, v[30:31] offset:2048
	s_waitcnt vmcnt(5)
	ds_store_b64 v8, v[32:33] offset:4096
	;; [unrolled: 2-line block ×7, first 2 shown]
	v_mov_b32_e32 v13, s26
	s_waitcnt lgkmcnt(0)
	s_barrier
	buffer_gl0_inv
	ds_load_2addr_b64 v[9:12], v23 offset0:1 offset1:2
	ds_load_2addr_b64 v[5:8], v23 offset0:3 offset1:4
	;; [unrolled: 1-line block ×3, first 2 shown]
	ds_load_b64 v[27:28], v23 offset:56
	v_mov_b32_e32 v14, s27
	v_cmpx_eq_u32_e64 v21, v22
	s_cbranch_execz .LBB113_51
; %bb.50:
	ds_load_b64 v[13:14], v23
.LBB113_51:
	s_or_b32 exec_lo, exec_lo, s1
	v_cmp_ne_u32_e64 s0, v19, v20
	v_cndmask_b32_e64 v39, 0, 1, vcc_lo
	v_cmp_ne_u32_e32 vcc_lo, v22, v19
	v_cmp_ne_u32_e64 s1, v20, v17
	v_cmp_ne_u32_e64 s2, v17, v18
	v_cndmask_b32_e64 v49, 0, 1, s0
	v_cmp_ne_u32_e64 s3, v18, v15
	v_cmp_ne_u32_e64 s4, v15, v16
	s_waitcnt lgkmcnt(3)
	v_cndmask_b32_e64 v20, v12, s27, s0
	v_cndmask_b32_e64 v19, v11, s26, s0
	v_cmp_ne_u32_e64 s0, v16, v25
	v_cndmask_b32_e64 v48, 0, 1, vcc_lo
	v_cndmask_b32_e64 v50, 0, 1, s1
	v_cndmask_b32_e64 v51, 0, 1, s2
	;; [unrolled: 1-line block ×4, first 2 shown]
	v_cndmask_b32_e64 v18, v10, s27, vcc_lo
	v_cndmask_b32_e64 v17, v9, s26, vcc_lo
	s_waitcnt lgkmcnt(2)
	v_cndmask_b32_e64 v22, v6, s27, s1
	v_cndmask_b32_e64 v21, v5, s26, s1
	;; [unrolled: 1-line block ×4, first 2 shown]
	s_waitcnt lgkmcnt(1)
	v_cndmask_b32_e64 v26, v2, s27, s3
	v_cndmask_b32_e64 v25, v1, s26, s3
	;; [unrolled: 1-line block ×4, first 2 shown]
	s_waitcnt lgkmcnt(0)
	v_cndmask_b32_e64 v2, v28, s27, s0
	v_cndmask_b32_e64 v1, v27, s26, s0
	s_mov_b32 s5, -1
                                        ; implicit-def: $sgpr4
                                        ; implicit-def: $sgpr2_sgpr3
.LBB113_52:
	v_dual_mov_b32 v28, s3 :: v_dual_mov_b32 v27, s2
	v_mov_b32_e32 v3, s4
	s_and_saveexec_b32 s1, s5
; %bb.53:
	v_cndmask_b32_e64 v3, 0, 1, s0
	v_dual_mov_b32 v28, v2 :: v_dual_mov_b32 v27, v1
; %bb.54:
	s_or_b32 exec_lo, exec_lo, s1
	s_delay_alu instid0(VALU_DEP_2)
	v_or_b32_e32 v1, v3, v29
	v_and_b32_e32 v60, 0xff, v48
	v_and_b32_e32 v59, 0xff, v49
	;; [unrolled: 1-line block ×7, first 2 shown]
	v_or_b32_e32 v55, v1, v30
	v_mbcnt_lo_u32_b32 v52, -1, 0
	s_cmp_lg_u32 s15, 0
	s_barrier
	buffer_gl0_inv
	s_cbranch_scc0 .LBB113_119
; %bb.55:
	v_cmp_eq_u16_e64 s4, 0, v60
	v_cmp_eq_u16_e64 s3, 0, v59
	;; [unrolled: 1-line block ×5, first 2 shown]
	v_cndmask_b32_e64 v2, 0, v13, s4
	v_cndmask_b32_e64 v1, 0, v14, s4
	v_or_b32_e32 v3, v55, v51
	v_cmp_eq_u16_e64 s5, 0, v54
	s_mov_b32 s7, exec_lo
	v_add_co_u32 v2, vcc_lo, v2, v17
	v_add_co_ci_u32_e32 v1, vcc_lo, v1, v18, vcc_lo
	v_or_b32_e32 v3, v3, v50
	s_delay_alu instid0(VALU_DEP_3) | instskip(NEXT) | instid1(VALU_DEP_3)
	v_cndmask_b32_e64 v2, 0, v2, s3
	v_cndmask_b32_e64 v1, 0, v1, s3
	s_delay_alu instid0(VALU_DEP_3) | instskip(NEXT) | instid1(VALU_DEP_3)
	v_or_b32_e32 v3, v3, v49
	v_add_co_u32 v2, vcc_lo, v2, v19
	s_delay_alu instid0(VALU_DEP_3) | instskip(NEXT) | instid1(VALU_DEP_3)
	v_add_co_ci_u32_e32 v1, vcc_lo, v1, v20, vcc_lo
	v_or_b32_e32 v3, v3, v48
	s_delay_alu instid0(VALU_DEP_3) | instskip(NEXT) | instid1(VALU_DEP_3)
	v_cndmask_b32_e64 v2, 0, v2, s2
	v_cndmask_b32_e64 v1, 0, v1, s2
	s_delay_alu instid0(VALU_DEP_3) | instskip(NEXT) | instid1(VALU_DEP_3)
	v_or_b32_e32 v3, v3, v39
	v_add_co_u32 v2, vcc_lo, v2, v21
	s_delay_alu instid0(VALU_DEP_3) | instskip(NEXT) | instid1(VALU_DEP_3)
	v_add_co_ci_u32_e32 v1, vcc_lo, v1, v22, vcc_lo
	v_and_b32_e32 v5, 1, v3
	s_delay_alu instid0(VALU_DEP_3) | instskip(NEXT) | instid1(VALU_DEP_3)
	v_cndmask_b32_e64 v2, 0, v2, s1
	v_cndmask_b32_e64 v1, 0, v1, s1
	s_delay_alu instid0(VALU_DEP_3) | instskip(NEXT) | instid1(VALU_DEP_3)
	v_mov_b32_dpp v8, v5 row_shr:1 row_mask:0xf bank_mask:0xf
	v_add_co_u32 v2, vcc_lo, v2, v23
	s_delay_alu instid0(VALU_DEP_3) | instskip(NEXT) | instid1(VALU_DEP_2)
	v_add_co_ci_u32_e32 v1, vcc_lo, v1, v24, vcc_lo
	v_cndmask_b32_e64 v2, 0, v2, s0
	s_delay_alu instid0(VALU_DEP_2) | instskip(NEXT) | instid1(VALU_DEP_2)
	v_cndmask_b32_e64 v1, 0, v1, s0
	v_add_co_u32 v2, vcc_lo, v2, v25
	s_delay_alu instid0(VALU_DEP_2) | instskip(NEXT) | instid1(VALU_DEP_2)
	v_add_co_ci_u32_e32 v1, vcc_lo, v1, v26, vcc_lo
	v_cndmask_b32_e64 v2, 0, v2, s5
	s_delay_alu instid0(VALU_DEP_2) | instskip(NEXT) | instid1(VALU_DEP_2)
	v_cndmask_b32_e64 v1, 0, v1, s5
	v_add_co_u32 v2, vcc_lo, v2, v15
	s_delay_alu instid0(VALU_DEP_2) | instskip(SKIP_1) | instid1(VALU_DEP_3)
	v_add_co_ci_u32_e32 v1, vcc_lo, v1, v16, vcc_lo
	v_cmp_eq_u16_e32 vcc_lo, 0, v53
	v_cndmask_b32_e32 v2, 0, v2, vcc_lo
	s_delay_alu instid0(VALU_DEP_3) | instskip(NEXT) | instid1(VALU_DEP_2)
	v_dual_cndmask_b32 v4, 0, v1 :: v_dual_and_b32 v1, 15, v52
	v_add_co_u32 v3, vcc_lo, v2, v27
	s_delay_alu instid0(VALU_DEP_2) | instskip(SKIP_1) | instid1(VALU_DEP_3)
	v_add_co_ci_u32_e32 v4, vcc_lo, v4, v28, vcc_lo
	v_cmp_eq_u32_e32 vcc_lo, 1, v5
	v_mov_b32_dpp v6, v3 row_shr:1 row_mask:0xf bank_mask:0xf
	v_mov_b32_e32 v2, v5
	s_delay_alu instid0(VALU_DEP_4)
	v_mov_b32_dpp v7, v4 row_shr:1 row_mask:0xf bank_mask:0xf
	v_cmpx_ne_u32_e32 0, v1
; %bb.56:
	v_and_b32_e32 v2, 1, v8
	v_cndmask_b32_e64 v6, v6, 0, vcc_lo
	s_delay_alu instid0(VALU_DEP_4) | instskip(NEXT) | instid1(VALU_DEP_3)
	v_cndmask_b32_e64 v7, v7, 0, vcc_lo
	v_or_b32_e32 v5, v2, v5
	s_delay_alu instid0(VALU_DEP_3) | instskip(NEXT) | instid1(VALU_DEP_3)
	v_add_co_u32 v3, vcc_lo, v6, v3
	v_add_co_ci_u32_e32 v4, vcc_lo, v7, v4, vcc_lo
	s_delay_alu instid0(VALU_DEP_3)
	v_and_b32_e32 v2, 0xffff, v5
; %bb.57:
	s_or_b32 exec_lo, exec_lo, s7
	s_delay_alu instid0(VALU_DEP_3) | instskip(NEXT) | instid1(VALU_DEP_3)
	v_mov_b32_dpp v6, v3 row_shr:2 row_mask:0xf bank_mask:0xf
	v_mov_b32_dpp v7, v4 row_shr:2 row_mask:0xf bank_mask:0xf
	s_delay_alu instid0(VALU_DEP_3)
	v_mov_b32_dpp v8, v2 row_shr:2 row_mask:0xf bank_mask:0xf
	s_mov_b32 s8, exec_lo
	v_cmpx_lt_u32_e32 1, v1
	s_cbranch_execz .LBB113_59
; %bb.58:
	s_delay_alu instid0(VALU_DEP_2) | instskip(SKIP_2) | instid1(VALU_DEP_3)
	v_and_b32_e32 v8, 1, v8
	v_cmp_eq_u16_e32 vcc_lo, 0, v5
	v_and_b32_e32 v2, 1, v5
	v_cmp_eq_u32_e64 s7, 1, v8
	v_cndmask_b32_e32 v5, 0, v6, vcc_lo
	s_delay_alu instid0(VALU_DEP_3) | instskip(SKIP_1) | instid1(VALU_DEP_3)
	v_cmp_eq_u32_e64 s6, 1, v2
	v_cndmask_b32_e32 v2, 0, v7, vcc_lo
	v_add_co_u32 v3, vcc_lo, v5, v3
	s_delay_alu instid0(VALU_DEP_3) | instskip(NEXT) | instid1(VALU_DEP_2)
	s_or_b32 s6, s6, s7
	v_add_co_ci_u32_e32 v4, vcc_lo, v2, v4, vcc_lo
	v_cndmask_b32_e64 v6, 0, 1, s6
	v_cndmask_b32_e64 v2, 0, 1, s6
	s_delay_alu instid0(VALU_DEP_2)
	v_mov_b32_e32 v5, v6
.LBB113_59:
	s_or_b32 exec_lo, exec_lo, s8
	v_mov_b32_dpp v6, v3 row_shr:4 row_mask:0xf bank_mask:0xf
	v_mov_b32_dpp v7, v4 row_shr:4 row_mask:0xf bank_mask:0xf
	;; [unrolled: 1-line block ×3, first 2 shown]
	s_mov_b32 s8, exec_lo
	v_cmpx_lt_u32_e32 3, v1
	s_cbranch_execz .LBB113_61
; %bb.60:
	s_delay_alu instid0(VALU_DEP_2) | instskip(SKIP_2) | instid1(VALU_DEP_3)
	v_and_b32_e32 v8, 1, v8
	v_cmp_eq_u16_e32 vcc_lo, 0, v5
	v_and_b32_e32 v2, 1, v5
	v_cmp_eq_u32_e64 s7, 1, v8
	v_cndmask_b32_e32 v5, 0, v6, vcc_lo
	s_delay_alu instid0(VALU_DEP_3) | instskip(SKIP_1) | instid1(VALU_DEP_3)
	v_cmp_eq_u32_e64 s6, 1, v2
	v_cndmask_b32_e32 v2, 0, v7, vcc_lo
	v_add_co_u32 v3, vcc_lo, v5, v3
	s_delay_alu instid0(VALU_DEP_3) | instskip(NEXT) | instid1(VALU_DEP_2)
	s_or_b32 s6, s6, s7
	v_add_co_ci_u32_e32 v4, vcc_lo, v2, v4, vcc_lo
	v_cndmask_b32_e64 v6, 0, 1, s6
	v_cndmask_b32_e64 v2, 0, 1, s6
	s_delay_alu instid0(VALU_DEP_2)
	v_mov_b32_e32 v5, v6
.LBB113_61:
	s_or_b32 exec_lo, exec_lo, s8
	v_mov_b32_dpp v6, v3 row_shr:8 row_mask:0xf bank_mask:0xf
	v_mov_b32_dpp v7, v4 row_shr:8 row_mask:0xf bank_mask:0xf
	v_mov_b32_dpp v8, v2 row_shr:8 row_mask:0xf bank_mask:0xf
	s_mov_b32 s8, exec_lo
	v_cmpx_lt_u32_e32 7, v1
	s_cbranch_execz .LBB113_63
; %bb.62:
	v_cmp_eq_u16_e32 vcc_lo, 0, v5
	v_and_b32_e32 v1, 1, v5
	v_and_b32_e32 v2, 1, v8
	s_delay_alu instid0(VALU_DEP_1) | instskip(SKIP_1) | instid1(VALU_DEP_4)
	v_cmp_eq_u32_e64 s7, 1, v2
	v_cndmask_b32_e32 v2, 0, v6, vcc_lo
	v_cmp_eq_u32_e64 s6, 1, v1
	v_cndmask_b32_e32 v1, 0, v7, vcc_lo
	s_delay_alu instid0(VALU_DEP_3) | instskip(NEXT) | instid1(VALU_DEP_3)
	v_add_co_u32 v3, vcc_lo, v2, v3
	s_or_b32 s6, s6, s7
	s_delay_alu instid0(VALU_DEP_2)
	v_add_co_ci_u32_e32 v4, vcc_lo, v1, v4, vcc_lo
	v_cndmask_b32_e64 v5, 0, 1, s6
	v_cndmask_b32_e64 v2, 0, 1, s6
.LBB113_63:
	s_or_b32 exec_lo, exec_lo, s8
	ds_swizzle_b32 v1, v3 offset:swizzle(BROADCAST,32,15)
	ds_swizzle_b32 v6, v4 offset:swizzle(BROADCAST,32,15)
	;; [unrolled: 1-line block ×3, first 2 shown]
	v_and_b32_e32 v7, 16, v52
	s_mov_b32 s8, exec_lo
	s_delay_alu instid0(VALU_DEP_1)
	v_cmpx_ne_u32_e32 0, v7
	s_cbranch_execz .LBB113_65
; %bb.64:
	v_cmp_eq_u16_e32 vcc_lo, 0, v5
	v_and_b32_e32 v7, 1, v5
	s_waitcnt lgkmcnt(0)
	v_dual_cndmask_b32 v1, 0, v1 :: v_dual_and_b32 v2, 1, v2
	s_delay_alu instid0(VALU_DEP_1) | instskip(SKIP_2) | instid1(VALU_DEP_4)
	v_cmp_eq_u32_e64 s7, 1, v2
	v_cndmask_b32_e32 v2, 0, v6, vcc_lo
	v_cmp_eq_u32_e64 s6, 1, v7
	v_add_co_u32 v3, vcc_lo, v1, v3
	s_delay_alu instid0(VALU_DEP_3) | instskip(NEXT) | instid1(VALU_DEP_3)
	v_add_co_ci_u32_e32 v4, vcc_lo, v2, v4, vcc_lo
	s_or_b32 s6, s6, s7
	s_delay_alu instid0(SALU_CYCLE_1)
	v_cndmask_b32_e64 v5, 0, 1, s6
.LBB113_65:
	s_or_b32 exec_lo, exec_lo, s8
	s_waitcnt lgkmcnt(2)
	v_or_b32_e32 v1, 31, v0
	s_mov_b32 s6, exec_lo
	s_delay_alu instid0(VALU_DEP_1)
	v_cmpx_eq_u32_e64 v1, v0
	s_cbranch_execz .LBB113_67
; %bb.66:
	v_lshlrev_b32_e32 v1, 4, v45
	ds_store_b64 v1, v[3:4]
	ds_store_b8 v1, v5 offset:8
.LBB113_67:
	s_or_b32 exec_lo, exec_lo, s6
	s_delay_alu instid0(SALU_CYCLE_1)
	s_mov_b32 s8, exec_lo
	s_waitcnt lgkmcnt(0)
	s_barrier
	buffer_gl0_inv
	v_cmpx_gt_u32_e32 8, v0
	s_cbranch_execz .LBB113_75
; %bb.68:
	v_lshlrev_b32_e32 v6, 4, v0
	s_mov_b32 s6, exec_lo
	ds_load_b64 v[1:2], v6
	ds_load_b32 v10, v6 offset:8
	v_and_b32_e32 v7, 7, v52
	s_waitcnt lgkmcnt(1)
	v_mov_b32_dpp v12, v1 row_shr:1 row_mask:0xf bank_mask:0xf
	s_waitcnt lgkmcnt(0)
	v_mov_b32_e32 v8, v10
	v_mov_b32_dpp v29, v2 row_shr:1 row_mask:0xf bank_mask:0xf
	v_and_b32_e32 v9, 0xffffff00, v10
	v_mov_b32_dpp v30, v10 row_shr:1 row_mask:0xf bank_mask:0xf
	v_mov_b32_e32 v11, v10
	v_cmpx_ne_u32_e32 0, v7
; %bb.69:
	v_and_b32_e32 v8, 0xff, v10
	s_delay_alu instid0(VALU_DEP_4) | instskip(NEXT) | instid1(VALU_DEP_2)
	v_or_b32_e32 v10, v30, v10
	v_cmp_eq_u16_e32 vcc_lo, 0, v8
	s_delay_alu instid0(VALU_DEP_2) | instskip(SKIP_2) | instid1(VALU_DEP_2)
	v_and_b32_e32 v8, 1, v10
	v_and_b32_e32 v11, 1, v10
	v_dual_cndmask_b32 v29, 0, v29 :: v_dual_cndmask_b32 v12, 0, v12
	v_or_b32_e32 v10, v11, v9
	s_delay_alu instid0(VALU_DEP_2) | instskip(NEXT) | instid1(VALU_DEP_3)
	v_add_co_u32 v1, vcc_lo, v12, v1
	v_add_co_ci_u32_e32 v2, vcc_lo, v29, v2, vcc_lo
; %bb.70:
	s_or_b32 exec_lo, exec_lo, s6
	s_delay_alu instid0(VALU_DEP_2) | instskip(NEXT) | instid1(VALU_DEP_2)
	v_mov_b32_dpp v12, v1 row_shr:2 row_mask:0xf bank_mask:0xf
	v_mov_b32_dpp v29, v2 row_shr:2 row_mask:0xf bank_mask:0xf
	;; [unrolled: 1-line block ×3, first 2 shown]
	s_mov_b32 s9, exec_lo
	v_cmpx_lt_u32_e32 1, v7
	s_cbranch_execz .LBB113_72
; %bb.71:
	v_and_b32_e32 v8, 1, v11
	v_and_b32_e32 v10, 0xff, v11
	;; [unrolled: 1-line block ×3, first 2 shown]
	s_delay_alu instid0(VALU_DEP_3) | instskip(NEXT) | instid1(VALU_DEP_3)
	v_cmp_eq_u32_e32 vcc_lo, 1, v8
	v_cmp_eq_u16_e64 s6, 0, v10
	s_delay_alu instid0(VALU_DEP_3) | instskip(NEXT) | instid1(VALU_DEP_2)
	v_cmp_eq_u32_e64 s7, 1, v11
	v_cndmask_b32_e64 v10, 0, v29, s6
	v_cndmask_b32_e64 v11, 0, v12, s6
	s_delay_alu instid0(VALU_DEP_3) | instskip(NEXT) | instid1(SALU_CYCLE_1)
	s_or_b32 s6, vcc_lo, s7
	v_cndmask_b32_e64 v8, 0, 1, s6
	v_cndmask_b32_e64 v12, 0, 1, s6
	s_delay_alu instid0(VALU_DEP_3) | instskip(SKIP_1) | instid1(VALU_DEP_4)
	v_add_co_u32 v1, vcc_lo, v11, v1
	v_add_co_ci_u32_e32 v2, vcc_lo, v10, v2, vcc_lo
	v_mov_b32_e32 v11, v8
	s_delay_alu instid0(VALU_DEP_4)
	v_or_b32_e32 v10, v9, v12
.LBB113_72:
	s_or_b32 exec_lo, exec_lo, s9
	v_mov_b32_dpp v9, v1 row_shr:4 row_mask:0xf bank_mask:0xf
	v_mov_b32_dpp v12, v2 row_shr:4 row_mask:0xf bank_mask:0xf
	s_delay_alu instid0(VALU_DEP_3)
	v_mov_b32_dpp v10, v10 row_shr:4 row_mask:0xf bank_mask:0xf
	s_mov_b32 s9, exec_lo
	v_cmpx_lt_u32_e32 3, v7
; %bb.73:
	v_and_b32_e32 v7, 0xff, v11
	s_delay_alu instid0(VALU_DEP_1) | instskip(SKIP_3) | instid1(VALU_DEP_3)
	v_cmp_eq_u16_e32 vcc_lo, 0, v7
	v_and_b32_e32 v8, 1, v11
	v_dual_cndmask_b32 v9, 0, v9 :: v_dual_and_b32 v10, 1, v10
	v_cndmask_b32_e32 v7, 0, v12, vcc_lo
	v_cmp_eq_u32_e64 s6, 1, v8
	s_delay_alu instid0(VALU_DEP_3) | instskip(NEXT) | instid1(VALU_DEP_4)
	v_cmp_eq_u32_e64 s7, 1, v10
	v_add_co_u32 v1, vcc_lo, v9, v1
	s_delay_alu instid0(VALU_DEP_4) | instskip(NEXT) | instid1(VALU_DEP_3)
	v_add_co_ci_u32_e32 v2, vcc_lo, v7, v2, vcc_lo
	s_or_b32 s6, s6, s7
	s_delay_alu instid0(SALU_CYCLE_1)
	v_cndmask_b32_e64 v8, 0, 1, s6
; %bb.74:
	s_or_b32 exec_lo, exec_lo, s9
	ds_store_b64 v6, v[1:2]
	ds_store_b8 v6, v8 offset:8
.LBB113_75:
	s_or_b32 exec_lo, exec_lo, s8
	v_mov_b32_e32 v1, 0
	v_cmp_gt_u32_e32 vcc_lo, 32, v0
	v_dual_mov_b32 v2, 0 :: v_dual_mov_b32 v11, 0
	s_mov_b32 s7, exec_lo
	s_waitcnt lgkmcnt(0)
	s_barrier
	buffer_gl0_inv
	v_cmpx_lt_u32_e32 31, v0
	s_cbranch_execz .LBB113_77
; %bb.76:
	v_lshl_add_u32 v6, v45, 4, -16
	v_cmp_eq_u16_e64 s6, 0, v5
	ds_load_b64 v[1:2], v6
	ds_load_u8 v11, v6 offset:8
	s_waitcnt lgkmcnt(1)
	v_cndmask_b32_e64 v7, 0, v1, s6
	v_cndmask_b32_e64 v6, 0, v2, s6
	s_waitcnt lgkmcnt(0)
	v_or_b32_e32 v5, v5, v11
	s_delay_alu instid0(VALU_DEP_3) | instskip(NEXT) | instid1(VALU_DEP_1)
	v_add_co_u32 v3, s6, v3, v7
	v_add_co_ci_u32_e64 v4, s6, v4, v6, s6
	s_delay_alu instid0(VALU_DEP_3)
	v_and_b32_e32 v5, 1, v5
.LBB113_77:
	s_or_b32 exec_lo, exec_lo, s7
	v_add_nc_u32_e32 v6, -1, v52
	s_delay_alu instid0(VALU_DEP_2) | instskip(NEXT) | instid1(VALU_DEP_2)
	v_and_b32_e32 v5, 0xffff, v5
	v_cmp_gt_i32_e64 s6, 0, v6
	s_delay_alu instid0(VALU_DEP_1) | instskip(SKIP_1) | instid1(VALU_DEP_2)
	v_cndmask_b32_e64 v6, v6, v52, s6
	v_cmp_eq_u32_e64 s6, 0, v52
	v_lshlrev_b32_e32 v6, 2, v6
	ds_bpermute_b32 v31, v6, v3
	ds_bpermute_b32 v12, v6, v4
	;; [unrolled: 1-line block ×3, first 2 shown]
	s_and_saveexec_b32 s9, vcc_lo
	s_cbranch_execz .LBB113_116
; %bb.78:
	v_mov_b32_e32 v7, 0
	ds_load_b64 v[3:4], v7 offset:112
	ds_load_u8 v29, v7 offset:120
	s_and_saveexec_b32 s7, s6
	s_cbranch_execz .LBB113_80
; %bb.79:
	s_add_i32 s30, s15, 32
	s_mov_b32 s31, 0
	v_dual_mov_b32 v5, s30 :: v_dual_mov_b32 v6, 1
	s_lshl_b64 s[34:35], s[30:31], 4
	s_delay_alu instid0(SALU_CYCLE_1)
	s_add_u32 s30, s16, s34
	s_addc_u32 s31, s17, s35
	s_waitcnt lgkmcnt(1)
	global_store_b64 v7, v[3:4], s[30:31]
	s_waitcnt lgkmcnt(0)
	global_store_b8 v7, v29, s[30:31] offset:8
	s_waitcnt_vscnt null, 0x0
	buffer_gl1_inv
	buffer_gl0_inv
	global_store_b8 v5, v6, s[20:21]
.LBB113_80:
	s_or_b32 exec_lo, exec_lo, s7
	v_xad_u32 v5, v52, -1, s15
	s_mov_b32 s8, 0
	s_mov_b32 s7, exec_lo
	s_delay_alu instid0(VALU_DEP_1)
	v_add_nc_u32_e32 v6, 32, v5
	global_load_u8 v30, v6, s[20:21] glc
	s_waitcnt vmcnt(0)
	v_cmpx_eq_u16_e32 0, v30
	s_cbranch_execz .LBB113_84
; %bb.81:
	v_add_co_u32 v8, s14, s20, v6
	s_delay_alu instid0(VALU_DEP_1)
	v_add_co_ci_u32_e64 v9, null, s21, 0, s14
.LBB113_82:                             ; =>This Inner Loop Header: Depth=1
	global_load_u8 v30, v[8:9], off glc
	s_waitcnt vmcnt(0)
	v_cmp_ne_u16_e32 vcc_lo, 0, v30
	s_or_b32 s8, vcc_lo, s8
	s_delay_alu instid0(SALU_CYCLE_1)
	s_and_not1_b32 exec_lo, exec_lo, s8
	s_cbranch_execnz .LBB113_82
; %bb.83:
	s_or_b32 exec_lo, exec_lo, s8
.LBB113_84:
	s_delay_alu instid0(SALU_CYCLE_1)
	s_or_b32 exec_lo, exec_lo, s7
	v_dual_mov_b32 v8, s17 :: v_dual_mov_b32 v9, s16
	v_cmp_eq_u16_e32 vcc_lo, 1, v30
	v_lshlrev_b64 v[6:7], 4, v[6:7]
	s_waitcnt lgkmcnt(0)
	s_waitcnt_vscnt null, 0x0
	buffer_gl1_inv
	buffer_gl0_inv
	v_lshlrev_b32_e64 v34, v52, -1
	v_add_nc_u32_e32 v35, 1, v52
	v_cndmask_b32_e32 v9, s18, v9, vcc_lo
	v_cndmask_b32_e32 v8, s19, v8, vcc_lo
	s_mov_b32 s7, exec_lo
	s_delay_alu instid0(VALU_DEP_2) | instskip(NEXT) | instid1(VALU_DEP_2)
	v_add_co_u32 v6, vcc_lo, v9, v6
	v_add_co_ci_u32_e32 v7, vcc_lo, v8, v7, vcc_lo
	v_cmp_ne_u32_e32 vcc_lo, 31, v52
	s_clause 0x1
	global_load_u8 v67, v[6:7], off offset:8
	global_load_b64 v[9:10], v[6:7], off
	v_add_co_ci_u32_e32 v6, vcc_lo, 0, v52, vcc_lo
	v_cmp_eq_u16_e32 vcc_lo, 2, v30
	s_delay_alu instid0(VALU_DEP_2) | instskip(SKIP_1) | instid1(VALU_DEP_1)
	v_lshlrev_b32_e32 v33, 2, v6
	v_and_or_b32 v6, vcc_lo, v34, 0x80000000
	v_ctz_i32_b32_e32 v6, v6
	s_waitcnt vmcnt(1)
	v_and_b32_e32 v7, 1, v67
	s_waitcnt vmcnt(0)
	ds_bpermute_b32 v8, v33, v9
	ds_bpermute_b32 v36, v33, v10
	;; [unrolled: 1-line block ×3, first 2 shown]
	v_cmpx_le_u32_e64 v35, v6
	s_cbranch_execz .LBB113_86
; %bb.85:
	v_and_b32_e32 v7, 0xff, v67
	s_delay_alu instid0(VALU_DEP_1) | instskip(SKIP_3) | instid1(VALU_DEP_2)
	v_cmp_eq_u16_e32 vcc_lo, 0, v7
	s_waitcnt lgkmcnt(0)
	v_dual_cndmask_b32 v8, 0, v8 :: v_dual_and_b32 v7, 1, v37
	v_cndmask_b32_e32 v36, 0, v36, vcc_lo
	v_or_b32_e32 v67, v7, v67
	s_delay_alu instid0(VALU_DEP_3) | instskip(NEXT) | instid1(VALU_DEP_3)
	v_add_co_u32 v9, vcc_lo, v8, v9
	v_add_co_ci_u32_e32 v10, vcc_lo, v36, v10, vcc_lo
	s_delay_alu instid0(VALU_DEP_3)
	v_and_b32_e32 v7, 0xff, v67
.LBB113_86:
	s_or_b32 exec_lo, exec_lo, s7
	v_cmp_gt_u32_e32 vcc_lo, 30, v52
	s_waitcnt lgkmcnt(0)
	v_add_nc_u32_e32 v37, 2, v52
	s_mov_b32 s14, exec_lo
	v_cndmask_b32_e64 v8, 0, 1, vcc_lo
	s_delay_alu instid0(VALU_DEP_1) | instskip(NEXT) | instid1(VALU_DEP_1)
	v_lshlrev_b32_e32 v8, 1, v8
	v_add_lshl_u32 v36, v8, v52, 2
	ds_bpermute_b32 v8, v36, v9
	ds_bpermute_b32 v38, v36, v10
	ds_bpermute_b32 v61, v36, v7
	v_cmpx_le_u32_e64 v37, v6
	s_cbranch_execz .LBB113_88
; %bb.87:
	v_and_b32_e32 v7, 0xff, v67
	s_waitcnt lgkmcnt(0)
	v_and_b32_e32 v61, 1, v61
	s_delay_alu instid0(VALU_DEP_2) | instskip(SKIP_1) | instid1(VALU_DEP_3)
	v_cmp_eq_u16_e32 vcc_lo, 0, v7
	v_and_b32_e32 v62, 1, v67
	v_cmp_eq_u32_e64 s8, 1, v61
	v_cndmask_b32_e32 v7, 0, v38, vcc_lo
	s_delay_alu instid0(VALU_DEP_3) | instskip(SKIP_1) | instid1(VALU_DEP_2)
	v_cmp_eq_u32_e64 s7, 1, v62
	v_cndmask_b32_e32 v8, 0, v8, vcc_lo
	s_or_b32 s7, s7, s8
	s_delay_alu instid0(VALU_DEP_1)
	v_add_co_u32 v9, vcc_lo, v8, v9
	v_cndmask_b32_e64 v67, 0, 1, s7
	v_add_co_ci_u32_e32 v10, vcc_lo, v7, v10, vcc_lo
	v_cndmask_b32_e64 v7, 0, 1, s7
.LBB113_88:
	s_or_b32 exec_lo, exec_lo, s14
	v_cmp_gt_u32_e32 vcc_lo, 28, v52
	s_waitcnt lgkmcnt(0)
	v_add_nc_u32_e32 v61, 4, v52
	s_mov_b32 s14, exec_lo
	v_cndmask_b32_e64 v8, 0, 1, vcc_lo
	s_delay_alu instid0(VALU_DEP_1) | instskip(NEXT) | instid1(VALU_DEP_1)
	v_lshlrev_b32_e32 v8, 2, v8
	v_add_lshl_u32 v38, v8, v52, 2
	ds_bpermute_b32 v8, v38, v9
	ds_bpermute_b32 v62, v38, v10
	ds_bpermute_b32 v63, v38, v7
	v_cmpx_le_u32_e64 v61, v6
	s_cbranch_execz .LBB113_90
; %bb.89:
	v_and_b32_e32 v7, 0xff, v67
	s_waitcnt lgkmcnt(0)
	v_and_b32_e32 v63, 1, v63
	s_delay_alu instid0(VALU_DEP_2) | instskip(SKIP_1) | instid1(VALU_DEP_3)
	v_cmp_eq_u16_e32 vcc_lo, 0, v7
	v_and_b32_e32 v64, 1, v67
	v_cmp_eq_u32_e64 s8, 1, v63
	v_cndmask_b32_e32 v7, 0, v62, vcc_lo
	s_delay_alu instid0(VALU_DEP_3) | instskip(SKIP_1) | instid1(VALU_DEP_2)
	v_cmp_eq_u32_e64 s7, 1, v64
	v_cndmask_b32_e32 v8, 0, v8, vcc_lo
	s_or_b32 s7, s7, s8
	s_delay_alu instid0(VALU_DEP_1)
	v_add_co_u32 v9, vcc_lo, v8, v9
	v_cndmask_b32_e64 v67, 0, 1, s7
	v_add_co_ci_u32_e32 v10, vcc_lo, v7, v10, vcc_lo
	v_cndmask_b32_e64 v7, 0, 1, s7
.LBB113_90:
	;; [unrolled: 33-line block ×3, first 2 shown]
	s_or_b32 exec_lo, exec_lo, s14
	v_cmp_gt_u32_e32 vcc_lo, 16, v52
	v_add_nc_u32_e32 v66, 16, v52
	s_mov_b32 s14, exec_lo
	s_waitcnt lgkmcnt(2)
	v_cndmask_b32_e64 v8, 0, 1, vcc_lo
	s_delay_alu instid0(VALU_DEP_1) | instskip(SKIP_1) | instid1(VALU_DEP_1)
	v_lshlrev_b32_e32 v8, 4, v8
	s_waitcnt lgkmcnt(0)
	v_add_lshl_u32 v65, v8, v52, 2
	ds_bpermute_b32 v8, v65, v9
	ds_bpermute_b32 v64, v65, v10
	;; [unrolled: 1-line block ×3, first 2 shown]
	v_cmpx_le_u32_e64 v66, v6
	s_cbranch_execz .LBB113_94
; %bb.93:
	v_and_b32_e32 v6, 0xff, v67
	s_delay_alu instid0(VALU_DEP_1) | instskip(SKIP_4) | instid1(VALU_DEP_3)
	v_cmp_eq_u16_e32 vcc_lo, 0, v6
	v_and_b32_e32 v6, 1, v67
	s_waitcnt lgkmcnt(0)
	v_dual_cndmask_b32 v64, 0, v64 :: v_dual_and_b32 v7, 1, v7
	v_cndmask_b32_e32 v8, 0, v8, vcc_lo
	v_cmp_eq_u32_e32 vcc_lo, 1, v6
	s_delay_alu instid0(VALU_DEP_3) | instskip(NEXT) | instid1(VALU_DEP_3)
	v_cmp_eq_u32_e64 s7, 1, v7
	v_add_co_u32 v9, s8, v8, v9
	s_delay_alu instid0(VALU_DEP_2)
	s_or_b32 s7, vcc_lo, s7
	v_add_co_ci_u32_e64 v10, s8, v64, v10, s8
	v_cndmask_b32_e64 v67, 0, 1, s7
.LBB113_94:
	s_or_b32 exec_lo, exec_lo, s14
	v_mov_b32_e32 v6, 0
	s_branch .LBB113_96
.LBB113_95:                             ;   in Loop: Header=BB113_96 Depth=1
	s_or_b32 exec_lo, exec_lo, s23
	v_and_b32_e32 v67, 0xff, v64
	v_subrev_nc_u32_e32 v5, 32, v5
	s_delay_alu instid0(VALU_DEP_2) | instskip(SKIP_2) | instid1(VALU_DEP_2)
	v_cmp_eq_u16_e32 vcc_lo, 0, v67
	v_dual_cndmask_b32 v10, 0, v10 :: v_dual_and_b32 v67, 1, v64
	v_cndmask_b32_e32 v9, 0, v9, vcc_lo
	v_cmp_eq_u32_e32 vcc_lo, 1, v67
	s_delay_alu instid0(VALU_DEP_2) | instskip(NEXT) | instid1(VALU_DEP_1)
	v_add_co_u32 v9, s7, v9, v7
	v_add_co_ci_u32_e64 v10, s7, v10, v8, s7
	s_or_b32 s7, vcc_lo, s14
	s_delay_alu instid0(SALU_CYCLE_1)
	v_cndmask_b32_e64 v67, 0, 1, s7
.LBB113_96:                             ; =>This Loop Header: Depth=1
                                        ;     Child Loop BB113_99 Depth 2
	s_waitcnt lgkmcnt(0)
	s_delay_alu instid0(VALU_DEP_1) | instskip(NEXT) | instid1(VALU_DEP_1)
	v_dual_mov_b32 v64, v67 :: v_dual_and_b32 v7, 0xff, v30
	v_cmp_ne_u16_e32 vcc_lo, 2, v7
	v_cndmask_b32_e64 v7, 0, 1, vcc_lo
	;;#ASMSTART
	;;#ASMEND
	s_delay_alu instid0(VALU_DEP_1)
	v_cmp_ne_u32_e32 vcc_lo, 0, v7
	v_dual_mov_b32 v7, v9 :: v_dual_mov_b32 v8, v10
	s_cmp_lg_u32 vcc_lo, exec_lo
	s_cbranch_scc1 .LBB113_111
; %bb.97:                               ;   in Loop: Header=BB113_96 Depth=1
	global_load_u8 v30, v5, s[20:21] glc
	s_mov_b32 s7, exec_lo
	s_waitcnt vmcnt(0)
	v_cmpx_eq_u16_e32 0, v30
	s_cbranch_execz .LBB113_101
; %bb.98:                               ;   in Loop: Header=BB113_96 Depth=1
	v_add_co_u32 v9, s8, s20, v5
	s_delay_alu instid0(VALU_DEP_1)
	v_add_co_ci_u32_e64 v10, null, s21, 0, s8
	s_mov_b32 s8, 0
.LBB113_99:                             ;   Parent Loop BB113_96 Depth=1
                                        ; =>  This Inner Loop Header: Depth=2
	global_load_u8 v30, v[9:10], off glc
	s_waitcnt vmcnt(0)
	v_cmp_ne_u16_e32 vcc_lo, 0, v30
	s_or_b32 s8, vcc_lo, s8
	s_delay_alu instid0(SALU_CYCLE_1)
	s_and_not1_b32 exec_lo, exec_lo, s8
	s_cbranch_execnz .LBB113_99
; %bb.100:                              ;   in Loop: Header=BB113_96 Depth=1
	s_or_b32 exec_lo, exec_lo, s8
.LBB113_101:                            ;   in Loop: Header=BB113_96 Depth=1
	s_delay_alu instid0(SALU_CYCLE_1)
	s_or_b32 exec_lo, exec_lo, s7
	v_dual_mov_b32 v67, s17 :: v_dual_mov_b32 v68, s16
	v_cmp_eq_u16_e32 vcc_lo, 1, v30
	v_lshlrev_b64 v[9:10], 4, v[5:6]
	buffer_gl1_inv
	buffer_gl0_inv
	s_mov_b32 s8, exec_lo
	v_cndmask_b32_e32 v68, s18, v68, vcc_lo
	v_cndmask_b32_e32 v67, s19, v67, vcc_lo
	s_delay_alu instid0(VALU_DEP_2) | instskip(NEXT) | instid1(VALU_DEP_2)
	v_add_co_u32 v9, vcc_lo, v68, v9
	v_add_co_ci_u32_e32 v10, vcc_lo, v67, v10, vcc_lo
	v_cmp_eq_u16_e32 vcc_lo, 2, v30
	s_clause 0x1
	global_load_u8 v67, v[9:10], off offset:8
	global_load_b64 v[9:10], v[9:10], off
	v_and_or_b32 v68, vcc_lo, v34, 0x80000000
	s_delay_alu instid0(VALU_DEP_1)
	v_ctz_i32_b32_e32 v68, v68
	s_waitcnt vmcnt(1)
	v_and_b32_e32 v69, 1, v67
	s_waitcnt vmcnt(0)
	ds_bpermute_b32 v70, v33, v9
	ds_bpermute_b32 v71, v33, v10
	;; [unrolled: 1-line block ×3, first 2 shown]
	v_cmp_eq_u32_e64 s14, 1, v69
	v_cmpx_le_u32_e64 v35, v68
	s_cbranch_execz .LBB113_103
; %bb.102:                              ;   in Loop: Header=BB113_96 Depth=1
	s_waitcnt lgkmcnt(0)
	v_and_b32_e32 v69, 1, v72
	v_and_b32_e32 v72, 0xff, v67
	s_delay_alu instid0(VALU_DEP_1) | instskip(SKIP_1) | instid1(VALU_DEP_4)
	v_cmp_eq_u16_e32 vcc_lo, 0, v72
	v_cndmask_b32_e32 v70, 0, v70, vcc_lo
	v_or_b32_e32 v67, v69, v67
	v_cndmask_b32_e32 v71, 0, v71, vcc_lo
	s_delay_alu instid0(VALU_DEP_3) | instskip(NEXT) | instid1(VALU_DEP_3)
	v_add_co_u32 v9, s7, v70, v9
	v_and_b32_e32 v69, 1, v67
	s_delay_alu instid0(VALU_DEP_3) | instskip(SKIP_1) | instid1(VALU_DEP_2)
	v_add_co_ci_u32_e64 v10, s7, v71, v10, s7
	s_and_not1_b32 s7, s14, exec_lo
	v_cmp_eq_u32_e32 vcc_lo, 1, v69
	v_and_b32_e32 v69, 0xff, v67
	s_and_b32 s14, vcc_lo, exec_lo
	s_delay_alu instid0(SALU_CYCLE_1)
	s_or_b32 s14, s7, s14
.LBB113_103:                            ;   in Loop: Header=BB113_96 Depth=1
	s_or_b32 exec_lo, exec_lo, s8
	s_waitcnt lgkmcnt(2)
	ds_bpermute_b32 v70, v36, v9
	s_waitcnt lgkmcnt(2)
	ds_bpermute_b32 v71, v36, v10
	s_waitcnt lgkmcnt(2)
	ds_bpermute_b32 v72, v36, v69
	s_mov_b32 s23, exec_lo
	v_cmpx_le_u32_e64 v37, v68
	s_cbranch_execz .LBB113_105
; %bb.104:                              ;   in Loop: Header=BB113_96 Depth=1
	v_and_b32_e32 v69, 1, v67
	v_and_b32_e32 v67, 0xff, v67
	s_waitcnt lgkmcnt(0)
	v_and_b32_e32 v72, 1, v72
	s_delay_alu instid0(VALU_DEP_3) | instskip(NEXT) | instid1(VALU_DEP_3)
	v_cmp_eq_u32_e32 vcc_lo, 1, v69
	v_cmp_eq_u16_e64 s7, 0, v67
	s_delay_alu instid0(VALU_DEP_3) | instskip(NEXT) | instid1(VALU_DEP_2)
	v_cmp_eq_u32_e64 s8, 1, v72
	v_cndmask_b32_e64 v70, 0, v70, s7
	v_cndmask_b32_e64 v71, 0, v71, s7
	s_delay_alu instid0(VALU_DEP_3)
	s_or_b32 s7, vcc_lo, s8
	s_and_not1_b32 s8, s14, exec_lo
	v_cndmask_b32_e64 v67, 0, 1, s7
	v_add_co_u32 v9, vcc_lo, v70, v9
	v_cndmask_b32_e64 v69, 0, 1, s7
	v_add_co_ci_u32_e32 v10, vcc_lo, v71, v10, vcc_lo
	s_and_b32 s7, s7, exec_lo
	s_delay_alu instid0(SALU_CYCLE_1)
	s_or_b32 s14, s8, s7
.LBB113_105:                            ;   in Loop: Header=BB113_96 Depth=1
	s_or_b32 exec_lo, exec_lo, s23
	s_waitcnt lgkmcnt(2)
	ds_bpermute_b32 v70, v38, v9
	s_waitcnt lgkmcnt(2)
	ds_bpermute_b32 v71, v38, v10
	s_waitcnt lgkmcnt(2)
	ds_bpermute_b32 v72, v38, v69
	s_mov_b32 s23, exec_lo
	v_cmpx_le_u32_e64 v61, v68
	s_cbranch_execz .LBB113_107
; %bb.106:                              ;   in Loop: Header=BB113_96 Depth=1
	v_and_b32_e32 v69, 1, v67
	v_and_b32_e32 v67, 0xff, v67
	s_waitcnt lgkmcnt(0)
	v_and_b32_e32 v72, 1, v72
	s_delay_alu instid0(VALU_DEP_3) | instskip(NEXT) | instid1(VALU_DEP_3)
	v_cmp_eq_u32_e32 vcc_lo, 1, v69
	v_cmp_eq_u16_e64 s7, 0, v67
	s_delay_alu instid0(VALU_DEP_3) | instskip(NEXT) | instid1(VALU_DEP_2)
	v_cmp_eq_u32_e64 s8, 1, v72
	v_cndmask_b32_e64 v70, 0, v70, s7
	v_cndmask_b32_e64 v71, 0, v71, s7
	s_delay_alu instid0(VALU_DEP_3)
	s_or_b32 s7, vcc_lo, s8
	s_and_not1_b32 s8, s14, exec_lo
	v_cndmask_b32_e64 v67, 0, 1, s7
	v_add_co_u32 v9, vcc_lo, v70, v9
	v_cndmask_b32_e64 v69, 0, 1, s7
	v_add_co_ci_u32_e32 v10, vcc_lo, v71, v10, vcc_lo
	s_and_b32 s7, s7, exec_lo
	s_delay_alu instid0(SALU_CYCLE_1)
	s_or_b32 s14, s8, s7
.LBB113_107:                            ;   in Loop: Header=BB113_96 Depth=1
	;; [unrolled: 33-line block ×3, first 2 shown]
	s_or_b32 exec_lo, exec_lo, s23
	s_waitcnt lgkmcnt(2)
	ds_bpermute_b32 v70, v65, v9
	s_waitcnt lgkmcnt(2)
	ds_bpermute_b32 v71, v65, v10
	ds_bpermute_b32 v69, v65, v69
	s_mov_b32 s23, exec_lo
	v_cmpx_le_u32_e64 v66, v68
	s_cbranch_execz .LBB113_95
; %bb.110:                              ;   in Loop: Header=BB113_96 Depth=1
	v_and_b32_e32 v68, 0xff, v67
	s_waitcnt lgkmcnt(0)
	v_and_b32_e32 v69, 1, v69
	s_delay_alu instid0(VALU_DEP_2) | instskip(SKIP_1) | instid1(VALU_DEP_3)
	v_cmp_eq_u16_e32 vcc_lo, 0, v68
	v_and_b32_e32 v67, 1, v67
	v_cmp_eq_u32_e64 s8, 1, v69
	v_cndmask_b32_e32 v68, 0, v70, vcc_lo
	s_delay_alu instid0(VALU_DEP_3) | instskip(SKIP_1) | instid1(VALU_DEP_3)
	v_cmp_eq_u32_e64 s7, 1, v67
	v_cndmask_b32_e32 v67, 0, v71, vcc_lo
	v_add_co_u32 v9, vcc_lo, v68, v9
	s_delay_alu instid0(VALU_DEP_3) | instskip(NEXT) | instid1(VALU_DEP_2)
	s_or_b32 s7, s7, s8
	v_add_co_ci_u32_e32 v10, vcc_lo, v67, v10, vcc_lo
	s_and_not1_b32 s8, s14, exec_lo
	s_and_b32 s7, s7, exec_lo
	s_delay_alu instid0(SALU_CYCLE_1)
	s_or_b32 s14, s8, s7
	s_branch .LBB113_95
.LBB113_111:                            ;   in Loop: Header=BB113_96 Depth=1
                                        ; implicit-def: $vgpr67
                                        ; implicit-def: $vgpr9_vgpr10
                                        ; implicit-def: $vgpr30
	s_cbranch_execz .LBB113_96
; %bb.112:
	s_and_saveexec_b32 s7, s6
	s_cbranch_execz .LBB113_114
; %bb.113:
	v_dual_mov_b32 v6, 0 :: v_dual_and_b32 v5, 0xff, v29
	s_mov_b32 s17, 0
	s_add_i32 s16, s15, 32
	s_delay_alu instid0(SALU_CYCLE_1) | instskip(NEXT) | instid1(VALU_DEP_1)
	s_lshl_b64 s[14:15], s[16:17], 4
	v_cmp_eq_u16_e32 vcc_lo, 0, v5
	v_or_b32_e32 v5, v29, v64
	v_dual_mov_b32 v29, 2 :: v_dual_mov_b32 v30, s16
	s_add_u32 s14, s18, s14
	v_dual_cndmask_b32 v9, 0, v8 :: v_dual_cndmask_b32 v10, 0, v7
	s_delay_alu instid0(VALU_DEP_3) | instskip(SKIP_1) | instid1(VALU_DEP_2)
	v_and_b32_e32 v5, 1, v5
	s_addc_u32 s15, s19, s15
	v_add_co_u32 v3, vcc_lo, v10, v3
	s_delay_alu instid0(VALU_DEP_3)
	v_add_co_ci_u32_e32 v4, vcc_lo, v9, v4, vcc_lo
	s_clause 0x1
	global_store_b64 v6, v[3:4], s[14:15]
	global_store_b8 v6, v5, s[14:15] offset:8
	s_waitcnt lgkmcnt(0)
	s_waitcnt_vscnt null, 0x0
	buffer_gl1_inv
	buffer_gl0_inv
	global_store_b8 v30, v29, s[20:21]
.LBB113_114:
	s_or_b32 exec_lo, exec_lo, s7
	v_cmp_eq_u32_e32 vcc_lo, 0, v0
	s_and_b32 exec_lo, exec_lo, vcc_lo
	s_cbranch_execz .LBB113_116
; %bb.115:
	v_mov_b32_e32 v3, 0
	ds_store_b64 v3, v[7:8] offset:112
	ds_store_b8 v3, v64 offset:120
.LBB113_116:
	s_or_b32 exec_lo, exec_lo, s9
	v_mov_b32_e32 v3, 0
	s_waitcnt lgkmcnt(0)
	s_waitcnt_vscnt null, 0x0
	s_barrier
	buffer_gl0_inv
	s_mov_b32 s7, 0
	ds_load_b64 v[29:30], v3 offset:112
	s_mov_b32 s8, exec_lo
	v_cmpx_ne_u32_e32 0, v0
	s_cbranch_execz .LBB113_118
; %bb.117:
	v_cndmask_b32_e64 v3, v32, v11, s6
	v_cndmask_b32_e64 v1, v31, v1, s6
	;; [unrolled: 1-line block ×3, first 2 shown]
	s_delay_alu instid0(VALU_DEP_3) | instskip(NEXT) | instid1(VALU_DEP_1)
	v_and_b32_e32 v3, 0xff, v3
	v_cmp_eq_u16_e32 vcc_lo, 0, v3
	s_waitcnt lgkmcnt(0)
	v_dual_cndmask_b32 v4, 0, v29 :: v_dual_cndmask_b32 v3, 0, v30
	s_delay_alu instid0(VALU_DEP_1) | instskip(NEXT) | instid1(VALU_DEP_2)
	v_add_co_u32 v29, vcc_lo, v1, v4
	v_add_co_ci_u32_e32 v30, vcc_lo, v2, v3, vcc_lo
.LBB113_118:
	s_or_b32 exec_lo, exec_lo, s8
	v_and_b32_e32 v1, 0xff, v39
	s_delay_alu instid0(VALU_DEP_1) | instskip(SKIP_2) | instid1(VALU_DEP_1)
	v_cmp_eq_u16_e32 vcc_lo, 0, v1
	s_waitcnt lgkmcnt(0)
	v_dual_cndmask_b32 v2, 0, v29 :: v_dual_cndmask_b32 v1, 0, v30
	v_add_co_u32 v3, vcc_lo, v2, v13
	s_delay_alu instid0(VALU_DEP_2) | instskip(NEXT) | instid1(VALU_DEP_2)
	v_add_co_ci_u32_e32 v4, vcc_lo, v1, v14, vcc_lo
	v_cndmask_b32_e64 v1, 0, v3, s4
	s_delay_alu instid0(VALU_DEP_2) | instskip(NEXT) | instid1(VALU_DEP_2)
	v_cndmask_b32_e64 v2, 0, v4, s4
	v_add_co_u32 v5, vcc_lo, v1, v17
	s_delay_alu instid0(VALU_DEP_2) | instskip(NEXT) | instid1(VALU_DEP_2)
	v_add_co_ci_u32_e32 v6, vcc_lo, v2, v18, vcc_lo
	v_cndmask_b32_e64 v1, 0, v5, s3
	s_delay_alu instid0(VALU_DEP_2) | instskip(NEXT) | instid1(VALU_DEP_2)
	v_cndmask_b32_e64 v2, 0, v6, s3
	;; [unrolled: 6-line block ×5, first 2 shown]
	v_add_co_u32 v35, vcc_lo, v1, v25
	s_delay_alu instid0(VALU_DEP_2) | instskip(NEXT) | instid1(VALU_DEP_2)
	v_add_co_ci_u32_e32 v36, vcc_lo, v2, v26, vcc_lo
	v_cndmask_b32_e64 v37, 0, v35, s5
	s_delay_alu instid0(VALU_DEP_2)
	v_cndmask_b32_e64 v38, 0, v36, s5
	s_and_b32 vcc_lo, exec_lo, s7
	s_cbranch_vccnz .LBB113_120
	s_branch .LBB113_147
.LBB113_119:
                                        ; implicit-def: $vgpr29_vgpr30
                                        ; implicit-def: $vgpr37_vgpr38
                                        ; implicit-def: $vgpr35_vgpr36
                                        ; implicit-def: $vgpr33_vgpr34
                                        ; implicit-def: $vgpr31_vgpr32
                                        ; implicit-def: $vgpr9_vgpr10_vgpr11_vgpr12
                                        ; implicit-def: $vgpr5_vgpr6_vgpr7_vgpr8
                                        ; implicit-def: $vgpr1_vgpr2_vgpr3_vgpr4
	s_cbranch_execz .LBB113_147
.LBB113_120:
	s_cmp_eq_u64 s[28:29], 0
	s_cbranch_scc1 .LBB113_122
; %bb.121:
	s_load_b64 s[26:27], s[28:29], 0x0
.LBB113_122:
	v_cmp_eq_u16_e64 s3, 0, v60
	v_cmp_eq_u16_e64 s2, 0, v59
	;; [unrolled: 1-line block ×4, first 2 shown]
	v_or_b32_e32 v3, v55, v51
	v_cndmask_b32_e64 v2, 0, v13, s3
	v_cndmask_b32_e64 v1, 0, v14, s3
	s_mov_b32 s7, exec_lo
	s_delay_alu instid0(VALU_DEP_3) | instskip(NEXT) | instid1(VALU_DEP_3)
	v_or_b32_e32 v3, v3, v50
	v_add_co_u32 v2, vcc_lo, v2, v17
	s_delay_alu instid0(VALU_DEP_3) | instskip(NEXT) | instid1(VALU_DEP_3)
	v_add_co_ci_u32_e32 v1, vcc_lo, v1, v18, vcc_lo
	v_or_b32_e32 v3, v3, v49
	s_delay_alu instid0(VALU_DEP_3) | instskip(NEXT) | instid1(VALU_DEP_3)
	v_cndmask_b32_e64 v2, 0, v2, s2
	v_cndmask_b32_e64 v1, 0, v1, s2
	s_delay_alu instid0(VALU_DEP_3) | instskip(NEXT) | instid1(VALU_DEP_3)
	v_or_b32_e32 v3, v3, v48
	v_add_co_u32 v2, vcc_lo, v2, v19
	s_delay_alu instid0(VALU_DEP_3) | instskip(NEXT) | instid1(VALU_DEP_3)
	v_add_co_ci_u32_e32 v1, vcc_lo, v1, v20, vcc_lo
	v_or_b32_e32 v4, v3, v39
	s_delay_alu instid0(VALU_DEP_3) | instskip(NEXT) | instid1(VALU_DEP_3)
	v_cndmask_b32_e64 v2, 0, v2, s1
	v_cndmask_b32_e64 v1, 0, v1, s1
	s_delay_alu instid0(VALU_DEP_3) | instskip(NEXT) | instid1(VALU_DEP_3)
	v_and_b32_e32 v5, 1, v4
	v_add_co_u32 v2, vcc_lo, v2, v21
	s_delay_alu instid0(VALU_DEP_3) | instskip(NEXT) | instid1(VALU_DEP_3)
	v_add_co_ci_u32_e32 v1, vcc_lo, v1, v22, vcc_lo
	v_dual_mov_b32 v4, v5 :: v_dual_and_b32 v3, 15, v52
	s_delay_alu instid0(VALU_DEP_3) | instskip(NEXT) | instid1(VALU_DEP_3)
	v_cndmask_b32_e64 v2, 0, v2, s0
	v_cndmask_b32_e64 v1, 0, v1, s0
	v_mov_b32_dpp v8, v5 row_shr:1 row_mask:0xf bank_mask:0xf
	s_delay_alu instid0(VALU_DEP_3) | instskip(NEXT) | instid1(VALU_DEP_3)
	v_add_co_u32 v2, vcc_lo, v2, v23
	v_add_co_ci_u32_e32 v1, vcc_lo, v1, v24, vcc_lo
	v_cmp_eq_u16_e32 vcc_lo, 0, v56
	s_delay_alu instid0(VALU_DEP_2) | instskip(NEXT) | instid1(VALU_DEP_1)
	v_dual_cndmask_b32 v1, 0, v1 :: v_dual_cndmask_b32 v2, 0, v2
	v_add_co_u32 v2, s4, v2, v25
	s_delay_alu instid0(VALU_DEP_1) | instskip(SKIP_1) | instid1(VALU_DEP_1)
	v_add_co_ci_u32_e64 v1, s4, v1, v26, s4
	v_cmp_eq_u16_e64 s4, 0, v54
	v_cndmask_b32_e64 v2, 0, v2, s4
	s_delay_alu instid0(VALU_DEP_3) | instskip(NEXT) | instid1(VALU_DEP_2)
	v_cndmask_b32_e64 v1, 0, v1, s4
	v_add_co_u32 v2, s5, v2, v15
	s_delay_alu instid0(VALU_DEP_1) | instskip(SKIP_1) | instid1(VALU_DEP_1)
	v_add_co_ci_u32_e64 v1, s5, v1, v16, s5
	v_cmp_eq_u16_e64 s5, 0, v53
	v_cndmask_b32_e64 v6, 0, v1, s5
	s_delay_alu instid0(VALU_DEP_4) | instskip(NEXT) | instid1(VALU_DEP_1)
	v_cndmask_b32_e64 v1, 0, v2, s5
	v_add_co_u32 v1, s5, v1, v27
	s_delay_alu instid0(VALU_DEP_1) | instskip(SKIP_1) | instid1(VALU_DEP_3)
	v_add_co_ci_u32_e64 v2, s5, v6, v28, s5
	v_cmp_eq_u32_e64 s5, 1, v5
	v_mov_b32_dpp v6, v1 row_shr:1 row_mask:0xf bank_mask:0xf
	s_delay_alu instid0(VALU_DEP_3)
	v_mov_b32_dpp v7, v2 row_shr:1 row_mask:0xf bank_mask:0xf
	v_cmpx_ne_u32_e32 0, v3
; %bb.123:
	v_and_b32_e32 v4, 1, v8
	s_delay_alu instid0(VALU_DEP_4) | instskip(NEXT) | instid1(VALU_DEP_4)
	v_cndmask_b32_e64 v6, v6, 0, s5
	v_cndmask_b32_e64 v7, v7, 0, s5
	s_delay_alu instid0(VALU_DEP_3) | instskip(NEXT) | instid1(VALU_DEP_3)
	v_or_b32_e32 v5, v4, v5
	v_add_co_u32 v1, s5, v6, v1
	s_delay_alu instid0(VALU_DEP_1) | instskip(NEXT) | instid1(VALU_DEP_3)
	v_add_co_ci_u32_e64 v2, s5, v7, v2, s5
	v_and_b32_e32 v4, 0xffff, v5
; %bb.124:
	s_or_b32 exec_lo, exec_lo, s7
	s_delay_alu instid0(VALU_DEP_3) | instskip(NEXT) | instid1(VALU_DEP_3)
	v_mov_b32_dpp v6, v1 row_shr:2 row_mask:0xf bank_mask:0xf
	v_mov_b32_dpp v7, v2 row_shr:2 row_mask:0xf bank_mask:0xf
	s_delay_alu instid0(VALU_DEP_3)
	v_mov_b32_dpp v8, v4 row_shr:2 row_mask:0xf bank_mask:0xf
	s_mov_b32 s8, exec_lo
	v_cmpx_lt_u32_e32 1, v3
	s_cbranch_execz .LBB113_126
; %bb.125:
	v_and_b32_e32 v4, 1, v5
	v_and_b32_e32 v8, 1, v8
	v_cmp_eq_u16_e64 s5, 0, v5
	s_delay_alu instid0(VALU_DEP_3) | instskip(NEXT) | instid1(VALU_DEP_3)
	v_cmp_eq_u32_e64 s6, 1, v4
	v_cmp_eq_u32_e64 s7, 1, v8
	s_delay_alu instid0(VALU_DEP_3) | instskip(SKIP_1) | instid1(VALU_DEP_3)
	v_cndmask_b32_e64 v5, 0, v6, s5
	v_cndmask_b32_e64 v4, 0, v7, s5
	s_or_b32 s6, s6, s7
	s_delay_alu instid0(VALU_DEP_2) | instskip(SKIP_1) | instid1(VALU_DEP_3)
	v_add_co_u32 v1, s5, v5, v1
	v_cndmask_b32_e64 v6, 0, 1, s6
	v_add_co_ci_u32_e64 v2, s5, v4, v2, s5
	v_cndmask_b32_e64 v4, 0, 1, s6
	s_delay_alu instid0(VALU_DEP_3)
	v_mov_b32_e32 v5, v6
.LBB113_126:
	s_or_b32 exec_lo, exec_lo, s8
	v_mov_b32_dpp v6, v1 row_shr:4 row_mask:0xf bank_mask:0xf
	v_mov_b32_dpp v7, v2 row_shr:4 row_mask:0xf bank_mask:0xf
	;; [unrolled: 1-line block ×3, first 2 shown]
	s_mov_b32 s8, exec_lo
	v_cmpx_lt_u32_e32 3, v3
	s_cbranch_execz .LBB113_128
; %bb.127:
	v_and_b32_e32 v4, 1, v5
	v_and_b32_e32 v8, 1, v8
	v_cmp_eq_u16_e64 s5, 0, v5
	s_delay_alu instid0(VALU_DEP_3) | instskip(NEXT) | instid1(VALU_DEP_3)
	v_cmp_eq_u32_e64 s6, 1, v4
	v_cmp_eq_u32_e64 s7, 1, v8
	s_delay_alu instid0(VALU_DEP_3) | instskip(SKIP_1) | instid1(VALU_DEP_3)
	v_cndmask_b32_e64 v5, 0, v6, s5
	v_cndmask_b32_e64 v4, 0, v7, s5
	s_or_b32 s6, s6, s7
	s_delay_alu instid0(VALU_DEP_2) | instskip(SKIP_1) | instid1(VALU_DEP_3)
	v_add_co_u32 v1, s5, v5, v1
	v_cndmask_b32_e64 v6, 0, 1, s6
	v_add_co_ci_u32_e64 v2, s5, v4, v2, s5
	v_cndmask_b32_e64 v4, 0, 1, s6
	s_delay_alu instid0(VALU_DEP_3)
	v_mov_b32_e32 v5, v6
.LBB113_128:
	s_or_b32 exec_lo, exec_lo, s8
	v_mov_b32_dpp v6, v1 row_shr:8 row_mask:0xf bank_mask:0xf
	v_mov_b32_dpp v7, v2 row_shr:8 row_mask:0xf bank_mask:0xf
	;; [unrolled: 1-line block ×3, first 2 shown]
	s_mov_b32 s8, exec_lo
	v_cmpx_lt_u32_e32 7, v3
	s_cbranch_execz .LBB113_130
; %bb.129:
	v_and_b32_e32 v3, 1, v5
	v_and_b32_e32 v4, 1, v8
	v_cmp_eq_u16_e64 s5, 0, v5
	s_delay_alu instid0(VALU_DEP_3) | instskip(NEXT) | instid1(VALU_DEP_3)
	v_cmp_eq_u32_e64 s6, 1, v3
	v_cmp_eq_u32_e64 s7, 1, v4
	s_delay_alu instid0(VALU_DEP_3) | instskip(SKIP_1) | instid1(VALU_DEP_3)
	v_cndmask_b32_e64 v4, 0, v6, s5
	v_cndmask_b32_e64 v3, 0, v7, s5
	s_or_b32 s6, s6, s7
	s_delay_alu instid0(VALU_DEP_2) | instskip(SKIP_1) | instid1(VALU_DEP_3)
	v_add_co_u32 v1, s5, v4, v1
	v_cndmask_b32_e64 v5, 0, 1, s6
	v_add_co_ci_u32_e64 v2, s5, v3, v2, s5
	v_cndmask_b32_e64 v4, 0, 1, s6
.LBB113_130:
	s_or_b32 exec_lo, exec_lo, s8
	ds_swizzle_b32 v3, v1 offset:swizzle(BROADCAST,32,15)
	ds_swizzle_b32 v6, v2 offset:swizzle(BROADCAST,32,15)
	;; [unrolled: 1-line block ×3, first 2 shown]
	v_and_b32_e32 v7, 16, v52
	s_mov_b32 s8, exec_lo
	s_delay_alu instid0(VALU_DEP_1)
	v_cmpx_ne_u32_e32 0, v7
	s_cbranch_execz .LBB113_132
; %bb.131:
	v_and_b32_e32 v7, 1, v5
	s_waitcnt lgkmcnt(0)
	v_and_b32_e32 v4, 1, v4
	v_cmp_eq_u16_e64 s5, 0, v5
	s_delay_alu instid0(VALU_DEP_3) | instskip(NEXT) | instid1(VALU_DEP_3)
	v_cmp_eq_u32_e64 s6, 1, v7
	v_cmp_eq_u32_e64 s7, 1, v4
	s_delay_alu instid0(VALU_DEP_3) | instskip(SKIP_1) | instid1(VALU_DEP_3)
	v_cndmask_b32_e64 v3, 0, v3, s5
	v_cndmask_b32_e64 v4, 0, v6, s5
	s_or_b32 s5, s6, s7
	s_delay_alu instid0(SALU_CYCLE_1) | instskip(NEXT) | instid1(VALU_DEP_3)
	v_cndmask_b32_e64 v5, 0, 1, s5
	v_add_co_u32 v1, s5, v3, v1
	s_delay_alu instid0(VALU_DEP_1)
	v_add_co_ci_u32_e64 v2, s5, v4, v2, s5
.LBB113_132:
	s_or_b32 exec_lo, exec_lo, s8
	s_waitcnt lgkmcnt(0)
	v_or_b32_e32 v3, 31, v0
	s_mov_b32 s6, exec_lo
	s_delay_alu instid0(VALU_DEP_1)
	v_cmpx_eq_u32_e64 v3, v0
	s_cbranch_execz .LBB113_134
; %bb.133:
	v_lshlrev_b32_e32 v3, 4, v45
	ds_store_b64 v3, v[1:2]
	ds_store_b8 v3, v5 offset:8
.LBB113_134:
	s_or_b32 exec_lo, exec_lo, s6
	s_delay_alu instid0(SALU_CYCLE_1)
	s_mov_b32 s8, exec_lo
	s_waitcnt lgkmcnt(0)
	s_barrier
	buffer_gl0_inv
	v_cmpx_gt_u32_e32 8, v0
	s_cbranch_execz .LBB113_142
; %bb.135:
	v_lshlrev_b32_e32 v6, 4, v0
	s_mov_b32 s6, exec_lo
	ds_load_b64 v[3:4], v6
	ds_load_b32 v10, v6 offset:8
	v_and_b32_e32 v7, 7, v52
	s_waitcnt lgkmcnt(1)
	v_mov_b32_dpp v12, v3 row_shr:1 row_mask:0xf bank_mask:0xf
	s_waitcnt lgkmcnt(0)
	v_mov_b32_e32 v8, v10
	v_mov_b32_dpp v27, v4 row_shr:1 row_mask:0xf bank_mask:0xf
	v_and_b32_e32 v9, 0xffffff00, v10
	v_mov_b32_dpp v28, v10 row_shr:1 row_mask:0xf bank_mask:0xf
	v_mov_b32_e32 v11, v10
	v_cmpx_ne_u32_e32 0, v7
; %bb.136:
	v_and_b32_e32 v8, 0xff, v10
	s_delay_alu instid0(VALU_DEP_4) | instskip(NEXT) | instid1(VALU_DEP_2)
	v_or_b32_e32 v10, v28, v10
	v_cmp_eq_u16_e64 s5, 0, v8
	s_delay_alu instid0(VALU_DEP_2) | instskip(SKIP_1) | instid1(VALU_DEP_3)
	v_and_b32_e32 v11, 1, v10
	v_and_b32_e32 v8, 1, v10
	v_cndmask_b32_e64 v12, 0, v12, s5
	v_cndmask_b32_e64 v27, 0, v27, s5
	s_delay_alu instid0(VALU_DEP_4) | instskip(NEXT) | instid1(VALU_DEP_3)
	v_or_b32_e32 v10, v11, v9
	v_add_co_u32 v3, s5, v12, v3
	s_delay_alu instid0(VALU_DEP_1)
	v_add_co_ci_u32_e64 v4, s5, v27, v4, s5
; %bb.137:
	s_or_b32 exec_lo, exec_lo, s6
	s_delay_alu instid0(VALU_DEP_2) | instskip(NEXT) | instid1(VALU_DEP_2)
	v_mov_b32_dpp v12, v3 row_shr:2 row_mask:0xf bank_mask:0xf
	v_mov_b32_dpp v27, v4 row_shr:2 row_mask:0xf bank_mask:0xf
	;; [unrolled: 1-line block ×3, first 2 shown]
	s_mov_b32 s9, exec_lo
	v_cmpx_lt_u32_e32 1, v7
	s_cbranch_execz .LBB113_139
; %bb.138:
	v_and_b32_e32 v8, 1, v11
	v_and_b32_e32 v10, 0xff, v11
	;; [unrolled: 1-line block ×3, first 2 shown]
	s_delay_alu instid0(VALU_DEP_3) | instskip(NEXT) | instid1(VALU_DEP_3)
	v_cmp_eq_u32_e64 s5, 1, v8
	v_cmp_eq_u16_e64 s6, 0, v10
	s_delay_alu instid0(VALU_DEP_3) | instskip(NEXT) | instid1(VALU_DEP_2)
	v_cmp_eq_u32_e64 s7, 1, v11
	v_cndmask_b32_e64 v11, 0, v12, s6
	s_delay_alu instid0(VALU_DEP_2) | instskip(SKIP_4) | instid1(VALU_DEP_1)
	s_or_b32 s5, s5, s7
	v_cndmask_b32_e64 v10, 0, v27, s6
	v_cndmask_b32_e64 v8, 0, 1, s5
	;; [unrolled: 1-line block ×3, first 2 shown]
	v_add_co_u32 v3, s5, v11, v3
	v_add_co_ci_u32_e64 v4, s5, v10, v4, s5
	s_delay_alu instid0(VALU_DEP_4) | instskip(NEXT) | instid1(VALU_DEP_4)
	v_mov_b32_e32 v11, v8
	v_or_b32_e32 v10, v9, v12
.LBB113_139:
	s_or_b32 exec_lo, exec_lo, s9
	v_mov_b32_dpp v9, v3 row_shr:4 row_mask:0xf bank_mask:0xf
	v_mov_b32_dpp v12, v4 row_shr:4 row_mask:0xf bank_mask:0xf
	s_delay_alu instid0(VALU_DEP_3)
	v_mov_b32_dpp v10, v10 row_shr:4 row_mask:0xf bank_mask:0xf
	s_mov_b32 s9, exec_lo
	v_cmpx_lt_u32_e32 3, v7
	s_cbranch_execz .LBB113_141
; %bb.140:
	v_and_b32_e32 v7, 0xff, v11
	v_and_b32_e32 v8, 1, v11
	v_and_b32_e32 v10, 1, v10
	s_delay_alu instid0(VALU_DEP_3) | instskip(NEXT) | instid1(VALU_DEP_3)
	v_cmp_eq_u16_e64 s5, 0, v7
	v_cmp_eq_u32_e64 s6, 1, v8
	s_delay_alu instid0(VALU_DEP_3) | instskip(NEXT) | instid1(VALU_DEP_3)
	v_cmp_eq_u32_e64 s7, 1, v10
	v_cndmask_b32_e64 v9, 0, v9, s5
	v_cndmask_b32_e64 v7, 0, v12, s5
	s_delay_alu instid0(VALU_DEP_3) | instskip(NEXT) | instid1(SALU_CYCLE_1)
	s_or_b32 s5, s6, s7
	v_cndmask_b32_e64 v8, 0, 1, s5
	s_delay_alu instid0(VALU_DEP_3) | instskip(NEXT) | instid1(VALU_DEP_1)
	v_add_co_u32 v3, s5, v9, v3
	v_add_co_ci_u32_e64 v4, s5, v7, v4, s5
.LBB113_141:
	s_or_b32 exec_lo, exec_lo, s9
	ds_store_b64 v6, v[3:4]
	ds_store_b8 v6, v8 offset:8
.LBB113_142:
	s_or_b32 exec_lo, exec_lo, s8
	v_dual_mov_b32 v3, s26 :: v_dual_mov_b32 v4, s27
	s_mov_b32 s6, exec_lo
	s_waitcnt lgkmcnt(0)
	s_barrier
	buffer_gl0_inv
	v_cmpx_lt_u32_e32 31, v0
	s_cbranch_execz .LBB113_144
; %bb.143:
	v_lshl_add_u32 v3, v45, 4, -16
	ds_load_u8 v6, v3 offset:8
	ds_load_b64 v[3:4], v3
	s_waitcnt lgkmcnt(1)
	v_cmp_eq_u16_e64 s5, 0, v6
	s_delay_alu instid0(VALU_DEP_1) | instskip(SKIP_2) | instid1(VALU_DEP_2)
	v_cndmask_b32_e64 v7, 0, s26, s5
	v_cndmask_b32_e64 v6, 0, s27, s5
	s_waitcnt lgkmcnt(0)
	v_add_co_u32 v3, s5, v7, v3
	s_delay_alu instid0(VALU_DEP_1)
	v_add_co_ci_u32_e64 v4, s5, v6, v4, s5
.LBB113_144:
	s_or_b32 exec_lo, exec_lo, s6
	v_cmp_eq_u16_e64 s5, 0, v5
	v_add_nc_u32_e32 v5, -1, v52
	s_delay_alu instid0(VALU_DEP_2) | instskip(SKIP_1) | instid1(VALU_DEP_3)
	v_cndmask_b32_e64 v6, 0, v4, s5
	v_cndmask_b32_e64 v7, 0, v3, s5
	v_cmp_gt_i32_e64 s5, 0, v5
	s_delay_alu instid0(VALU_DEP_1) | instskip(NEXT) | instid1(VALU_DEP_3)
	v_cndmask_b32_e64 v5, v5, v52, s5
	v_add_co_u32 v1, s5, v7, v1
	s_delay_alu instid0(VALU_DEP_1) | instskip(NEXT) | instid1(VALU_DEP_3)
	v_add_co_ci_u32_e64 v2, s5, v6, v2, s5
	v_lshlrev_b32_e32 v5, 2, v5
	v_cmp_eq_u32_e64 s5, 0, v52
	ds_bpermute_b32 v2, v5, v2
	ds_bpermute_b32 v1, v5, v1
	s_waitcnt lgkmcnt(1)
	v_cndmask_b32_e64 v30, v2, v4, s5
	s_waitcnt lgkmcnt(0)
	v_cndmask_b32_e64 v29, v1, v3, s5
	v_cmp_eq_u32_e64 s5, 0, v0
	v_and_b32_e32 v1, 0xff, v39
	s_delay_alu instid0(VALU_DEP_2) | instskip(NEXT) | instid1(VALU_DEP_2)
	v_cndmask_b32_e64 v2, v29, s26, s5
	v_cmp_eq_u16_e64 s6, 0, v1
	v_cndmask_b32_e64 v3, v30, s27, s5
	s_delay_alu instid0(VALU_DEP_2) | instskip(NEXT) | instid1(VALU_DEP_2)
	v_cndmask_b32_e64 v2, 0, v2, s6
	v_cndmask_b32_e64 v1, 0, v3, s6
	s_delay_alu instid0(VALU_DEP_2) | instskip(NEXT) | instid1(VALU_DEP_1)
	v_add_co_u32 v3, s6, v2, v13
	v_add_co_ci_u32_e64 v4, s6, v1, v14, s6
	s_delay_alu instid0(VALU_DEP_2) | instskip(NEXT) | instid1(VALU_DEP_2)
	v_cndmask_b32_e64 v1, 0, v3, s3
	v_cndmask_b32_e64 v2, 0, v4, s3
	s_delay_alu instid0(VALU_DEP_2) | instskip(NEXT) | instid1(VALU_DEP_1)
	v_add_co_u32 v5, s3, v1, v17
	v_add_co_ci_u32_e64 v6, s3, v2, v18, s3
	;; [unrolled: 6-line block ×5, first 2 shown]
	s_delay_alu instid0(VALU_DEP_1) | instskip(NEXT) | instid1(VALU_DEP_1)
	v_dual_cndmask_b32 v1, 0, v33 :: v_dual_cndmask_b32 v2, 0, v34
	v_add_co_u32 v35, vcc_lo, v1, v25
	s_delay_alu instid0(VALU_DEP_2) | instskip(NEXT) | instid1(VALU_DEP_2)
	v_add_co_ci_u32_e32 v36, vcc_lo, v2, v26, vcc_lo
	v_cndmask_b32_e64 v37, 0, v35, s4
	s_delay_alu instid0(VALU_DEP_2)
	v_cndmask_b32_e64 v38, 0, v36, s4
	s_and_saveexec_b32 s0, s5
	s_cbranch_execz .LBB113_146
; %bb.145:
	v_dual_mov_b32 v7, 0 :: v_dual_mov_b32 v30, s27
	v_mov_b32_e32 v11, 2
	v_mov_b32_e32 v29, s26
	ds_load_u8 v8, v7 offset:120
	ds_load_b64 v[1:2], v7 offset:112
	s_waitcnt lgkmcnt(1)
	v_cmp_eq_u16_e32 vcc_lo, 0, v8
	s_and_b32 s1, vcc_lo, exec_lo
	s_cselect_b32 s2, s26, 0
	s_cselect_b32 s1, s27, 0
	s_waitcnt lgkmcnt(0)
	v_add_co_u32 v1, vcc_lo, s2, v1
	v_add_co_ci_u32_e32 v2, vcc_lo, s1, v2, vcc_lo
	s_clause 0x1
	global_store_b64 v7, v[1:2], s[18:19] offset:512
	global_store_b8 v7, v8, s[18:19] offset:520
	s_waitcnt_vscnt null, 0x0
	buffer_gl1_inv
	buffer_gl0_inv
	global_store_b8 v7, v11, s[20:21] offset:32
.LBB113_146:
	s_or_b32 exec_lo, exec_lo, s0
.LBB113_147:
	v_add_co_u32 v7, vcc_lo, v37, v15
	v_add_co_ci_u32_e32 v8, vcc_lo, v38, v16, vcc_lo
	v_lshlrev_b32_e32 v27, 1, v0
	v_lshlrev_b32_e32 v2, 3, v0
	s_add_u32 s0, s24, s12
	s_addc_u32 s1, s25, s13
	s_and_b32 vcc_lo, exec_lo, s11
	s_cbranch_vccz .LBB113_157
; %bb.148:
	v_and_b32_e32 v1, 0x1f8, v27
	v_lshrrev_b32_e32 v11, 5, v47
	v_lshrrev_b32_e32 v12, 5, v46
	s_waitcnt_vscnt null, 0x0
	s_barrier
	v_lshl_add_u32 v1, v0, 6, v1
	buffer_gl0_inv
	v_lshrrev_b32_e32 v13, 5, v43
	v_lshrrev_b32_e32 v14, 5, v42
	;; [unrolled: 1-line block ×3, first 2 shown]
	ds_store_2addr_b64 v1, v[29:30], v[3:4] offset1:1
	ds_store_2addr_b64 v1, v[5:6], v[31:32] offset0:2 offset1:3
	ds_store_2addr_b64 v1, v[9:10], v[33:34] offset0:4 offset1:5
	;; [unrolled: 1-line block ×3, first 2 shown]
	v_add_lshl_u32 v1, v11, v0, 3
	v_add_lshl_u32 v11, v12, v0, 3
	v_lshrrev_b32_e32 v12, 5, v44
	v_lshrrev_b32_e32 v16, 5, v40
	v_add_lshl_u32 v13, v13, v0, 3
	v_add_lshl_u32 v14, v14, v0, 3
	s_waitcnt lgkmcnt(0)
	v_add_lshl_u32 v12, v12, v0, 3
	s_barrier
	buffer_gl0_inv
	v_add_lshl_u32 v15, v15, v0, 3
	v_add_lshl_u32 v16, v16, v0, 3
	ds_load_b64 v[25:26], v1 offset:2048
	ds_load_b64 v[23:24], v11 offset:4096
	;; [unrolled: 1-line block ×7, first 2 shown]
	v_add_co_u32 v15, s3, s0, v2
	v_mov_b32_e32 v1, 0
	v_add_co_ci_u32_e64 v16, null, s1, 0, s3
	s_lshl_b32 s2, s10, 11
	s_mov_b32 s3, exec_lo
	s_sub_i32 s2, s22, s2
	s_delay_alu instid0(SALU_CYCLE_1)
	v_cmpx_gt_u32_e64 s2, v0
	s_cbranch_execnz .LBB113_169
; %bb.149:
	s_or_b32 exec_lo, exec_lo, s3
	s_delay_alu instid0(SALU_CYCLE_1)
	s_mov_b32 s3, exec_lo
	v_cmpx_gt_u32_e64 s2, v47
	s_cbranch_execnz .LBB113_170
.LBB113_150:
	s_or_b32 exec_lo, exec_lo, s3
	s_delay_alu instid0(SALU_CYCLE_1)
	s_mov_b32 s3, exec_lo
	v_cmpx_gt_u32_e64 s2, v46
	s_cbranch_execnz .LBB113_171
.LBB113_151:
	s_or_b32 exec_lo, exec_lo, s3
	s_delay_alu instid0(SALU_CYCLE_1)
	s_mov_b32 s3, exec_lo
	v_cmpx_gt_u32_e64 s2, v44
	s_cbranch_execnz .LBB113_172
.LBB113_152:
	s_or_b32 exec_lo, exec_lo, s3
	s_delay_alu instid0(SALU_CYCLE_1)
	s_mov_b32 s3, exec_lo
	v_cmpx_gt_u32_e64 s2, v43
	s_cbranch_execnz .LBB113_173
.LBB113_153:
	s_or_b32 exec_lo, exec_lo, s3
	s_delay_alu instid0(SALU_CYCLE_1)
	s_mov_b32 s3, exec_lo
	v_cmpx_gt_u32_e64 s2, v42
	s_cbranch_execnz .LBB113_174
.LBB113_154:
	s_or_b32 exec_lo, exec_lo, s3
	s_delay_alu instid0(SALU_CYCLE_1)
	s_mov_b32 s3, exec_lo
	v_cmpx_gt_u32_e64 s2, v41
	s_cbranch_execz .LBB113_156
.LBB113_155:
	v_add_co_u32 v15, vcc_lo, 0x3000, v15
	v_add_co_ci_u32_e32 v16, vcc_lo, 0, v16, vcc_lo
	s_waitcnt lgkmcnt(1)
	global_store_b64 v[15:16], v[13:14], off
.LBB113_156:
	s_or_b32 exec_lo, exec_lo, s3
	v_cmp_gt_u32_e64 s2, s2, v40
	s_branch .LBB113_159
.LBB113_157:
	s_mov_b32 s2, 0
                                        ; implicit-def: $vgpr11_vgpr12
	s_cbranch_execz .LBB113_159
; %bb.158:
	v_and_b32_e32 v1, 0x1f8, v27
	s_waitcnt lgkmcnt(0)
	v_lshrrev_b32_e32 v11, 5, v47
	s_waitcnt_vscnt null, 0x0
	s_barrier
	buffer_gl0_inv
	v_lshl_add_u32 v1, v0, 6, v1
	v_add_co_u32 v23, s3, s0, v2
	s_delay_alu instid0(VALU_DEP_1)
	v_add_co_ci_u32_e64 v24, null, s1, 0, s3
	ds_store_2addr_b64 v1, v[29:30], v[3:4] offset1:1
	ds_store_2addr_b64 v1, v[5:6], v[31:32] offset0:2 offset1:3
	ds_store_2addr_b64 v1, v[9:10], v[33:34] offset0:4 offset1:5
	;; [unrolled: 1-line block ×3, first 2 shown]
	v_add_lshl_u32 v3, v45, v0, 3
	v_add_lshl_u32 v5, v11, v0, 3
	s_waitcnt lgkmcnt(0)
	s_barrier
	buffer_gl0_inv
	ds_load_b64 v[3:4], v3
	ds_load_b64 v[5:6], v5 offset:2048
	v_lshrrev_b32_e32 v1, 5, v46
	v_lshrrev_b32_e32 v7, 5, v44
	v_lshrrev_b32_e32 v8, 5, v43
	v_lshrrev_b32_e32 v9, 5, v42
	v_lshrrev_b32_e32 v10, 5, v41
	v_lshrrev_b32_e32 v11, 5, v40
	v_add_lshl_u32 v1, v1, v0, 3
	v_add_lshl_u32 v12, v7, v0, 3
	v_add_lshl_u32 v13, v8, v0, 3
	v_add_lshl_u32 v15, v9, v0, 3
	v_add_lshl_u32 v17, v10, v0, 3
	v_add_lshl_u32 v11, v11, v0, 3
	ds_load_b64 v[7:8], v1 offset:4096
	ds_load_b64 v[9:10], v12 offset:6144
	;; [unrolled: 1-line block ×6, first 2 shown]
	v_mov_b32_e32 v1, 0
	s_or_b32 s2, s2, exec_lo
	s_waitcnt lgkmcnt(6)
	global_store_b64 v2, v[5:6], s[0:1] offset:2048
	v_add_co_u32 v5, vcc_lo, 0x1000, v23
	v_add_co_ci_u32_e32 v6, vcc_lo, 0, v24, vcc_lo
	v_add_co_u32 v19, vcc_lo, v23, 0x2000
	v_add_co_ci_u32_e32 v20, vcc_lo, 0, v24, vcc_lo
	;; [unrolled: 2-line block ×3, first 2 shown]
	global_store_b64 v2, v[3:4], s[0:1]
	s_waitcnt lgkmcnt(3)
	global_store_b64 v[19:20], v[13:14], off
	v_add_co_u32 v2, vcc_lo, 0x3000, v23
	v_add_co_ci_u32_e32 v3, vcc_lo, 0, v24, vcc_lo
	global_store_b64 v[5:6], v[9:10], off offset:2048
	s_waitcnt lgkmcnt(2)
	s_clause 0x1
	global_store_b64 v[21:22], v[15:16], off offset:2048
	global_store_b64 v[19:20], v[7:8], off offset:-4096
	s_waitcnt lgkmcnt(1)
	global_store_b64 v[2:3], v[17:18], off
.LBB113_159:
	s_delay_alu instid0(VALU_DEP_1)
	s_and_saveexec_b32 s3, s2
	s_cbranch_execnz .LBB113_161
; %bb.160:
	s_nop 0
	s_sendmsg sendmsg(MSG_DEALLOC_VGPRS)
	s_endpgm
.LBB113_161:
	v_lshlrev_b64 v[0:1], 3, v[0:1]
	s_delay_alu instid0(VALU_DEP_1) | instskip(NEXT) | instid1(VALU_DEP_2)
	v_add_co_u32 v0, vcc_lo, s0, v0
	v_add_co_ci_u32_e32 v1, vcc_lo, s1, v1, vcc_lo
	s_delay_alu instid0(VALU_DEP_2) | instskip(NEXT) | instid1(VALU_DEP_2)
	v_add_co_u32 v0, vcc_lo, 0x3000, v0
	v_add_co_ci_u32_e32 v1, vcc_lo, 0, v1, vcc_lo
	s_waitcnt lgkmcnt(0)
	global_store_b64 v[0:1], v[11:12], off offset:2048
	s_nop 0
	s_sendmsg sendmsg(MSG_DEALLOC_VGPRS)
	s_endpgm
.LBB113_162:
	global_load_b64 v[1:2], v[3:4], off
	s_or_b32 exec_lo, exec_lo, s7
                                        ; implicit-def: $vgpr13_vgpr14
	s_and_saveexec_b32 s7, s0
	s_cbranch_execz .LBB113_21
.LBB113_163:
	global_load_b64 v[13:14], v[3:4], off offset:2048
	s_or_b32 exec_lo, exec_lo, s7
                                        ; implicit-def: $vgpr15_vgpr16
	s_and_saveexec_b32 s0, s3
	s_cbranch_execz .LBB113_22
.LBB113_164:
	v_add_co_u32 v15, vcc_lo, 0x1000, v3
	v_add_co_ci_u32_e32 v16, vcc_lo, 0, v4, vcc_lo
	global_load_b64 v[15:16], v[15:16], off
	s_or_b32 exec_lo, exec_lo, s0
                                        ; implicit-def: $vgpr17_vgpr18
	s_and_saveexec_b32 s0, s2
	s_cbranch_execz .LBB113_23
.LBB113_165:
	v_add_co_u32 v17, vcc_lo, 0x1000, v3
	v_add_co_ci_u32_e32 v18, vcc_lo, 0, v4, vcc_lo
	global_load_b64 v[17:18], v[17:18], off offset:2048
	s_or_b32 exec_lo, exec_lo, s0
                                        ; implicit-def: $vgpr19_vgpr20
	s_and_saveexec_b32 s0, s1
	s_cbranch_execz .LBB113_24
.LBB113_166:
	v_add_co_u32 v19, vcc_lo, 0x2000, v3
	v_add_co_ci_u32_e32 v20, vcc_lo, 0, v4, vcc_lo
	global_load_b64 v[19:20], v[19:20], off
	s_or_b32 exec_lo, exec_lo, s0
                                        ; implicit-def: $vgpr21_vgpr22
	s_and_saveexec_b32 s0, s4
	s_cbranch_execz .LBB113_25
.LBB113_167:
	v_add_co_u32 v21, vcc_lo, 0x2000, v3
	v_add_co_ci_u32_e32 v22, vcc_lo, 0, v4, vcc_lo
	global_load_b64 v[21:22], v[21:22], off offset:2048
	s_or_b32 exec_lo, exec_lo, s0
                                        ; implicit-def: $vgpr23_vgpr24
	s_and_saveexec_b32 s0, s5
	s_cbranch_execz .LBB113_26
.LBB113_168:
	v_add_co_u32 v23, vcc_lo, 0x3000, v3
	v_add_co_ci_u32_e32 v24, vcc_lo, 0, v4, vcc_lo
	global_load_b64 v[23:24], v[23:24], off
	s_or_b32 exec_lo, exec_lo, s0
                                        ; implicit-def: $vgpr25_vgpr26
	s_and_saveexec_b32 s0, s6
	s_cbranch_execnz .LBB113_27
	s_branch .LBB113_28
.LBB113_169:
	v_add_lshl_u32 v28, v45, v0, 3
	ds_load_b64 v[37:38], v28
	s_waitcnt lgkmcnt(0)
	global_store_b64 v[15:16], v[37:38], off
	s_or_b32 exec_lo, exec_lo, s3
	s_delay_alu instid0(SALU_CYCLE_1)
	s_mov_b32 s3, exec_lo
	v_cmpx_gt_u32_e64 s2, v47
	s_cbranch_execz .LBB113_150
.LBB113_170:
	s_waitcnt lgkmcnt(6)
	global_store_b64 v[15:16], v[25:26], off offset:2048
	s_or_b32 exec_lo, exec_lo, s3
	s_delay_alu instid0(SALU_CYCLE_1)
	s_mov_b32 s3, exec_lo
	v_cmpx_gt_u32_e64 s2, v46
	s_cbranch_execz .LBB113_151
.LBB113_171:
	s_waitcnt lgkmcnt(6)
	v_add_co_u32 v25, vcc_lo, 0x1000, v15
	v_add_co_ci_u32_e32 v26, vcc_lo, 0, v16, vcc_lo
	s_waitcnt lgkmcnt(5)
	global_store_b64 v[25:26], v[23:24], off
	s_or_b32 exec_lo, exec_lo, s3
	s_delay_alu instid0(SALU_CYCLE_1)
	s_mov_b32 s3, exec_lo
	v_cmpx_gt_u32_e64 s2, v44
	s_cbranch_execz .LBB113_152
.LBB113_172:
	s_waitcnt lgkmcnt(5)
	v_add_co_u32 v23, vcc_lo, 0x1000, v15
	v_add_co_ci_u32_e32 v24, vcc_lo, 0, v16, vcc_lo
	s_waitcnt lgkmcnt(4)
	global_store_b64 v[23:24], v[21:22], off offset:2048
	s_or_b32 exec_lo, exec_lo, s3
	s_delay_alu instid0(SALU_CYCLE_1)
	s_mov_b32 s3, exec_lo
	v_cmpx_gt_u32_e64 s2, v43
	s_cbranch_execz .LBB113_153
.LBB113_173:
	s_waitcnt lgkmcnt(4)
	v_add_co_u32 v21, vcc_lo, 0x2000, v15
	v_add_co_ci_u32_e32 v22, vcc_lo, 0, v16, vcc_lo
	s_waitcnt lgkmcnt(3)
	global_store_b64 v[21:22], v[19:20], off
	s_or_b32 exec_lo, exec_lo, s3
	s_delay_alu instid0(SALU_CYCLE_1)
	s_mov_b32 s3, exec_lo
	v_cmpx_gt_u32_e64 s2, v42
	s_cbranch_execz .LBB113_154
.LBB113_174:
	s_waitcnt lgkmcnt(3)
	v_add_co_u32 v19, vcc_lo, 0x2000, v15
	v_add_co_ci_u32_e32 v20, vcc_lo, 0, v16, vcc_lo
	s_waitcnt lgkmcnt(2)
	global_store_b64 v[19:20], v[17:18], off offset:2048
	s_or_b32 exec_lo, exec_lo, s3
	s_delay_alu instid0(SALU_CYCLE_1)
	s_mov_b32 s3, exec_lo
	v_cmpx_gt_u32_e64 s2, v41
	s_cbranch_execnz .LBB113_155
	s_branch .LBB113_156
	.section	.rodata,"a",@progbits
	.p2align	6, 0x0
	.amdhsa_kernel _ZN7rocprim6detail25device_scan_by_key_kernelILNS0_25lookback_scan_determinismE0ELb1ENS0_26wrapped_scan_by_key_configINS_14default_configEiyEEPiN6hipcub22TransformInputIteratorIyNS7_6CastOpIyEEPylEESB_yNS7_8EqualityENS7_3SumENS0_19lookback_scan_stateINS_5tupleIJybEEELb0ELb0EEEyEEvT2_T3_T4_T5_T6_T7_T8_mmmPKNSG_IJT9_bEEE
		.amdhsa_group_segment_fixed_size 16896
		.amdhsa_private_segment_fixed_size 0
		.amdhsa_kernarg_size 104
		.amdhsa_user_sgpr_count 15
		.amdhsa_user_sgpr_dispatch_ptr 0
		.amdhsa_user_sgpr_queue_ptr 0
		.amdhsa_user_sgpr_kernarg_segment_ptr 1
		.amdhsa_user_sgpr_dispatch_id 0
		.amdhsa_user_sgpr_private_segment_size 0
		.amdhsa_wavefront_size32 1
		.amdhsa_uses_dynamic_stack 0
		.amdhsa_enable_private_segment 0
		.amdhsa_system_sgpr_workgroup_id_x 1
		.amdhsa_system_sgpr_workgroup_id_y 0
		.amdhsa_system_sgpr_workgroup_id_z 0
		.amdhsa_system_sgpr_workgroup_info 0
		.amdhsa_system_vgpr_workitem_id 0
		.amdhsa_next_free_vgpr 73
		.amdhsa_next_free_sgpr 40
		.amdhsa_reserve_vcc 1
		.amdhsa_float_round_mode_32 0
		.amdhsa_float_round_mode_16_64 0
		.amdhsa_float_denorm_mode_32 3
		.amdhsa_float_denorm_mode_16_64 3
		.amdhsa_dx10_clamp 1
		.amdhsa_ieee_mode 1
		.amdhsa_fp16_overflow 0
		.amdhsa_workgroup_processor_mode 1
		.amdhsa_memory_ordered 1
		.amdhsa_forward_progress 0
		.amdhsa_shared_vgpr_count 0
		.amdhsa_exception_fp_ieee_invalid_op 0
		.amdhsa_exception_fp_denorm_src 0
		.amdhsa_exception_fp_ieee_div_zero 0
		.amdhsa_exception_fp_ieee_overflow 0
		.amdhsa_exception_fp_ieee_underflow 0
		.amdhsa_exception_fp_ieee_inexact 0
		.amdhsa_exception_int_div_zero 0
	.end_amdhsa_kernel
	.section	.text._ZN7rocprim6detail25device_scan_by_key_kernelILNS0_25lookback_scan_determinismE0ELb1ENS0_26wrapped_scan_by_key_configINS_14default_configEiyEEPiN6hipcub22TransformInputIteratorIyNS7_6CastOpIyEEPylEESB_yNS7_8EqualityENS7_3SumENS0_19lookback_scan_stateINS_5tupleIJybEEELb0ELb0EEEyEEvT2_T3_T4_T5_T6_T7_T8_mmmPKNSG_IJT9_bEEE,"axG",@progbits,_ZN7rocprim6detail25device_scan_by_key_kernelILNS0_25lookback_scan_determinismE0ELb1ENS0_26wrapped_scan_by_key_configINS_14default_configEiyEEPiN6hipcub22TransformInputIteratorIyNS7_6CastOpIyEEPylEESB_yNS7_8EqualityENS7_3SumENS0_19lookback_scan_stateINS_5tupleIJybEEELb0ELb0EEEyEEvT2_T3_T4_T5_T6_T7_T8_mmmPKNSG_IJT9_bEEE,comdat
.Lfunc_end113:
	.size	_ZN7rocprim6detail25device_scan_by_key_kernelILNS0_25lookback_scan_determinismE0ELb1ENS0_26wrapped_scan_by_key_configINS_14default_configEiyEEPiN6hipcub22TransformInputIteratorIyNS7_6CastOpIyEEPylEESB_yNS7_8EqualityENS7_3SumENS0_19lookback_scan_stateINS_5tupleIJybEEELb0ELb0EEEyEEvT2_T3_T4_T5_T6_T7_T8_mmmPKNSG_IJT9_bEEE, .Lfunc_end113-_ZN7rocprim6detail25device_scan_by_key_kernelILNS0_25lookback_scan_determinismE0ELb1ENS0_26wrapped_scan_by_key_configINS_14default_configEiyEEPiN6hipcub22TransformInputIteratorIyNS7_6CastOpIyEEPylEESB_yNS7_8EqualityENS7_3SumENS0_19lookback_scan_stateINS_5tupleIJybEEELb0ELb0EEEyEEvT2_T3_T4_T5_T6_T7_T8_mmmPKNSG_IJT9_bEEE
                                        ; -- End function
	.section	.AMDGPU.csdata,"",@progbits
; Kernel info:
; codeLenInByte = 11780
; NumSgprs: 42
; NumVgprs: 73
; ScratchSize: 0
; MemoryBound: 0
; FloatMode: 240
; IeeeMode: 1
; LDSByteSize: 16896 bytes/workgroup (compile time only)
; SGPRBlocks: 5
; VGPRBlocks: 9
; NumSGPRsForWavesPerEU: 42
; NumVGPRsForWavesPerEU: 73
; Occupancy: 14
; WaveLimiterHint : 1
; COMPUTE_PGM_RSRC2:SCRATCH_EN: 0
; COMPUTE_PGM_RSRC2:USER_SGPR: 15
; COMPUTE_PGM_RSRC2:TRAP_HANDLER: 0
; COMPUTE_PGM_RSRC2:TGID_X_EN: 1
; COMPUTE_PGM_RSRC2:TGID_Y_EN: 0
; COMPUTE_PGM_RSRC2:TGID_Z_EN: 0
; COMPUTE_PGM_RSRC2:TIDIG_COMP_CNT: 0
	.section	.text._ZN7rocprim6detail25device_scan_by_key_kernelILNS0_25lookback_scan_determinismE0ELb1ENS0_26wrapped_scan_by_key_configINS_14default_configEiyEEPiN6hipcub22TransformInputIteratorIyNS7_6CastOpIyEEPylEESB_yNS7_8EqualityENS7_3MinENS0_19lookback_scan_stateINS_5tupleIJybEEELb1ELb0EEEyEEvT2_T3_T4_T5_T6_T7_T8_mmmPKNSG_IJT9_bEEE,"axG",@progbits,_ZN7rocprim6detail25device_scan_by_key_kernelILNS0_25lookback_scan_determinismE0ELb1ENS0_26wrapped_scan_by_key_configINS_14default_configEiyEEPiN6hipcub22TransformInputIteratorIyNS7_6CastOpIyEEPylEESB_yNS7_8EqualityENS7_3MinENS0_19lookback_scan_stateINS_5tupleIJybEEELb1ELb0EEEyEEvT2_T3_T4_T5_T6_T7_T8_mmmPKNSG_IJT9_bEEE,comdat
	.protected	_ZN7rocprim6detail25device_scan_by_key_kernelILNS0_25lookback_scan_determinismE0ELb1ENS0_26wrapped_scan_by_key_configINS_14default_configEiyEEPiN6hipcub22TransformInputIteratorIyNS7_6CastOpIyEEPylEESB_yNS7_8EqualityENS7_3MinENS0_19lookback_scan_stateINS_5tupleIJybEEELb1ELb0EEEyEEvT2_T3_T4_T5_T6_T7_T8_mmmPKNSG_IJT9_bEEE ; -- Begin function _ZN7rocprim6detail25device_scan_by_key_kernelILNS0_25lookback_scan_determinismE0ELb1ENS0_26wrapped_scan_by_key_configINS_14default_configEiyEEPiN6hipcub22TransformInputIteratorIyNS7_6CastOpIyEEPylEESB_yNS7_8EqualityENS7_3MinENS0_19lookback_scan_stateINS_5tupleIJybEEELb1ELb0EEEyEEvT2_T3_T4_T5_T6_T7_T8_mmmPKNSG_IJT9_bEEE
	.globl	_ZN7rocprim6detail25device_scan_by_key_kernelILNS0_25lookback_scan_determinismE0ELb1ENS0_26wrapped_scan_by_key_configINS_14default_configEiyEEPiN6hipcub22TransformInputIteratorIyNS7_6CastOpIyEEPylEESB_yNS7_8EqualityENS7_3MinENS0_19lookback_scan_stateINS_5tupleIJybEEELb1ELb0EEEyEEvT2_T3_T4_T5_T6_T7_T8_mmmPKNSG_IJT9_bEEE
	.p2align	8
	.type	_ZN7rocprim6detail25device_scan_by_key_kernelILNS0_25lookback_scan_determinismE0ELb1ENS0_26wrapped_scan_by_key_configINS_14default_configEiyEEPiN6hipcub22TransformInputIteratorIyNS7_6CastOpIyEEPylEESB_yNS7_8EqualityENS7_3MinENS0_19lookback_scan_stateINS_5tupleIJybEEELb1ELb0EEEyEEvT2_T3_T4_T5_T6_T7_T8_mmmPKNSG_IJT9_bEEE,@function
_ZN7rocprim6detail25device_scan_by_key_kernelILNS0_25lookback_scan_determinismE0ELb1ENS0_26wrapped_scan_by_key_configINS_14default_configEiyEEPiN6hipcub22TransformInputIteratorIyNS7_6CastOpIyEEPylEESB_yNS7_8EqualityENS7_3MinENS0_19lookback_scan_stateINS_5tupleIJybEEELb1ELb0EEEyEEvT2_T3_T4_T5_T6_T7_T8_mmmPKNSG_IJT9_bEEE: ; @_ZN7rocprim6detail25device_scan_by_key_kernelILNS0_25lookback_scan_determinismE0ELb1ENS0_26wrapped_scan_by_key_configINS_14default_configEiyEEPiN6hipcub22TransformInputIteratorIyNS7_6CastOpIyEEPylEESB_yNS7_8EqualityENS7_3MinENS0_19lookback_scan_stateINS_5tupleIJybEEELb1ELb0EEEyEEvT2_T3_T4_T5_T6_T7_T8_mmmPKNSG_IJT9_bEEE
; %bb.0:
	s_endpgm
	.section	.rodata,"a",@progbits
	.p2align	6, 0x0
	.amdhsa_kernel _ZN7rocprim6detail25device_scan_by_key_kernelILNS0_25lookback_scan_determinismE0ELb1ENS0_26wrapped_scan_by_key_configINS_14default_configEiyEEPiN6hipcub22TransformInputIteratorIyNS7_6CastOpIyEEPylEESB_yNS7_8EqualityENS7_3MinENS0_19lookback_scan_stateINS_5tupleIJybEEELb1ELb0EEEyEEvT2_T3_T4_T5_T6_T7_T8_mmmPKNSG_IJT9_bEEE
		.amdhsa_group_segment_fixed_size 0
		.amdhsa_private_segment_fixed_size 0
		.amdhsa_kernarg_size 104
		.amdhsa_user_sgpr_count 15
		.amdhsa_user_sgpr_dispatch_ptr 0
		.amdhsa_user_sgpr_queue_ptr 0
		.amdhsa_user_sgpr_kernarg_segment_ptr 1
		.amdhsa_user_sgpr_dispatch_id 0
		.amdhsa_user_sgpr_private_segment_size 0
		.amdhsa_wavefront_size32 1
		.amdhsa_uses_dynamic_stack 0
		.amdhsa_enable_private_segment 0
		.amdhsa_system_sgpr_workgroup_id_x 1
		.amdhsa_system_sgpr_workgroup_id_y 0
		.amdhsa_system_sgpr_workgroup_id_z 0
		.amdhsa_system_sgpr_workgroup_info 0
		.amdhsa_system_vgpr_workitem_id 0
		.amdhsa_next_free_vgpr 1
		.amdhsa_next_free_sgpr 1
		.amdhsa_reserve_vcc 0
		.amdhsa_float_round_mode_32 0
		.amdhsa_float_round_mode_16_64 0
		.amdhsa_float_denorm_mode_32 3
		.amdhsa_float_denorm_mode_16_64 3
		.amdhsa_dx10_clamp 1
		.amdhsa_ieee_mode 1
		.amdhsa_fp16_overflow 0
		.amdhsa_workgroup_processor_mode 1
		.amdhsa_memory_ordered 1
		.amdhsa_forward_progress 0
		.amdhsa_shared_vgpr_count 0
		.amdhsa_exception_fp_ieee_invalid_op 0
		.amdhsa_exception_fp_denorm_src 0
		.amdhsa_exception_fp_ieee_div_zero 0
		.amdhsa_exception_fp_ieee_overflow 0
		.amdhsa_exception_fp_ieee_underflow 0
		.amdhsa_exception_fp_ieee_inexact 0
		.amdhsa_exception_int_div_zero 0
	.end_amdhsa_kernel
	.section	.text._ZN7rocprim6detail25device_scan_by_key_kernelILNS0_25lookback_scan_determinismE0ELb1ENS0_26wrapped_scan_by_key_configINS_14default_configEiyEEPiN6hipcub22TransformInputIteratorIyNS7_6CastOpIyEEPylEESB_yNS7_8EqualityENS7_3MinENS0_19lookback_scan_stateINS_5tupleIJybEEELb1ELb0EEEyEEvT2_T3_T4_T5_T6_T7_T8_mmmPKNSG_IJT9_bEEE,"axG",@progbits,_ZN7rocprim6detail25device_scan_by_key_kernelILNS0_25lookback_scan_determinismE0ELb1ENS0_26wrapped_scan_by_key_configINS_14default_configEiyEEPiN6hipcub22TransformInputIteratorIyNS7_6CastOpIyEEPylEESB_yNS7_8EqualityENS7_3MinENS0_19lookback_scan_stateINS_5tupleIJybEEELb1ELb0EEEyEEvT2_T3_T4_T5_T6_T7_T8_mmmPKNSG_IJT9_bEEE,comdat
.Lfunc_end114:
	.size	_ZN7rocprim6detail25device_scan_by_key_kernelILNS0_25lookback_scan_determinismE0ELb1ENS0_26wrapped_scan_by_key_configINS_14default_configEiyEEPiN6hipcub22TransformInputIteratorIyNS7_6CastOpIyEEPylEESB_yNS7_8EqualityENS7_3MinENS0_19lookback_scan_stateINS_5tupleIJybEEELb1ELb0EEEyEEvT2_T3_T4_T5_T6_T7_T8_mmmPKNSG_IJT9_bEEE, .Lfunc_end114-_ZN7rocprim6detail25device_scan_by_key_kernelILNS0_25lookback_scan_determinismE0ELb1ENS0_26wrapped_scan_by_key_configINS_14default_configEiyEEPiN6hipcub22TransformInputIteratorIyNS7_6CastOpIyEEPylEESB_yNS7_8EqualityENS7_3MinENS0_19lookback_scan_stateINS_5tupleIJybEEELb1ELb0EEEyEEvT2_T3_T4_T5_T6_T7_T8_mmmPKNSG_IJT9_bEEE
                                        ; -- End function
	.section	.AMDGPU.csdata,"",@progbits
; Kernel info:
; codeLenInByte = 4
; NumSgprs: 0
; NumVgprs: 0
; ScratchSize: 0
; MemoryBound: 0
; FloatMode: 240
; IeeeMode: 1
; LDSByteSize: 0 bytes/workgroup (compile time only)
; SGPRBlocks: 0
; VGPRBlocks: 0
; NumSGPRsForWavesPerEU: 1
; NumVGPRsForWavesPerEU: 1
; Occupancy: 16
; WaveLimiterHint : 0
; COMPUTE_PGM_RSRC2:SCRATCH_EN: 0
; COMPUTE_PGM_RSRC2:USER_SGPR: 15
; COMPUTE_PGM_RSRC2:TRAP_HANDLER: 0
; COMPUTE_PGM_RSRC2:TGID_X_EN: 1
; COMPUTE_PGM_RSRC2:TGID_Y_EN: 0
; COMPUTE_PGM_RSRC2:TGID_Z_EN: 0
; COMPUTE_PGM_RSRC2:TIDIG_COMP_CNT: 0
	.section	.text._ZN7rocprim6detail25device_scan_by_key_kernelILNS0_25lookback_scan_determinismE0ELb1ENS0_26wrapped_scan_by_key_configINS_14default_configEiyEEPiN6hipcub22TransformInputIteratorIyNS7_6CastOpIyEEPylEESB_yNS7_8EqualityENS7_3MinENS0_19lookback_scan_stateINS_5tupleIJybEEELb0ELb0EEEyEEvT2_T3_T4_T5_T6_T7_T8_mmmPKNSG_IJT9_bEEE,"axG",@progbits,_ZN7rocprim6detail25device_scan_by_key_kernelILNS0_25lookback_scan_determinismE0ELb1ENS0_26wrapped_scan_by_key_configINS_14default_configEiyEEPiN6hipcub22TransformInputIteratorIyNS7_6CastOpIyEEPylEESB_yNS7_8EqualityENS7_3MinENS0_19lookback_scan_stateINS_5tupleIJybEEELb0ELb0EEEyEEvT2_T3_T4_T5_T6_T7_T8_mmmPKNSG_IJT9_bEEE,comdat
	.protected	_ZN7rocprim6detail25device_scan_by_key_kernelILNS0_25lookback_scan_determinismE0ELb1ENS0_26wrapped_scan_by_key_configINS_14default_configEiyEEPiN6hipcub22TransformInputIteratorIyNS7_6CastOpIyEEPylEESB_yNS7_8EqualityENS7_3MinENS0_19lookback_scan_stateINS_5tupleIJybEEELb0ELb0EEEyEEvT2_T3_T4_T5_T6_T7_T8_mmmPKNSG_IJT9_bEEE ; -- Begin function _ZN7rocprim6detail25device_scan_by_key_kernelILNS0_25lookback_scan_determinismE0ELb1ENS0_26wrapped_scan_by_key_configINS_14default_configEiyEEPiN6hipcub22TransformInputIteratorIyNS7_6CastOpIyEEPylEESB_yNS7_8EqualityENS7_3MinENS0_19lookback_scan_stateINS_5tupleIJybEEELb0ELb0EEEyEEvT2_T3_T4_T5_T6_T7_T8_mmmPKNSG_IJT9_bEEE
	.globl	_ZN7rocprim6detail25device_scan_by_key_kernelILNS0_25lookback_scan_determinismE0ELb1ENS0_26wrapped_scan_by_key_configINS_14default_configEiyEEPiN6hipcub22TransformInputIteratorIyNS7_6CastOpIyEEPylEESB_yNS7_8EqualityENS7_3MinENS0_19lookback_scan_stateINS_5tupleIJybEEELb0ELb0EEEyEEvT2_T3_T4_T5_T6_T7_T8_mmmPKNSG_IJT9_bEEE
	.p2align	8
	.type	_ZN7rocprim6detail25device_scan_by_key_kernelILNS0_25lookback_scan_determinismE0ELb1ENS0_26wrapped_scan_by_key_configINS_14default_configEiyEEPiN6hipcub22TransformInputIteratorIyNS7_6CastOpIyEEPylEESB_yNS7_8EqualityENS7_3MinENS0_19lookback_scan_stateINS_5tupleIJybEEELb0ELb0EEEyEEvT2_T3_T4_T5_T6_T7_T8_mmmPKNSG_IJT9_bEEE,@function
_ZN7rocprim6detail25device_scan_by_key_kernelILNS0_25lookback_scan_determinismE0ELb1ENS0_26wrapped_scan_by_key_configINS_14default_configEiyEEPiN6hipcub22TransformInputIteratorIyNS7_6CastOpIyEEPylEESB_yNS7_8EqualityENS7_3MinENS0_19lookback_scan_stateINS_5tupleIJybEEELb0ELb0EEEyEEvT2_T3_T4_T5_T6_T7_T8_mmmPKNSG_IJT9_bEEE: ; @_ZN7rocprim6detail25device_scan_by_key_kernelILNS0_25lookback_scan_determinismE0ELb1ENS0_26wrapped_scan_by_key_configINS_14default_configEiyEEPiN6hipcub22TransformInputIteratorIyNS7_6CastOpIyEEPylEESB_yNS7_8EqualityENS7_3MinENS0_19lookback_scan_stateINS_5tupleIJybEEELb0ELb0EEEyEEvT2_T3_T4_T5_T6_T7_T8_mmmPKNSG_IJT9_bEEE
; %bb.0:
	s_clause 0x1
	s_load_b128 s[8:11], s[0:1], 0x0
	s_load_b128 s[36:39], s[0:1], 0x50
	s_mov_b32 s5, 0
	s_lshl_b32 s4, s15, 11
	s_load_b64 s[28:29], s[0:1], 0x60
	s_lshl_b64 s[2:3], s[4:5], 2
	s_clause 0x1
	s_load_b128 s[24:27], s[0:1], 0x18
	s_load_b256 s[16:23], s[0:1], 0x30
	v_lshlrev_b32_e32 v31, 2, v0
	s_waitcnt lgkmcnt(0)
	s_add_u32 s30, s8, s2
	s_addc_u32 s31, s9, s3
	s_lshl_b64 s[12:13], s[4:5], 3
	s_delay_alu instid0(SALU_CYCLE_1)
	s_add_u32 s8, s10, s12
	s_addc_u32 s9, s11, s13
	s_add_u32 s0, s15, s36
	s_addc_u32 s1, 0, s37
	s_add_u32 s10, s38, -1
	s_addc_u32 s11, s39, -1
	s_delay_alu instid0(SALU_CYCLE_1) | instskip(NEXT) | instid1(VALU_DEP_1)
	v_cmp_ge_u64_e64 s11, s[0:1], s[10:11]
	s_and_b32 vcc_lo, exec_lo, s11
	s_cbranch_vccz .LBB115_45
; %bb.1:
	s_load_b32 s7, s[30:31], 0x0
	s_lshl_b32 s0, s10, 11
	s_delay_alu instid0(SALU_CYCLE_1) | instskip(SKIP_1) | instid1(VALU_DEP_1)
	s_sub_i32 s14, s22, s0
	v_add_co_u32 v1, s0, s30, v31
	v_add_co_ci_u32_e64 v2, null, s31, 0, s0
	v_cmp_gt_u32_e32 vcc_lo, s14, v0
	s_waitcnt lgkmcnt(0)
	v_mov_b32_e32 v3, s7
	s_and_saveexec_b32 s0, vcc_lo
	s_cbranch_execz .LBB115_3
; %bb.2:
	global_load_b32 v3, v[1:2], off
.LBB115_3:
	s_or_b32 exec_lo, exec_lo, s0
	v_or_b32_e32 v7, 0x100, v0
	v_mov_b32_e32 v4, s7
	s_delay_alu instid0(VALU_DEP_2) | instskip(NEXT) | instid1(VALU_DEP_1)
	v_cmp_gt_u32_e64 s0, s14, v7
	s_and_saveexec_b32 s1, s0
	s_cbranch_execz .LBB115_5
; %bb.4:
	global_load_b32 v4, v[1:2], off offset:1024
.LBB115_5:
	s_or_b32 exec_lo, exec_lo, s1
	v_or_b32_e32 v9, 0x200, v0
	v_mov_b32_e32 v5, s7
	s_delay_alu instid0(VALU_DEP_2) | instskip(NEXT) | instid1(VALU_DEP_1)
	v_cmp_gt_u32_e64 s3, s14, v9
	s_and_saveexec_b32 s1, s3
	s_cbranch_execz .LBB115_7
; %bb.6:
	global_load_b32 v5, v[1:2], off offset:2048
.LBB115_7:
	;; [unrolled: 10-line block ×3, first 2 shown]
	s_or_b32 exec_lo, exec_lo, s1
	v_or_b32_e32 v12, 0x400, v0
	v_mov_b32_e32 v8, s7
	s_delay_alu instid0(VALU_DEP_2) | instskip(NEXT) | instid1(VALU_DEP_1)
	v_cmp_gt_u32_e64 s1, s14, v12
	s_and_saveexec_b32 s5, s1
	s_cbranch_execz .LBB115_11
; %bb.10:
	v_add_co_u32 v13, s4, 0x1000, v1
	s_delay_alu instid0(VALU_DEP_1)
	v_add_co_ci_u32_e64 v14, s4, 0, v2, s4
	global_load_b32 v8, v[13:14], off
.LBB115_11:
	s_or_b32 exec_lo, exec_lo, s5
	v_or_b32_e32 v14, 0x500, v0
	v_mov_b32_e32 v10, s7
	s_delay_alu instid0(VALU_DEP_2) | instskip(NEXT) | instid1(VALU_DEP_1)
	v_cmp_gt_u32_e64 s4, s14, v14
	s_and_saveexec_b32 s6, s4
	s_cbranch_execz .LBB115_13
; %bb.12:
	v_add_co_u32 v15, s5, 0x1000, v1
	s_delay_alu instid0(VALU_DEP_1)
	v_add_co_ci_u32_e64 v16, s5, 0, v2, s5
	global_load_b32 v10, v[15:16], off offset:1024
.LBB115_13:
	s_or_b32 exec_lo, exec_lo, s6
	v_or_b32_e32 v15, 0x600, v0
	v_mov_b32_e32 v13, s7
	s_delay_alu instid0(VALU_DEP_2) | instskip(NEXT) | instid1(VALU_DEP_1)
	v_cmp_gt_u32_e64 s5, s14, v15
	s_and_saveexec_b32 s23, s5
	s_cbranch_execz .LBB115_15
; %bb.14:
	v_add_co_u32 v16, s6, 0x1000, v1
	s_delay_alu instid0(VALU_DEP_1)
	v_add_co_ci_u32_e64 v17, s6, 0, v2, s6
	global_load_b32 v13, v[16:17], off offset:2048
.LBB115_15:
	;; [unrolled: 13-line block ×3, first 2 shown]
	s_or_b32 exec_lo, exec_lo, s23
	v_lshrrev_b32_e32 v1, 5, v0
	v_lshrrev_b32_e32 v2, 5, v7
	;; [unrolled: 1-line block ×4, first 2 shown]
	v_lshlrev_b32_e32 v33, 3, v0
	v_add_nc_u32_e32 v30, v1, v0
	v_add_nc_u32_e32 v29, v2, v0
	;; [unrolled: 1-line block ×4, first 2 shown]
	v_lshrrev_b32_e32 v9, 5, v12
	v_lshlrev_b32_e32 v1, 2, v30
	v_lshlrev_b32_e32 v2, 2, v29
	;; [unrolled: 1-line block ×4, first 2 shown]
	v_add_nc_u32_e32 v38, v9, v0
	s_waitcnt vmcnt(0)
	ds_store_b32 v1, v3
	ds_store_b32 v2, v4 offset:1024
	ds_store_b32 v7, v5 offset:2048
	v_lshrrev_b32_e32 v1, 5, v14
	v_lshrrev_b32_e32 v2, 5, v15
	;; [unrolled: 1-line block ×3, first 2 shown]
	ds_store_b32 v11, v6 offset:3072
	v_add_nc_u32_e32 v37, v1, v0
	v_add_nc_u32_e32 v36, v2, v0
	;; [unrolled: 1-line block ×3, first 2 shown]
	v_lshrrev_b32_e32 v1, 2, v0
	v_lshlrev_b32_e32 v2, 2, v38
	v_lshlrev_b32_e32 v3, 2, v37
	v_lshlrev_b32_e32 v4, 2, v36
	v_lshlrev_b32_e32 v5, 2, v35
	v_add_nc_u32_e32 v1, v1, v33
	ds_store_b32 v2, v8 offset:4096
	ds_store_b32 v3, v10 offset:5120
	;; [unrolled: 1-line block ×4, first 2 shown]
	s_waitcnt lgkmcnt(0)
	s_barrier
	buffer_gl0_inv
	s_load_b32 s23, s[30:31], 0x0
	v_lshlrev_b32_e32 v34, 2, v1
	ds_load_2addr_b32 v[11:12], v34 offset1:1
	ds_load_2addr_b32 v[9:10], v34 offset0:2 offset1:3
	ds_load_2addr_b32 v[7:8], v34 offset0:4 offset1:5
	ds_load_2addr_b32 v[5:6], v34 offset0:6 offset1:7
	s_waitcnt lgkmcnt(0)
	v_mov_b32_e32 v32, s23
	s_mov_b32 s23, exec_lo
	ds_store_b32 v31, v11 offset:9472
	s_waitcnt lgkmcnt(0)
	s_barrier
	buffer_gl0_inv
	v_cmpx_ne_u32_e32 0xff, v0
	s_cbranch_execz .LBB115_19
; %bb.18:
	ds_load_b32 v32, v31 offset:9476
.LBB115_19:
	s_or_b32 exec_lo, exec_lo, s23
	v_add_co_u32 v3, s7, s8, v33
	s_delay_alu instid0(VALU_DEP_1)
	v_add_co_ci_u32_e64 v4, null, s9, 0, s7
	s_waitcnt lgkmcnt(0)
	s_barrier
	buffer_gl0_inv
                                        ; implicit-def: $vgpr1_vgpr2
	s_and_saveexec_b32 s7, vcc_lo
	s_cbranch_execnz .LBB115_162
; %bb.20:
	s_or_b32 exec_lo, exec_lo, s7
                                        ; implicit-def: $vgpr13_vgpr14
	s_and_saveexec_b32 s7, s0
	s_cbranch_execnz .LBB115_163
.LBB115_21:
	s_or_b32 exec_lo, exec_lo, s7
                                        ; implicit-def: $vgpr15_vgpr16
	s_and_saveexec_b32 s0, s3
	s_cbranch_execnz .LBB115_164
.LBB115_22:
	s_or_b32 exec_lo, exec_lo, s0
                                        ; implicit-def: $vgpr17_vgpr18
	s_and_saveexec_b32 s0, s2
	s_cbranch_execnz .LBB115_165
.LBB115_23:
	s_or_b32 exec_lo, exec_lo, s0
                                        ; implicit-def: $vgpr19_vgpr20
	s_and_saveexec_b32 s0, s1
	s_cbranch_execnz .LBB115_166
.LBB115_24:
	s_or_b32 exec_lo, exec_lo, s0
                                        ; implicit-def: $vgpr21_vgpr22
	s_and_saveexec_b32 s0, s4
	s_cbranch_execnz .LBB115_167
.LBB115_25:
	s_or_b32 exec_lo, exec_lo, s0
                                        ; implicit-def: $vgpr23_vgpr24
	s_and_saveexec_b32 s0, s5
	s_cbranch_execnz .LBB115_168
.LBB115_26:
	s_or_b32 exec_lo, exec_lo, s0
                                        ; implicit-def: $vgpr25_vgpr26
	s_and_saveexec_b32 s0, s6
	s_cbranch_execz .LBB115_28
.LBB115_27:
	v_add_co_u32 v3, vcc_lo, 0x3000, v3
	v_add_co_ci_u32_e32 v4, vcc_lo, 0, v4, vcc_lo
	global_load_b64 v[25:26], v[3:4], off offset:2048
.LBB115_28:
	s_or_b32 exec_lo, exec_lo, s0
	v_lshlrev_b32_e32 v3, 3, v30
	v_lshlrev_b32_e32 v27, 3, v27
	;; [unrolled: 1-line block ×3, first 2 shown]
	v_dual_mov_b32 v41, 0 :: v_dual_lshlrev_b32 v28, 3, v28
	s_waitcnt vmcnt(0)
	ds_store_b64 v3, v[1:2]
	ds_store_b64 v4, v[13:14] offset:2048
	ds_store_b64 v28, v[15:16] offset:4096
	v_mov_b32_e32 v13, 0
	ds_store_b64 v27, v[17:18] offset:6144
	v_mov_b32_e32 v17, 0
	v_dual_mov_b32 v18, 0 :: v_dual_lshlrev_b32 v1, 3, v38
	v_dual_mov_b32 v15, 0 :: v_dual_lshlrev_b32 v4, 3, v35
	v_lshlrev_b32_e32 v2, 3, v37
	s_delay_alu instid0(VALU_DEP_3)
	v_dual_mov_b32 v28, v18 :: v_dual_lshlrev_b32 v3, 3, v36
	v_mov_b32_e32 v30, v18
	ds_store_b64 v1, v[19:20] offset:8192
	ds_store_b64 v2, v[21:22] offset:10240
	;; [unrolled: 1-line block ×4, first 2 shown]
	v_dual_mov_b32 v20, v18 :: v_dual_mov_b32 v53, 0
	v_dual_mov_b32 v26, v18 :: v_dual_mov_b32 v27, v17
	;; [unrolled: 1-line block ×6, first 2 shown]
	v_mov_b32_e32 v23, v17
	v_mov_b32_e32 v21, v17
	s_mov_b32 s5, 0
	s_mov_b32 s1, 0
	s_mov_b64 s[2:3], 0
	s_mov_b32 s4, exec_lo
	s_waitcnt lgkmcnt(0)
	s_barrier
	buffer_gl0_inv
                                        ; implicit-def: $sgpr0
                                        ; implicit-def: $vgpr1_vgpr2
	v_cmpx_gt_u32_e64 s14, v33
	s_cbranch_execz .LBB115_44
; %bb.29:
	v_dual_mov_b32 v13, 0 :: v_dual_add_nc_u32 v14, v34, v34
	v_dual_mov_b32 v19, 0 :: v_dual_mov_b32 v52, 0
	v_dual_mov_b32 v20, 0 :: v_dual_mov_b32 v15, 0
	ds_load_b64 v[1:2], v14
	v_cmp_ne_u32_e32 vcc_lo, v11, v12
	v_dual_mov_b32 v51, 0 :: v_dual_mov_b32 v30, v20
	v_dual_mov_b32 v29, v19 :: v_dual_mov_b32 v28, v20
	;; [unrolled: 1-line block ×5, first 2 shown]
	v_cndmask_b32_e64 v41, 0, 1, vcc_lo
	v_or_b32_e32 v3, 1, v33
	v_dual_mov_b32 v53, 0 :: v_dual_mov_b32 v50, 0
	v_mov_b32_e32 v21, v19
	s_mov_b32 s6, 0
	s_mov_b32 s7, 0
	s_mov_b32 s5, exec_lo
	s_waitcnt lgkmcnt(0)
	v_cndmask_b32_e64 v18, v2, s27, vcc_lo
	v_cndmask_b32_e64 v17, v1, s26, vcc_lo
                                        ; implicit-def: $sgpr23
                                        ; implicit-def: $vgpr1_vgpr2
	v_cmpx_gt_u32_e64 s14, v3
	s_cbranch_execz .LBB115_43
; %bb.30:
	ds_load_2addr_b64 v[1:4], v14 offset0:1 offset1:2
	v_dual_mov_b32 v19, 0 :: v_dual_mov_b32 v52, 0
	v_dual_mov_b32 v13, 0 :: v_dual_mov_b32 v20, 0
	v_cmp_ne_u32_e32 vcc_lo, v12, v9
	v_mov_b32_e32 v15, 0
	v_mov_b32_e32 v53, 0
	s_delay_alu instid0(VALU_DEP_4)
	v_dual_mov_b32 v51, 0 :: v_dual_mov_b32 v26, v20
	v_dual_mov_b32 v30, v20 :: v_dual_mov_b32 v29, v19
	v_mov_b32_e32 v24, v20
	v_mov_b32_e32 v28, v20
	v_cndmask_b32_e64 v50, 0, 1, vcc_lo
	v_or_b32_e32 v11, 2, v33
	v_mov_b32_e32 v27, v19
	v_mov_b32_e32 v25, v19
	;; [unrolled: 1-line block ×3, first 2 shown]
	s_mov_b32 s23, 0
	s_waitcnt lgkmcnt(0)
	v_cndmask_b32_e64 v22, v2, s27, vcc_lo
	v_cndmask_b32_e64 v21, v1, s26, vcc_lo
	s_mov_b32 s6, exec_lo
                                        ; implicit-def: $sgpr33
                                        ; implicit-def: $vgpr1_vgpr2
	v_cmpx_gt_u32_e64 s14, v11
	s_cbranch_execz .LBB115_42
; %bb.31:
	v_dual_mov_b32 v19, 0 :: v_dual_mov_b32 v52, 0
	v_dual_mov_b32 v20, 0 :: v_dual_mov_b32 v13, 0
	v_cmp_ne_u32_e32 vcc_lo, v9, v10
	v_or_b32_e32 v1, 3, v33
	s_delay_alu instid0(VALU_DEP_3)
	v_dual_mov_b32 v15, 0 :: v_dual_mov_b32 v30, v20
	v_dual_mov_b32 v29, v19 :: v_dual_mov_b32 v28, v20
	v_dual_mov_b32 v53, 0 :: v_dual_mov_b32 v26, v20
	v_cndmask_b32_e64 v51, 0, 1, vcc_lo
	v_cndmask_b32_e64 v24, v4, s27, vcc_lo
	;; [unrolled: 1-line block ×3, first 2 shown]
	v_cmp_gt_u32_e32 vcc_lo, s14, v1
	v_mov_b32_e32 v27, v19
	v_mov_b32_e32 v25, v19
	s_mov_b32 s33, 0
                                        ; implicit-def: $sgpr0
                                        ; implicit-def: $vgpr1_vgpr2
	s_and_saveexec_b32 s7, vcc_lo
	s_cbranch_execz .LBB115_41
; %bb.32:
	ds_load_2addr_b64 v[1:4], v14 offset0:3 offset1:4
	v_mov_b32_e32 v19, 0
	v_dual_mov_b32 v20, 0 :: v_dual_mov_b32 v13, 0
	v_cmp_ne_u32_e32 vcc_lo, v10, v7
	v_mov_b32_e32 v15, 0
	s_delay_alu instid0(VALU_DEP_3)
	v_dual_mov_b32 v53, 0 :: v_dual_mov_b32 v28, v20
	v_mov_b32_e32 v30, v20
	v_or_b32_e32 v9, 4, v33
	v_cndmask_b32_e64 v52, 0, 1, vcc_lo
	v_mov_b32_e32 v29, v19
	v_mov_b32_e32 v27, v19
	s_mov_b32 s34, 0
	s_mov_b32 s23, exec_lo
                                        ; implicit-def: $sgpr35
	s_waitcnt lgkmcnt(0)
	v_cndmask_b32_e64 v26, v2, s27, vcc_lo
	v_cndmask_b32_e64 v25, v1, s26, vcc_lo
                                        ; implicit-def: $vgpr1_vgpr2
	v_cmpx_gt_u32_e64 s14, v9
	s_cbranch_execz .LBB115_40
; %bb.33:
	v_mov_b32_e32 v19, 0
	v_dual_mov_b32 v20, 0 :: v_dual_mov_b32 v13, 0
	v_cmp_ne_u32_e32 vcc_lo, v7, v8
	v_or_b32_e32 v1, 5, v33
	s_delay_alu instid0(VALU_DEP_3)
	v_dual_mov_b32 v15, 0 :: v_dual_mov_b32 v30, v20
	v_mov_b32_e32 v29, v19
	v_cndmask_b32_e64 v53, 0, 1, vcc_lo
	v_cndmask_b32_e64 v28, v4, s27, vcc_lo
	;; [unrolled: 1-line block ×3, first 2 shown]
	v_cmp_gt_u32_e32 vcc_lo, s14, v1
	s_mov_b32 s35, 0
                                        ; implicit-def: $sgpr0
                                        ; implicit-def: $vgpr1_vgpr2
	s_and_saveexec_b32 s33, vcc_lo
	s_cbranch_execz .LBB115_39
; %bb.34:
	ds_load_2addr_b64 v[1:4], v14 offset0:5 offset1:6
	v_cmp_ne_u32_e32 vcc_lo, v8, v5
	v_mov_b32_e32 v19, 0
	v_or_b32_e32 v7, 6, v33
	v_dual_mov_b32 v20, 0 :: v_dual_mov_b32 v13, 0
	v_cndmask_b32_e64 v15, 0, 1, vcc_lo
	s_mov_b32 s34, exec_lo
                                        ; implicit-def: $sgpr36
	s_waitcnt lgkmcnt(0)
	v_cndmask_b32_e64 v30, v2, s27, vcc_lo
	v_cndmask_b32_e64 v29, v1, s26, vcc_lo
                                        ; implicit-def: $vgpr1_vgpr2
	v_cmpx_gt_u32_e64 s14, v7
	s_cbranch_execz .LBB115_38
; %bb.35:
	v_cmp_ne_u32_e32 vcc_lo, v5, v6
	v_or_b32_e32 v1, 7, v33
	s_mov_b32 s0, 0
	v_cndmask_b32_e64 v13, 0, 1, vcc_lo
	v_cndmask_b32_e64 v20, v4, s27, vcc_lo
	;; [unrolled: 1-line block ×3, first 2 shown]
	v_cmp_gt_u32_e32 vcc_lo, s14, v1
                                        ; implicit-def: $sgpr14
                                        ; implicit-def: $vgpr1_vgpr2
	s_and_saveexec_b32 s35, vcc_lo
	s_delay_alu instid0(SALU_CYCLE_1)
	s_xor_b32 s35, exec_lo, s35
	s_cbranch_execz .LBB115_37
; %bb.36:
	ds_load_b64 v[1:2], v14 offset:56
	v_cmp_ne_u32_e32 vcc_lo, v6, v32
	s_mov_b32 s0, exec_lo
	s_and_b32 s14, vcc_lo, exec_lo
	s_waitcnt lgkmcnt(0)
	v_cndmask_b32_e64 v2, v2, s27, vcc_lo
	v_cndmask_b32_e64 v1, v1, s26, vcc_lo
.LBB115_37:
	s_or_b32 exec_lo, exec_lo, s35
	s_delay_alu instid0(SALU_CYCLE_1)
	s_and_b32 s36, s14, exec_lo
	s_and_b32 s35, s0, exec_lo
.LBB115_38:
	s_or_b32 exec_lo, exec_lo, s34
	s_delay_alu instid0(SALU_CYCLE_1)
	s_and_b32 s0, s36, exec_lo
	s_and_b32 s34, s35, exec_lo
.LBB115_39:
	s_or_b32 exec_lo, exec_lo, s33
	s_delay_alu instid0(SALU_CYCLE_1)
	s_and_b32 s35, s0, exec_lo
	s_and_b32 s33, s34, exec_lo
.LBB115_40:
	s_or_b32 exec_lo, exec_lo, s23
	s_delay_alu instid0(SALU_CYCLE_1)
	s_and_b32 s0, s35, exec_lo
	s_and_b32 s23, s33, exec_lo
.LBB115_41:
	s_or_b32 exec_lo, exec_lo, s7
	s_delay_alu instid0(SALU_CYCLE_1)
	s_and_b32 s33, s0, exec_lo
	s_and_b32 s7, s23, exec_lo
.LBB115_42:
	s_or_b32 exec_lo, exec_lo, s6
	s_delay_alu instid0(SALU_CYCLE_1)
	s_and_b32 s23, s33, exec_lo
	s_and_b32 s6, s7, exec_lo
.LBB115_43:
	s_or_b32 exec_lo, exec_lo, s5
	s_delay_alu instid0(SALU_CYCLE_1)
	s_and_b32 s0, s23, exec_lo
	s_and_b32 s5, s6, exec_lo
.LBB115_44:
	s_or_b32 exec_lo, exec_lo, s4
	s_mov_b32 s4, 0
	s_branch .LBB115_46
.LBB115_45:
	s_mov_b32 s1, -1
                                        ; implicit-def: $sgpr0
                                        ; implicit-def: $vgpr1_vgpr2
                                        ; implicit-def: $vgpr17_vgpr18
                                        ; implicit-def: $vgpr13
                                        ; implicit-def: $vgpr19_vgpr20
                                        ; implicit-def: $vgpr15
                                        ; implicit-def: $vgpr29_vgpr30
                                        ; implicit-def: $vgpr53
                                        ; implicit-def: $vgpr27_vgpr28
                                        ; implicit-def: $vgpr52
                                        ; implicit-def: $vgpr25_vgpr26
                                        ; implicit-def: $vgpr51
                                        ; implicit-def: $vgpr23_vgpr24
                                        ; implicit-def: $vgpr50
                                        ; implicit-def: $vgpr21_vgpr22
                                        ; implicit-def: $vgpr41
                                        ; implicit-def: $sgpr4
                                        ; implicit-def: $sgpr2_sgpr3
.LBB115_46:
	v_lshrrev_b32_e32 v47, 5, v0
	v_or_b32_e32 v49, 0x100, v0
	v_or_b32_e32 v48, 0x200, v0
	;; [unrolled: 1-line block ×7, first 2 shown]
	s_and_b32 vcc_lo, exec_lo, s1
	s_cbranch_vccz .LBB115_52
; %bb.47:
	v_add_co_u32 v1, s0, s30, v31
	s_delay_alu instid0(VALU_DEP_1) | instskip(SKIP_1) | instid1(VALU_DEP_3)
	v_add_co_ci_u32_e64 v2, null, s31, 0, s0
	v_lshrrev_b32_e32 v3, 5, v48
	v_add_co_u32 v1, vcc_lo, 0x1000, v1
	s_delay_alu instid0(VALU_DEP_3)
	v_add_co_ci_u32_e32 v2, vcc_lo, 0, v2, vcc_lo
	s_clause 0x7
	global_load_b32 v10, v31, s[30:31]
	global_load_b32 v11, v31, s[30:31] offset:1024
	global_load_b32 v12, v31, s[30:31] offset:2048
	;; [unrolled: 1-line block ×3, first 2 shown]
	global_load_b32 v14, v[1:2], off
	global_load_b32 v15, v[1:2], off offset:1024
	global_load_b32 v16, v[1:2], off offset:2048
	;; [unrolled: 1-line block ×3, first 2 shown]
	v_lshrrev_b32_e32 v2, 5, v49
	v_lshrrev_b32_e32 v4, 5, v46
	;; [unrolled: 1-line block ×3, first 2 shown]
	v_add_nc_u32_e32 v1, v47, v0
	v_lshrrev_b32_e32 v7, 5, v44
	v_lshrrev_b32_e32 v18, 5, v43
	;; [unrolled: 1-line block ×3, first 2 shown]
	v_add_nc_u32_e32 v9, v2, v0
	v_add_nc_u32_e32 v8, v3, v0
	v_lshrrev_b32_e32 v20, 2, v0
	v_add_nc_u32_e32 v6, v4, v0
	v_add_nc_u32_e32 v5, v5, v0
	v_lshlrev_b32_e32 v21, 2, v1
	v_add_nc_u32_e32 v4, v7, v0
	v_add_nc_u32_e32 v3, v18, v0
	;; [unrolled: 1-line block ×3, first 2 shown]
	v_lshlrev_b32_e32 v18, 2, v9
	v_lshlrev_b32_e32 v19, 2, v8
	v_lshl_add_u32 v7, v0, 3, v20
	v_lshlrev_b32_e32 v20, 2, v6
	v_lshlrev_b32_e32 v22, 2, v5
	;; [unrolled: 1-line block ×6, first 2 shown]
	s_waitcnt vmcnt(7)
	ds_store_b32 v21, v10
	s_waitcnt vmcnt(6)
	ds_store_b32 v18, v11 offset:1024
	s_waitcnt vmcnt(5)
	ds_store_b32 v19, v12 offset:2048
	;; [unrolled: 2-line block ×7, first 2 shown]
	s_waitcnt lgkmcnt(0)
	s_barrier
	buffer_gl0_inv
	s_load_b32 s0, s[30:31], 0x2000
	ds_load_2addr_b32 v[21:22], v7 offset1:1
	ds_load_2addr_b32 v[19:20], v7 offset0:2 offset1:3
	ds_load_2addr_b32 v[15:16], v7 offset0:4 offset1:5
	;; [unrolled: 1-line block ×3, first 2 shown]
	s_waitcnt lgkmcnt(0)
	ds_store_b32 v31, v21 offset:9472
	s_waitcnt lgkmcnt(0)
	v_mov_b32_e32 v29, s0
	s_mov_b32 s0, exec_lo
	s_barrier
	buffer_gl0_inv
	v_cmpx_ne_u32_e32 0xff, v0
	s_cbranch_execz .LBB115_49
; %bb.48:
	ds_load_b32 v29, v31 offset:9476
.LBB115_49:
	s_or_b32 exec_lo, exec_lo, s0
	v_lshlrev_b32_e32 v12, 3, v0
	s_waitcnt lgkmcnt(0)
	s_barrier
	buffer_gl0_inv
	v_lshlrev_b32_e32 v1, 3, v1
	v_add_co_u32 v25, s0, s8, v12
	s_delay_alu instid0(VALU_DEP_1) | instskip(SKIP_1) | instid1(VALU_DEP_3)
	v_add_co_ci_u32_e64 v26, null, s9, 0, s0
	v_lshlrev_b32_e32 v9, 3, v9
	v_add_co_u32 v10, vcc_lo, 0x1000, v25
	s_delay_alu instid0(VALU_DEP_3)
	v_add_co_ci_u32_e32 v11, vcc_lo, 0, v26, vcc_lo
	v_add_co_u32 v17, vcc_lo, v25, 0x2000
	v_add_co_ci_u32_e32 v18, vcc_lo, 0, v26, vcc_lo
	v_add_co_u32 v23, vcc_lo, 0x2000, v25
	v_add_co_ci_u32_e32 v24, vcc_lo, 0, v26, vcc_lo
	v_add_co_u32 v25, vcc_lo, 0x3000, v25
	v_add_co_ci_u32_e32 v26, vcc_lo, 0, v26, vcc_lo
	s_clause 0x7
	global_load_b64 v[27:28], v12, s[8:9]
	global_load_b64 v[30:31], v12, s[8:9] offset:2048
	global_load_b64 v[32:33], v[17:18], off offset:-4096
	global_load_b64 v[10:11], v[10:11], off offset:2048
	global_load_b64 v[17:18], v[17:18], off
	global_load_b64 v[34:35], v[23:24], off offset:2048
	global_load_b64 v[36:37], v[25:26], off
	global_load_b64 v[24:25], v[25:26], off offset:2048
	v_add_nc_u32_e32 v23, v7, v7
	v_lshlrev_b32_e32 v8, 3, v8
	v_lshlrev_b32_e32 v6, 3, v6
	;; [unrolled: 1-line block ×6, first 2 shown]
	v_cmp_ne_u32_e32 vcc_lo, v21, v22
	s_mov_b32 s1, exec_lo
	s_waitcnt vmcnt(7)
	ds_store_b64 v1, v[27:28]
	s_waitcnt vmcnt(6)
	ds_store_b64 v9, v[30:31] offset:2048
	s_waitcnt vmcnt(5)
	ds_store_b64 v8, v[32:33] offset:4096
	;; [unrolled: 2-line block ×7, first 2 shown]
	s_waitcnt lgkmcnt(0)
	s_barrier
	buffer_gl0_inv
	ds_load_2addr_b64 v[9:12], v23 offset0:1 offset1:2
	ds_load_2addr_b64 v[5:8], v23 offset0:3 offset1:4
	;; [unrolled: 1-line block ×3, first 2 shown]
	ds_load_b64 v[31:32], v23 offset:56
	v_dual_mov_b32 v17, s26 :: v_dual_mov_b32 v18, s27
	v_cmpx_eq_u32_e64 v21, v22
	s_cbranch_execz .LBB115_51
; %bb.50:
	ds_load_b64 v[17:18], v23
.LBB115_51:
	s_or_b32 exec_lo, exec_lo, s1
	v_cmp_ne_u32_e64 s0, v19, v20
	v_cndmask_b32_e64 v41, 0, 1, vcc_lo
	v_cmp_ne_u32_e32 vcc_lo, v22, v19
	v_cmp_ne_u32_e64 s1, v20, v15
	v_cmp_ne_u32_e64 s2, v15, v16
	v_cndmask_b32_e64 v51, 0, 1, s0
	v_cmp_ne_u32_e64 s3, v16, v13
	v_cmp_ne_u32_e64 s4, v13, v14
	s_waitcnt lgkmcnt(3)
	v_cndmask_b32_e64 v24, v12, s27, s0
	v_cndmask_b32_e64 v23, v11, s26, s0
	v_cmp_ne_u32_e64 s0, v14, v29
	v_cndmask_b32_e64 v50, 0, 1, vcc_lo
	v_cndmask_b32_e64 v52, 0, 1, s1
	v_cndmask_b32_e64 v53, 0, 1, s2
	v_cndmask_b32_e64 v15, 0, 1, s3
	v_cndmask_b32_e64 v13, 0, 1, s4
	v_cndmask_b32_e64 v22, v10, s27, vcc_lo
	v_cndmask_b32_e64 v21, v9, s26, vcc_lo
	s_waitcnt lgkmcnt(2)
	v_cndmask_b32_e64 v26, v6, s27, s1
	v_cndmask_b32_e64 v25, v5, s26, s1
	;; [unrolled: 1-line block ×4, first 2 shown]
	s_waitcnt lgkmcnt(1)
	v_cndmask_b32_e64 v30, v2, s27, s3
	v_cndmask_b32_e64 v29, v1, s26, s3
	;; [unrolled: 1-line block ×4, first 2 shown]
	s_waitcnt lgkmcnt(0)
	v_cndmask_b32_e64 v2, v32, s27, s0
	v_cndmask_b32_e64 v1, v31, s26, s0
	s_mov_b32 s5, -1
                                        ; implicit-def: $sgpr4
                                        ; implicit-def: $sgpr2_sgpr3
.LBB115_52:
	v_dual_mov_b32 v32, s3 :: v_dual_mov_b32 v31, s2
	v_mov_b32_e32 v3, s4
	s_and_saveexec_b32 s1, s5
; %bb.53:
	v_cndmask_b32_e64 v3, 0, 1, s0
	v_dual_mov_b32 v32, v2 :: v_dual_mov_b32 v31, v1
; %bb.54:
	s_or_b32 exec_lo, exec_lo, s1
	s_delay_alu instid0(VALU_DEP_2)
	v_or_b32_e32 v1, v3, v13
	v_cmp_lt_u64_e32 vcc_lo, v[17:18], v[21:22]
	v_and_b32_e32 v62, 0xff, v50
	v_and_b32_e32 v61, 0xff, v51
	;; [unrolled: 1-line block ×7, first 2 shown]
	v_or_b32_e32 v58, v1, v15
	v_mbcnt_lo_u32_b32 v54, -1, 0
	s_cmp_lg_u32 s15, 0
	s_barrier
	buffer_gl0_inv
	s_cbranch_scc0 .LBB115_119
; %bb.55:
	v_cmp_eq_u16_e64 s0, 0, v62
	v_cmp_eq_u16_e64 s1, 0, v61
	;; [unrolled: 1-line block ×5, first 2 shown]
	s_and_b32 vcc_lo, s0, vcc_lo
	v_or_b32_e32 v3, v58, v53
	v_dual_cndmask_b32 v2, v22, v18 :: v_dual_cndmask_b32 v1, v21, v17
	v_cmp_eq_u16_e64 s4, 0, v56
	v_cmp_eq_u16_e64 s6, 0, v55
	s_delay_alu instid0(VALU_DEP_4) | instskip(SKIP_2) | instid1(VALU_DEP_2)
	v_or_b32_e32 v3, v3, v52
	s_mov_b32 s7, exec_lo
	v_cmp_lt_u64_e32 vcc_lo, v[1:2], v[23:24]
	v_or_b32_e32 v3, v3, v51
	s_and_b32 vcc_lo, s1, vcc_lo
	v_dual_cndmask_b32 v2, v24, v2 :: v_dual_cndmask_b32 v1, v23, v1
	s_delay_alu instid0(VALU_DEP_2) | instskip(NEXT) | instid1(VALU_DEP_2)
	v_or_b32_e32 v3, v3, v50
	v_cmp_lt_u64_e32 vcc_lo, v[1:2], v[25:26]
	s_delay_alu instid0(VALU_DEP_2) | instskip(SKIP_2) | instid1(VALU_DEP_1)
	v_or_b32_e32 v3, v3, v41
	s_and_b32 vcc_lo, s2, vcc_lo
	v_dual_cndmask_b32 v2, v26, v2 :: v_dual_cndmask_b32 v1, v25, v1
	v_cmp_lt_u64_e32 vcc_lo, v[1:2], v[27:28]
	s_and_b32 vcc_lo, s3, vcc_lo
	v_dual_cndmask_b32 v2, v28, v2 :: v_dual_cndmask_b32 v1, v27, v1
	s_delay_alu instid0(VALU_DEP_1) | instskip(SKIP_2) | instid1(VALU_DEP_1)
	v_cmp_lt_u64_e32 vcc_lo, v[1:2], v[29:30]
	s_and_b32 vcc_lo, s5, vcc_lo
	v_dual_cndmask_b32 v2, v30, v2 :: v_dual_cndmask_b32 v1, v29, v1
	v_cmp_lt_u64_e32 vcc_lo, v[1:2], v[19:20]
	s_and_b32 vcc_lo, s4, vcc_lo
	v_dual_cndmask_b32 v2, v20, v2 :: v_dual_cndmask_b32 v1, v19, v1
	s_delay_alu instid0(VALU_DEP_1) | instskip(SKIP_3) | instid1(VALU_DEP_2)
	v_cmp_lt_u64_e32 vcc_lo, v[1:2], v[31:32]
	s_and_b32 vcc_lo, s6, vcc_lo
	v_dual_cndmask_b32 v4, v32, v2 :: v_dual_and_b32 v7, 1, v3
	v_cndmask_b32_e32 v3, v31, v1, vcc_lo
	v_dual_mov_b32 v6, v7 :: v_dual_and_b32 v5, 15, v54
	v_cmp_eq_u32_e32 vcc_lo, 1, v7
	v_mov_b32_dpp v8, v7 row_shr:1 row_mask:0xf bank_mask:0xf
	v_mov_b32_dpp v2, v4 row_shr:1 row_mask:0xf bank_mask:0xf
	;; [unrolled: 1-line block ×3, first 2 shown]
	v_cmpx_ne_u32_e32 0, v5
; %bb.56:
	s_delay_alu instid0(VALU_DEP_2) | instskip(NEXT) | instid1(VALU_DEP_1)
	v_cmp_lt_u64_e64 s6, v[1:2], v[3:4]
	v_cndmask_b32_e64 v1, v3, v1, s6
	v_and_b32_e32 v6, 1, v8
	v_cndmask_b32_e64 v2, v4, v2, s6
	s_delay_alu instid0(VALU_DEP_3) | instskip(NEXT) | instid1(VALU_DEP_3)
	v_cndmask_b32_e32 v3, v1, v3, vcc_lo
	v_or_b32_e32 v7, v6, v7
	s_delay_alu instid0(VALU_DEP_3) | instskip(NEXT) | instid1(VALU_DEP_2)
	v_cndmask_b32_e32 v4, v2, v4, vcc_lo
	v_and_b32_e32 v6, 0xffff, v7
; %bb.57:
	s_or_b32 exec_lo, exec_lo, s7
	v_mov_b32_dpp v1, v3 row_shr:2 row_mask:0xf bank_mask:0xf
	s_delay_alu instid0(VALU_DEP_3) | instskip(NEXT) | instid1(VALU_DEP_3)
	v_mov_b32_dpp v2, v4 row_shr:2 row_mask:0xf bank_mask:0xf
	v_mov_b32_dpp v8, v6 row_shr:2 row_mask:0xf bank_mask:0xf
	s_mov_b32 s9, exec_lo
	v_cmpx_lt_u32_e32 1, v5
; %bb.58:
	v_and_b32_e32 v6, 1, v7
	s_delay_alu instid0(VALU_DEP_3) | instskip(SKIP_2) | instid1(VALU_DEP_4)
	v_and_b32_e32 v8, 1, v8
	v_cmp_lt_u64_e64 s7, v[1:2], v[3:4]
	v_cmp_eq_u16_e64 s8, 0, v7
	v_cmp_eq_u32_e32 vcc_lo, 1, v6
	s_delay_alu instid0(VALU_DEP_4) | instskip(NEXT) | instid1(VALU_DEP_1)
	v_cmp_eq_u32_e64 s6, 1, v8
	s_or_b32 s6, vcc_lo, s6
	s_delay_alu instid0(VALU_DEP_3)
	s_and_b32 vcc_lo, s8, s7
	v_cndmask_b32_e64 v7, 0, 1, s6
	v_dual_cndmask_b32 v3, v3, v1 :: v_dual_cndmask_b32 v4, v4, v2
	v_cndmask_b32_e64 v6, 0, 1, s6
; %bb.59:
	s_or_b32 exec_lo, exec_lo, s9
	s_delay_alu instid0(VALU_DEP_2) | instskip(NEXT) | instid1(VALU_DEP_3)
	v_mov_b32_dpp v1, v3 row_shr:4 row_mask:0xf bank_mask:0xf
	v_mov_b32_dpp v2, v4 row_shr:4 row_mask:0xf bank_mask:0xf
	s_delay_alu instid0(VALU_DEP_3)
	v_mov_b32_dpp v8, v6 row_shr:4 row_mask:0xf bank_mask:0xf
	s_mov_b32 s9, exec_lo
	v_cmpx_lt_u32_e32 3, v5
; %bb.60:
	v_and_b32_e32 v6, 1, v7
	s_delay_alu instid0(VALU_DEP_3) | instskip(SKIP_2) | instid1(VALU_DEP_4)
	v_and_b32_e32 v8, 1, v8
	v_cmp_lt_u64_e64 s7, v[1:2], v[3:4]
	v_cmp_eq_u16_e64 s8, 0, v7
	v_cmp_eq_u32_e32 vcc_lo, 1, v6
	s_delay_alu instid0(VALU_DEP_4) | instskip(NEXT) | instid1(VALU_DEP_1)
	v_cmp_eq_u32_e64 s6, 1, v8
	s_or_b32 s6, vcc_lo, s6
	s_delay_alu instid0(VALU_DEP_3)
	s_and_b32 vcc_lo, s8, s7
	v_cndmask_b32_e64 v7, 0, 1, s6
	v_dual_cndmask_b32 v3, v3, v1 :: v_dual_cndmask_b32 v4, v4, v2
	v_cndmask_b32_e64 v6, 0, 1, s6
; %bb.61:
	s_or_b32 exec_lo, exec_lo, s9
	s_delay_alu instid0(VALU_DEP_2) | instskip(NEXT) | instid1(VALU_DEP_3)
	v_mov_b32_dpp v1, v3 row_shr:8 row_mask:0xf bank_mask:0xf
	v_mov_b32_dpp v2, v4 row_shr:8 row_mask:0xf bank_mask:0xf
	s_delay_alu instid0(VALU_DEP_3)
	v_mov_b32_dpp v8, v6 row_shr:8 row_mask:0xf bank_mask:0xf
	s_mov_b32 s9, exec_lo
	v_cmpx_lt_u32_e32 7, v5
; %bb.62:
	v_and_b32_e32 v5, 1, v7
	s_delay_alu instid0(VALU_DEP_3) | instskip(SKIP_2) | instid1(VALU_DEP_4)
	v_and_b32_e32 v6, 1, v8
	v_cmp_lt_u64_e64 s7, v[1:2], v[3:4]
	v_cmp_eq_u16_e64 s8, 0, v7
	v_cmp_eq_u32_e32 vcc_lo, 1, v5
	s_delay_alu instid0(VALU_DEP_4) | instskip(NEXT) | instid1(VALU_DEP_1)
	v_cmp_eq_u32_e64 s6, 1, v6
	s_or_b32 s6, vcc_lo, s6
	s_delay_alu instid0(VALU_DEP_3)
	s_and_b32 vcc_lo, s8, s7
	v_cndmask_b32_e64 v7, 0, 1, s6
	v_dual_cndmask_b32 v3, v3, v1 :: v_dual_cndmask_b32 v4, v4, v2
	v_cndmask_b32_e64 v6, 0, 1, s6
; %bb.63:
	s_or_b32 exec_lo, exec_lo, s9
	ds_swizzle_b32 v1, v3 offset:swizzle(BROADCAST,32,15)
	ds_swizzle_b32 v2, v4 offset:swizzle(BROADCAST,32,15)
	;; [unrolled: 1-line block ×3, first 2 shown]
	v_and_b32_e32 v6, 16, v54
	s_mov_b32 s9, exec_lo
	s_delay_alu instid0(VALU_DEP_1)
	v_cmpx_ne_u32_e32 0, v6
	s_cbranch_execz .LBB115_65
; %bb.64:
	v_and_b32_e32 v6, 1, v7
	s_waitcnt lgkmcnt(0)
	v_and_b32_e32 v5, 1, v5
	v_cmp_lt_u64_e64 s7, v[1:2], v[3:4]
	v_cmp_eq_u16_e64 s8, 0, v7
	v_cmp_eq_u32_e32 vcc_lo, 1, v6
	s_delay_alu instid0(VALU_DEP_4) | instskip(NEXT) | instid1(VALU_DEP_1)
	v_cmp_eq_u32_e64 s6, 1, v5
	s_or_b32 s6, vcc_lo, s6
	s_delay_alu instid0(VALU_DEP_3)
	s_and_b32 vcc_lo, s8, s7
	v_cndmask_b32_e64 v7, 0, 1, s6
	v_dual_cndmask_b32 v4, v4, v2 :: v_dual_cndmask_b32 v3, v3, v1
.LBB115_65:
	s_or_b32 exec_lo, exec_lo, s9
	s_waitcnt lgkmcnt(2)
	v_or_b32_e32 v1, 31, v0
	s_mov_b32 s6, exec_lo
	s_delay_alu instid0(VALU_DEP_1)
	v_cmpx_eq_u32_e64 v1, v0
	s_cbranch_execz .LBB115_67
; %bb.66:
	v_lshlrev_b32_e32 v1, 4, v47
	ds_store_b64 v1, v[3:4]
	ds_store_b8 v1, v7 offset:8
.LBB115_67:
	s_or_b32 exec_lo, exec_lo, s6
	s_delay_alu instid0(SALU_CYCLE_1)
	s_mov_b32 s9, exec_lo
	s_waitcnt lgkmcnt(0)
	s_barrier
	buffer_gl0_inv
	v_cmpx_gt_u32_e32 8, v0
	s_cbranch_execz .LBB115_75
; %bb.68:
	v_lshlrev_b32_e32 v8, 4, v0
	s_mov_b32 s7, exec_lo
	ds_load_b64 v[1:2], v8
	ds_load_b32 v13, v8 offset:8
	v_and_b32_e32 v9, 7, v54
	s_waitcnt lgkmcnt(1)
	v_mov_b32_dpp v5, v1 row_shr:1 row_mask:0xf bank_mask:0xf
	s_waitcnt lgkmcnt(0)
	v_mov_b32_e32 v10, v13
	v_mov_b32_dpp v6, v2 row_shr:1 row_mask:0xf bank_mask:0xf
	v_dual_mov_b32 v12, v13 :: v_dual_and_b32 v11, 0xffffff00, v13
	v_mov_b32_dpp v14, v13 row_shr:1 row_mask:0xf bank_mask:0xf
	v_cmpx_ne_u32_e32 0, v9
; %bb.69:
	v_and_b32_e32 v10, 0xff, v13
	s_delay_alu instid0(VALU_DEP_3) | instskip(SKIP_1) | instid1(VALU_DEP_3)
	v_or_b32_e32 v13, v14, v13
	v_cmp_lt_u64_e32 vcc_lo, v[5:6], v[1:2]
	v_cmp_eq_u16_e64 s6, 0, v10
	s_delay_alu instid0(VALU_DEP_3) | instskip(SKIP_1) | instid1(VALU_DEP_3)
	v_and_b32_e32 v12, 1, v13
	v_and_b32_e32 v10, 1, v13
	s_and_b32 vcc_lo, s6, vcc_lo
	s_delay_alu instid0(VALU_DEP_2)
	v_or_b32_e32 v13, v12, v11
	v_dual_cndmask_b32 v2, v2, v6 :: v_dual_cndmask_b32 v1, v1, v5
; %bb.70:
	s_or_b32 exec_lo, exec_lo, s7
	s_delay_alu instid0(VALU_DEP_1) | instskip(NEXT) | instid1(VALU_DEP_2)
	v_mov_b32_dpp v5, v1 row_shr:2 row_mask:0xf bank_mask:0xf
	v_mov_b32_dpp v6, v2 row_shr:2 row_mask:0xf bank_mask:0xf
	;; [unrolled: 1-line block ×3, first 2 shown]
	s_mov_b32 s14, exec_lo
	v_cmpx_lt_u32_e32 1, v9
	s_cbranch_execz .LBB115_72
; %bb.71:
	v_and_b32_e32 v10, 1, v12
	v_and_b32_e32 v13, 1, v14
	;; [unrolled: 1-line block ×3, first 2 shown]
	v_cmp_lt_u64_e64 s7, v[5:6], v[1:2]
	s_delay_alu instid0(VALU_DEP_4) | instskip(NEXT) | instid1(VALU_DEP_4)
	v_cmp_eq_u32_e32 vcc_lo, 1, v10
	v_cmp_eq_u32_e64 s6, 1, v13
	s_delay_alu instid0(VALU_DEP_4) | instskip(NEXT) | instid1(VALU_DEP_2)
	v_cmp_eq_u16_e64 s8, 0, v12
	s_or_b32 s6, vcc_lo, s6
	s_delay_alu instid0(VALU_DEP_1) | instskip(SKIP_3) | instid1(VALU_DEP_2)
	s_and_b32 vcc_lo, s8, s7
	v_cndmask_b32_e64 v10, 0, 1, s6
	v_cndmask_b32_e64 v12, 0, 1, s6
	v_dual_cndmask_b32 v2, v2, v6 :: v_dual_cndmask_b32 v1, v1, v5
	v_or_b32_e32 v13, v11, v12
	s_delay_alu instid0(VALU_DEP_4)
	v_mov_b32_e32 v12, v10
.LBB115_72:
	s_or_b32 exec_lo, exec_lo, s14
	s_delay_alu instid0(VALU_DEP_3)
	v_mov_b32_dpp v5, v1 row_shr:4 row_mask:0xf bank_mask:0xf
	v_mov_b32_dpp v6, v2 row_shr:4 row_mask:0xf bank_mask:0xf
	;; [unrolled: 1-line block ×3, first 2 shown]
	s_mov_b32 s14, exec_lo
	v_cmpx_lt_u32_e32 3, v9
	s_cbranch_execz .LBB115_74
; %bb.73:
	s_delay_alu instid0(VALU_DEP_2) | instskip(SKIP_3) | instid1(VALU_DEP_3)
	v_and_b32_e32 v10, 1, v11
	v_and_b32_e32 v11, 0xff, v12
	v_cmp_lt_u64_e32 vcc_lo, v[5:6], v[1:2]
	v_and_b32_e32 v9, 1, v12
	v_cmp_eq_u16_e64 s8, 0, v11
	v_cndmask_b32_e32 v6, v2, v6, vcc_lo
	s_delay_alu instid0(VALU_DEP_3) | instskip(NEXT) | instid1(VALU_DEP_3)
	v_cmp_eq_u32_e64 s6, 1, v9
	s_and_b32 vcc_lo, s8, vcc_lo
	v_cndmask_b32_e32 v1, v1, v5, vcc_lo
	v_cmp_eq_u32_e64 s7, 1, v10
	v_cndmask_b32_e64 v2, v2, v6, s8
	s_delay_alu instid0(VALU_DEP_2) | instskip(NEXT) | instid1(SALU_CYCLE_1)
	s_or_b32 s6, s6, s7
	v_cndmask_b32_e64 v10, 0, 1, s6
.LBB115_74:
	s_or_b32 exec_lo, exec_lo, s14
	ds_store_b64 v8, v[1:2]
	ds_store_b8 v8, v10 offset:8
.LBB115_75:
	s_or_b32 exec_lo, exec_lo, s9
	v_mov_b32_e32 v1, 0
	v_cmp_gt_u32_e32 vcc_lo, 32, v0
	v_dual_mov_b32 v2, 0 :: v_dual_mov_b32 v13, 0
	s_mov_b32 s8, exec_lo
	s_waitcnt lgkmcnt(0)
	s_barrier
	buffer_gl0_inv
	v_cmpx_lt_u32_e32 31, v0
	s_cbranch_execz .LBB115_77
; %bb.76:
	v_lshl_add_u32 v5, v47, 4, -16
	v_cmp_eq_u16_e64 s7, 0, v7
	ds_load_b64 v[1:2], v5
	ds_load_u8 v13, v5 offset:8
	s_waitcnt lgkmcnt(1)
	v_cmp_lt_u64_e64 s6, v[1:2], v[3:4]
	s_waitcnt lgkmcnt(0)
	v_or_b32_e32 v5, v7, v13
	s_delay_alu instid0(VALU_DEP_2) | instskip(NEXT) | instid1(VALU_DEP_1)
	s_and_b32 s6, s7, s6
	v_and_b32_e32 v7, 1, v5
	v_cndmask_b32_e64 v3, v3, v1, s6
	v_cndmask_b32_e64 v4, v4, v2, s6
.LBB115_77:
	s_or_b32 exec_lo, exec_lo, s8
	v_add_nc_u32_e32 v5, -1, v54
	v_and_b32_e32 v6, 0xffff, v7
	s_delay_alu instid0(VALU_DEP_2) | instskip(NEXT) | instid1(VALU_DEP_1)
	v_cmp_gt_i32_e64 s6, 0, v5
	v_cndmask_b32_e64 v5, v5, v54, s6
	v_cmp_eq_u32_e64 s6, 0, v54
	s_delay_alu instid0(VALU_DEP_2)
	v_lshlrev_b32_e32 v5, 2, v5
	ds_bpermute_b32 v14, v5, v3
	ds_bpermute_b32 v15, v5, v4
	;; [unrolled: 1-line block ×3, first 2 shown]
	s_and_saveexec_b32 s14, vcc_lo
	s_cbranch_execz .LBB115_116
; %bb.78:
	v_mov_b32_e32 v7, 0
	ds_load_b64 v[3:4], v7 offset:112
	ds_load_u8 v33, v7 offset:120
	s_and_saveexec_b32 s7, s6
	s_cbranch_execz .LBB115_80
; %bb.79:
	s_add_i32 s8, s15, 32
	s_mov_b32 s9, 0
	v_dual_mov_b32 v5, s8 :: v_dual_mov_b32 v6, 1
	s_lshl_b64 s[30:31], s[8:9], 4
	s_delay_alu instid0(SALU_CYCLE_1)
	s_add_u32 s8, s16, s30
	s_addc_u32 s9, s17, s31
	s_waitcnt lgkmcnt(1)
	global_store_b64 v7, v[3:4], s[8:9]
	s_waitcnt lgkmcnt(0)
	global_store_b8 v7, v33, s[8:9] offset:8
	s_waitcnt_vscnt null, 0x0
	buffer_gl1_inv
	buffer_gl0_inv
	global_store_b8 v5, v6, s[20:21]
.LBB115_80:
	s_or_b32 exec_lo, exec_lo, s7
	v_xad_u32 v5, v54, -1, s15
	s_mov_b32 s8, 0
	s_mov_b32 s7, exec_lo
	s_delay_alu instid0(VALU_DEP_1)
	v_add_nc_u32_e32 v6, 32, v5
	global_load_u8 v34, v6, s[20:21] glc
	s_waitcnt vmcnt(0)
	v_cmpx_eq_u16_e32 0, v34
	s_cbranch_execz .LBB115_84
; %bb.81:
	v_add_co_u32 v8, s9, s20, v6
	s_delay_alu instid0(VALU_DEP_1)
	v_add_co_ci_u32_e64 v9, null, s21, 0, s9
.LBB115_82:                             ; =>This Inner Loop Header: Depth=1
	global_load_u8 v34, v[8:9], off glc
	s_waitcnt vmcnt(0)
	v_cmp_ne_u16_e32 vcc_lo, 0, v34
	s_or_b32 s8, vcc_lo, s8
	s_delay_alu instid0(SALU_CYCLE_1)
	s_and_not1_b32 exec_lo, exec_lo, s8
	s_cbranch_execnz .LBB115_82
; %bb.83:
	s_or_b32 exec_lo, exec_lo, s8
.LBB115_84:
	s_delay_alu instid0(SALU_CYCLE_1)
	s_or_b32 exec_lo, exec_lo, s7
	v_dual_mov_b32 v8, s17 :: v_dual_mov_b32 v9, s16
	v_cmp_eq_u16_e32 vcc_lo, 1, v34
	v_lshlrev_b64 v[6:7], 4, v[6:7]
	s_waitcnt lgkmcnt(0)
	s_waitcnt_vscnt null, 0x0
	buffer_gl1_inv
	buffer_gl0_inv
	v_lshlrev_b32_e64 v36, v54, -1
	v_add_nc_u32_e32 v37, 1, v54
	v_cndmask_b32_e32 v9, s18, v9, vcc_lo
	v_cndmask_b32_e32 v8, s19, v8, vcc_lo
	s_mov_b32 s8, exec_lo
	s_delay_alu instid0(VALU_DEP_2) | instskip(NEXT) | instid1(VALU_DEP_2)
	v_add_co_u32 v6, vcc_lo, v9, v6
	v_add_co_ci_u32_e32 v7, vcc_lo, v8, v7, vcc_lo
	v_cmp_ne_u32_e32 vcc_lo, 31, v54
	s_clause 0x1
	global_load_u8 v11, v[6:7], off offset:8
	global_load_b64 v[9:10], v[6:7], off
	v_add_co_ci_u32_e32 v6, vcc_lo, 0, v54, vcc_lo
	v_cmp_eq_u16_e32 vcc_lo, 2, v34
	s_delay_alu instid0(VALU_DEP_2) | instskip(SKIP_1) | instid1(VALU_DEP_1)
	v_lshlrev_b32_e32 v35, 2, v6
	v_and_or_b32 v8, vcc_lo, v36, 0x80000000
	v_ctz_i32_b32_e32 v8, v8
	s_waitcnt vmcnt(1)
	v_and_b32_e32 v12, 1, v11
	s_waitcnt vmcnt(0)
	ds_bpermute_b32 v6, v35, v9
	ds_bpermute_b32 v7, v35, v10
	;; [unrolled: 1-line block ×3, first 2 shown]
	v_cmpx_le_u32_e64 v37, v8
	s_cbranch_execz .LBB115_86
; %bb.85:
	v_and_b32_e32 v12, 0xff, v11
	s_waitcnt lgkmcnt(0)
	v_and_b32_e32 v38, 1, v38
	v_cmp_lt_u64_e32 vcc_lo, v[6:7], v[9:10]
	s_delay_alu instid0(VALU_DEP_3) | instskip(NEXT) | instid1(VALU_DEP_3)
	v_cmp_eq_u16_e64 s7, 0, v12
	v_or_b32_e32 v11, v38, v11
	s_delay_alu instid0(VALU_DEP_2) | instskip(NEXT) | instid1(VALU_DEP_1)
	s_and_b32 vcc_lo, s7, vcc_lo
	v_dual_cndmask_b32 v9, v9, v6 :: v_dual_and_b32 v12, 0xff, v11
	v_cndmask_b32_e32 v10, v10, v7, vcc_lo
.LBB115_86:
	s_or_b32 exec_lo, exec_lo, s8
	v_cmp_gt_u32_e32 vcc_lo, 30, v54
	v_add_nc_u32_e32 v39, 2, v54
	s_mov_b32 s23, exec_lo
	s_waitcnt lgkmcnt(2)
	v_cndmask_b32_e64 v6, 0, 1, vcc_lo
	s_delay_alu instid0(VALU_DEP_1) | instskip(SKIP_1) | instid1(VALU_DEP_1)
	v_lshlrev_b32_e32 v6, 1, v6
	s_waitcnt lgkmcnt(0)
	v_add_lshl_u32 v38, v6, v54, 2
	ds_bpermute_b32 v6, v38, v9
	ds_bpermute_b32 v7, v38, v10
	ds_bpermute_b32 v40, v38, v12
	v_cmpx_le_u32_e64 v39, v8
	s_cbranch_execz .LBB115_88
; %bb.87:
	v_and_b32_e32 v12, 0xff, v11
	v_and_b32_e32 v11, 1, v11
	s_waitcnt lgkmcnt(0)
	v_and_b32_e32 v40, 1, v40
	v_cmp_lt_u64_e32 vcc_lo, v[6:7], v[9:10]
	v_cmp_eq_u16_e64 s7, 0, v12
	v_cmp_eq_u32_e64 s8, 1, v11
	s_delay_alu instid0(VALU_DEP_4) | instskip(NEXT) | instid1(VALU_DEP_3)
	v_cmp_eq_u32_e64 s9, 1, v40
	s_and_b32 vcc_lo, s7, vcc_lo
	v_cndmask_b32_e32 v9, v9, v6, vcc_lo
	s_delay_alu instid0(VALU_DEP_2)
	s_or_b32 s7, s8, s9
	v_cndmask_b32_e32 v10, v10, v7, vcc_lo
	v_cndmask_b32_e64 v11, 0, 1, s7
	v_cndmask_b32_e64 v12, 0, 1, s7
.LBB115_88:
	s_or_b32 exec_lo, exec_lo, s23
	v_cmp_gt_u32_e32 vcc_lo, 28, v54
	v_add_nc_u32_e32 v63, 4, v54
	s_mov_b32 s23, exec_lo
	s_waitcnt lgkmcnt(2)
	v_cndmask_b32_e64 v6, 0, 1, vcc_lo
	s_delay_alu instid0(VALU_DEP_1) | instskip(SKIP_1) | instid1(VALU_DEP_1)
	v_lshlrev_b32_e32 v6, 2, v6
	s_waitcnt lgkmcnt(0)
	v_add_lshl_u32 v40, v6, v54, 2
	ds_bpermute_b32 v6, v40, v9
	ds_bpermute_b32 v7, v40, v10
	ds_bpermute_b32 v64, v40, v12
	v_cmpx_le_u32_e64 v63, v8
	s_cbranch_execz .LBB115_90
; %bb.89:
	v_and_b32_e32 v12, 0xff, v11
	v_and_b32_e32 v11, 1, v11
	s_waitcnt lgkmcnt(0)
	v_and_b32_e32 v64, 1, v64
	v_cmp_lt_u64_e32 vcc_lo, v[6:7], v[9:10]
	v_cmp_eq_u16_e64 s7, 0, v12
	v_cmp_eq_u32_e64 s8, 1, v11
	s_delay_alu instid0(VALU_DEP_4) | instskip(NEXT) | instid1(VALU_DEP_3)
	v_cmp_eq_u32_e64 s9, 1, v64
	s_and_b32 vcc_lo, s7, vcc_lo
	v_cndmask_b32_e32 v9, v9, v6, vcc_lo
	s_delay_alu instid0(VALU_DEP_2)
	s_or_b32 s7, s8, s9
	v_cndmask_b32_e32 v10, v10, v7, vcc_lo
	v_cndmask_b32_e64 v11, 0, 1, s7
	v_cndmask_b32_e64 v12, 0, 1, s7
.LBB115_90:
	;; [unrolled: 33-line block ×3, first 2 shown]
	s_or_b32 exec_lo, exec_lo, s23
	v_cmp_gt_u32_e32 vcc_lo, 16, v54
	v_add_nc_u32_e32 v67, 16, v54
	s_mov_b32 s23, exec_lo
	s_waitcnt lgkmcnt(2)
	v_cndmask_b32_e64 v6, 0, 1, vcc_lo
	s_delay_alu instid0(VALU_DEP_1) | instskip(SKIP_1) | instid1(VALU_DEP_1)
	v_lshlrev_b32_e32 v6, 4, v6
	s_waitcnt lgkmcnt(0)
	v_add_lshl_u32 v66, v6, v54, 2
	ds_bpermute_b32 v6, v66, v9
	ds_bpermute_b32 v7, v66, v10
	;; [unrolled: 1-line block ×3, first 2 shown]
	v_cmpx_le_u32_e64 v67, v8
	s_cbranch_execz .LBB115_94
; %bb.93:
	s_waitcnt lgkmcnt(1)
	v_cmp_lt_u64_e32 vcc_lo, v[6:7], v[9:10]
	v_and_b32_e32 v8, 0xff, v11
	v_and_b32_e32 v11, 1, v11
	s_waitcnt lgkmcnt(0)
	v_dual_cndmask_b32 v7, v10, v7 :: v_dual_and_b32 v12, 1, v12
	s_delay_alu instid0(VALU_DEP_3) | instskip(NEXT) | instid1(VALU_DEP_3)
	v_cmp_eq_u16_e64 s7, 0, v8
	v_cmp_eq_u32_e64 s8, 1, v11
	s_delay_alu instid0(VALU_DEP_3) | instskip(NEXT) | instid1(VALU_DEP_3)
	v_cmp_eq_u32_e64 s9, 1, v12
	s_and_b32 vcc_lo, s7, vcc_lo
	v_cndmask_b32_e64 v10, v10, v7, s7
	s_delay_alu instid0(VALU_DEP_2)
	s_or_b32 s7, s8, s9
	v_cndmask_b32_e32 v9, v9, v6, vcc_lo
	v_cndmask_b32_e64 v11, 0, 1, s7
.LBB115_94:
	s_or_b32 exec_lo, exec_lo, s23
	s_waitcnt lgkmcnt(2)
	v_mov_b32_e32 v6, 0
	s_branch .LBB115_96
.LBB115_95:                             ;   in Loop: Header=BB115_96 Depth=1
	s_or_b32 exec_lo, exec_lo, s30
	v_cmp_lt_u64_e32 vcc_lo, v[9:10], v[7:8]
	s_waitcnt lgkmcnt(2)
	v_and_b32_e32 v11, 0xff, v68
	v_subrev_nc_u32_e32 v5, 32, v5
	v_cndmask_b32_e32 v10, v8, v10, vcc_lo
	s_delay_alu instid0(VALU_DEP_3) | instskip(NEXT) | instid1(VALU_DEP_1)
	v_cmp_eq_u16_e64 s7, 0, v11
	s_and_b32 vcc_lo, s7, vcc_lo
	s_waitcnt lgkmcnt(1)
	v_dual_cndmask_b32 v9, v7, v9 :: v_dual_and_b32 v12, 1, v68
	v_cndmask_b32_e64 v10, v8, v10, s7
	s_delay_alu instid0(VALU_DEP_2) | instskip(NEXT) | instid1(VALU_DEP_1)
	v_cmp_eq_u32_e64 s8, 1, v12
	s_or_b32 s7, s8, s23
	s_delay_alu instid0(SALU_CYCLE_1)
	v_cndmask_b32_e64 v11, 0, 1, s7
.LBB115_96:                             ; =>This Loop Header: Depth=1
                                        ;     Child Loop BB115_99 Depth 2
	s_waitcnt lgkmcnt(1)
	s_delay_alu instid0(VALU_DEP_1) | instskip(NEXT) | instid1(VALU_DEP_1)
	v_dual_mov_b32 v68, v11 :: v_dual_and_b32 v7, 0xff, v34
	v_cmp_ne_u16_e32 vcc_lo, 2, v7
	v_cndmask_b32_e64 v7, 0, 1, vcc_lo
	;;#ASMSTART
	;;#ASMEND
	s_delay_alu instid0(VALU_DEP_1)
	v_cmp_ne_u32_e32 vcc_lo, 0, v7
	v_dual_mov_b32 v7, v9 :: v_dual_mov_b32 v8, v10
	s_cmp_lg_u32 vcc_lo, exec_lo
	s_cbranch_scc1 .LBB115_111
; %bb.97:                               ;   in Loop: Header=BB115_96 Depth=1
	global_load_u8 v34, v5, s[20:21] glc
	s_mov_b32 s7, exec_lo
	s_waitcnt vmcnt(0)
	v_cmpx_eq_u16_e32 0, v34
	s_cbranch_execz .LBB115_101
; %bb.98:                               ;   in Loop: Header=BB115_96 Depth=1
	v_add_co_u32 v9, s8, s20, v5
	s_delay_alu instid0(VALU_DEP_1)
	v_add_co_ci_u32_e64 v10, null, s21, 0, s8
	s_mov_b32 s8, 0
.LBB115_99:                             ;   Parent Loop BB115_96 Depth=1
                                        ; =>  This Inner Loop Header: Depth=2
	global_load_u8 v34, v[9:10], off glc
	s_waitcnt vmcnt(0)
	v_cmp_ne_u16_e32 vcc_lo, 0, v34
	s_or_b32 s8, vcc_lo, s8
	s_delay_alu instid0(SALU_CYCLE_1)
	s_and_not1_b32 exec_lo, exec_lo, s8
	s_cbranch_execnz .LBB115_99
; %bb.100:                              ;   in Loop: Header=BB115_96 Depth=1
	s_or_b32 exec_lo, exec_lo, s8
.LBB115_101:                            ;   in Loop: Header=BB115_96 Depth=1
	s_delay_alu instid0(SALU_CYCLE_1)
	s_or_b32 exec_lo, exec_lo, s7
	s_waitcnt lgkmcnt(0)
	v_dual_mov_b32 v11, s17 :: v_dual_mov_b32 v12, s16
	v_cmp_eq_u16_e32 vcc_lo, 1, v34
	v_lshlrev_b64 v[9:10], 4, v[5:6]
	buffer_gl1_inv
	buffer_gl0_inv
	s_mov_b32 s9, exec_lo
	v_cndmask_b32_e32 v12, s18, v12, vcc_lo
	v_cndmask_b32_e32 v11, s19, v11, vcc_lo
	s_delay_alu instid0(VALU_DEP_2) | instskip(NEXT) | instid1(VALU_DEP_2)
	v_add_co_u32 v9, vcc_lo, v12, v9
	v_add_co_ci_u32_e32 v10, vcc_lo, v11, v10, vcc_lo
	v_cmp_eq_u16_e32 vcc_lo, 2, v34
	s_clause 0x1
	global_load_u8 v69, v[9:10], off offset:8
	global_load_b64 v[9:10], v[9:10], off
	v_and_or_b32 v70, vcc_lo, v36, 0x80000000
	s_delay_alu instid0(VALU_DEP_1)
	v_ctz_i32_b32_e32 v70, v70
	s_waitcnt vmcnt(1)
	v_and_b32_e32 v71, 1, v69
	s_waitcnt vmcnt(0)
	ds_bpermute_b32 v11, v35, v9
	ds_bpermute_b32 v12, v35, v10
	;; [unrolled: 1-line block ×3, first 2 shown]
	v_cmp_eq_u32_e64 s23, 1, v71
	v_cmpx_le_u32_e64 v37, v70
	s_cbranch_execz .LBB115_103
; %bb.102:                              ;   in Loop: Header=BB115_96 Depth=1
	s_waitcnt lgkmcnt(0)
	v_and_b32_e32 v71, 1, v72
	v_and_b32_e32 v72, 0xff, v69
	v_cmp_lt_u64_e32 vcc_lo, v[11:12], v[9:10]
	s_delay_alu instid0(VALU_DEP_3) | instskip(NEXT) | instid1(VALU_DEP_3)
	v_or_b32_e32 v69, v71, v69
	v_cmp_eq_u16_e64 s7, 0, v72
	s_delay_alu instid0(VALU_DEP_1) | instskip(NEXT) | instid1(VALU_DEP_2)
	s_and_b32 vcc_lo, s7, vcc_lo
	v_dual_cndmask_b32 v10, v10, v12 :: v_dual_and_b32 v71, 1, v69
	v_cndmask_b32_e32 v9, v9, v11, vcc_lo
	s_and_not1_b32 s7, s23, exec_lo
	s_delay_alu instid0(VALU_DEP_2) | instskip(SKIP_1) | instid1(VALU_DEP_2)
	v_cmp_eq_u32_e64 s8, 1, v71
	v_and_b32_e32 v71, 0xff, v69
	s_and_b32 s8, s8, exec_lo
	s_delay_alu instid0(SALU_CYCLE_1)
	s_or_b32 s23, s7, s8
.LBB115_103:                            ;   in Loop: Header=BB115_96 Depth=1
	s_or_b32 exec_lo, exec_lo, s9
	s_waitcnt lgkmcnt(2)
	ds_bpermute_b32 v11, v38, v9
	s_waitcnt lgkmcnt(2)
	ds_bpermute_b32 v12, v38, v10
	s_waitcnt lgkmcnt(2)
	ds_bpermute_b32 v72, v38, v71
	s_mov_b32 s30, exec_lo
	v_cmpx_le_u32_e64 v39, v70
	s_cbranch_execz .LBB115_105
; %bb.104:                              ;   in Loop: Header=BB115_96 Depth=1
	v_and_b32_e32 v71, 0xff, v69
	s_waitcnt lgkmcnt(1)
	v_cmp_lt_u64_e32 vcc_lo, v[11:12], v[9:10]
	v_and_b32_e32 v69, 1, v69
	s_delay_alu instid0(VALU_DEP_3) | instskip(NEXT) | instid1(VALU_DEP_2)
	v_cmp_eq_u16_e64 s7, 0, v71
	v_cmp_eq_u32_e64 s8, 1, v69
	s_delay_alu instid0(VALU_DEP_2) | instskip(SKIP_3) | instid1(VALU_DEP_2)
	s_and_b32 vcc_lo, s7, vcc_lo
	s_waitcnt lgkmcnt(0)
	v_dual_cndmask_b32 v9, v9, v11 :: v_dual_and_b32 v72, 1, v72
	v_cndmask_b32_e32 v10, v10, v12, vcc_lo
	v_cmp_eq_u32_e64 s9, 1, v72
	s_delay_alu instid0(VALU_DEP_1) | instskip(SKIP_4) | instid1(SALU_CYCLE_1)
	s_or_b32 s7, s8, s9
	s_and_not1_b32 s8, s23, exec_lo
	v_cndmask_b32_e64 v69, 0, 1, s7
	v_cndmask_b32_e64 v71, 0, 1, s7
	s_and_b32 s7, s7, exec_lo
	s_or_b32 s23, s8, s7
.LBB115_105:                            ;   in Loop: Header=BB115_96 Depth=1
	s_or_b32 exec_lo, exec_lo, s30
	s_waitcnt lgkmcnt(2)
	ds_bpermute_b32 v11, v40, v9
	s_waitcnt lgkmcnt(2)
	ds_bpermute_b32 v12, v40, v10
	s_waitcnt lgkmcnt(2)
	ds_bpermute_b32 v72, v40, v71
	s_mov_b32 s30, exec_lo
	v_cmpx_le_u32_e64 v63, v70
	s_cbranch_execz .LBB115_107
; %bb.106:                              ;   in Loop: Header=BB115_96 Depth=1
	v_and_b32_e32 v71, 0xff, v69
	s_waitcnt lgkmcnt(1)
	v_cmp_lt_u64_e32 vcc_lo, v[11:12], v[9:10]
	v_and_b32_e32 v69, 1, v69
	s_delay_alu instid0(VALU_DEP_3) | instskip(NEXT) | instid1(VALU_DEP_2)
	v_cmp_eq_u16_e64 s7, 0, v71
	v_cmp_eq_u32_e64 s8, 1, v69
	s_delay_alu instid0(VALU_DEP_2) | instskip(SKIP_3) | instid1(VALU_DEP_2)
	s_and_b32 vcc_lo, s7, vcc_lo
	s_waitcnt lgkmcnt(0)
	v_dual_cndmask_b32 v9, v9, v11 :: v_dual_and_b32 v72, 1, v72
	v_cndmask_b32_e32 v10, v10, v12, vcc_lo
	v_cmp_eq_u32_e64 s9, 1, v72
	s_delay_alu instid0(VALU_DEP_1) | instskip(SKIP_4) | instid1(SALU_CYCLE_1)
	s_or_b32 s7, s8, s9
	s_and_not1_b32 s8, s23, exec_lo
	v_cndmask_b32_e64 v69, 0, 1, s7
	v_cndmask_b32_e64 v71, 0, 1, s7
	s_and_b32 s7, s7, exec_lo
	s_or_b32 s23, s8, s7
.LBB115_107:                            ;   in Loop: Header=BB115_96 Depth=1
	;; [unrolled: 32-line block ×3, first 2 shown]
	s_or_b32 exec_lo, exec_lo, s30
	s_waitcnt lgkmcnt(2)
	ds_bpermute_b32 v11, v66, v9
	s_waitcnt lgkmcnt(2)
	ds_bpermute_b32 v12, v66, v10
	ds_bpermute_b32 v71, v66, v71
	s_mov_b32 s30, exec_lo
	v_cmpx_le_u32_e64 v67, v70
	s_cbranch_execz .LBB115_95
; %bb.110:                              ;   in Loop: Header=BB115_96 Depth=1
	v_and_b32_e32 v70, 0xff, v69
	s_waitcnt lgkmcnt(1)
	v_cmp_lt_u64_e32 vcc_lo, v[11:12], v[9:10]
	v_and_b32_e32 v69, 1, v69
	s_waitcnt lgkmcnt(0)
	v_and_b32_e32 v71, 1, v71
	v_cmp_eq_u16_e64 s7, 0, v70
	v_cndmask_b32_e32 v12, v10, v12, vcc_lo
	v_cmp_eq_u32_e64 s8, 1, v69
	s_delay_alu instid0(VALU_DEP_4) | instskip(NEXT) | instid1(VALU_DEP_4)
	v_cmp_eq_u32_e64 s9, 1, v71
	s_and_b32 vcc_lo, s7, vcc_lo
	s_delay_alu instid0(VALU_DEP_3) | instskip(SKIP_1) | instid1(VALU_DEP_3)
	v_cndmask_b32_e64 v10, v10, v12, s7
	v_cndmask_b32_e32 v9, v9, v11, vcc_lo
	s_or_b32 s7, s8, s9
	s_and_not1_b32 s8, s23, exec_lo
	s_and_b32 s7, s7, exec_lo
	s_delay_alu instid0(SALU_CYCLE_1)
	s_or_b32 s23, s8, s7
	s_branch .LBB115_95
.LBB115_111:                            ;   in Loop: Header=BB115_96 Depth=1
                                        ; implicit-def: $vgpr11
                                        ; implicit-def: $vgpr9_vgpr10
                                        ; implicit-def: $vgpr34
	s_cbranch_execz .LBB115_96
; %bb.112:
	s_and_saveexec_b32 s8, s6
	s_cbranch_execz .LBB115_114
; %bb.113:
	v_cmp_lt_u64_e32 vcc_lo, v[7:8], v[3:4]
	v_and_b32_e32 v5, 0xff, v33
	s_mov_b32 s17, 0
	s_add_i32 s16, s15, 32
	v_mov_b32_e32 v10, 2
	s_lshl_b64 s[30:31], s[16:17], 4
	v_cndmask_b32_e32 v6, v4, v8, vcc_lo
	v_cmp_eq_u16_e64 s7, 0, v5
	v_or_b32_e32 v5, v33, v68
	v_mov_b32_e32 v9, s16
	s_delay_alu instid0(VALU_DEP_3)
	s_and_b32 vcc_lo, s7, vcc_lo
	v_cndmask_b32_e64 v4, v4, v6, s7
	v_dual_cndmask_b32 v3, v3, v7 :: v_dual_mov_b32 v6, 0
	v_and_b32_e32 v5, 1, v5
	s_add_u32 s30, s18, s30
	s_addc_u32 s31, s19, s31
	s_clause 0x1
	global_store_b64 v6, v[3:4], s[30:31]
	global_store_b8 v6, v5, s[30:31] offset:8
	s_waitcnt lgkmcnt(0)
	s_waitcnt_vscnt null, 0x0
	buffer_gl1_inv
	buffer_gl0_inv
	global_store_b8 v9, v10, s[20:21]
.LBB115_114:
	s_or_b32 exec_lo, exec_lo, s8
	v_cmp_eq_u32_e32 vcc_lo, 0, v0
	s_and_b32 exec_lo, exec_lo, vcc_lo
	s_cbranch_execz .LBB115_116
; %bb.115:
	v_mov_b32_e32 v3, 0
	ds_store_b64 v3, v[7:8] offset:112
	ds_store_b8 v3, v68 offset:120
.LBB115_116:
	s_or_b32 exec_lo, exec_lo, s14
	v_mov_b32_e32 v3, 0
	s_waitcnt lgkmcnt(0)
	s_waitcnt_vscnt null, 0x0
	s_barrier
	buffer_gl0_inv
	s_mov_b32 s7, 0
	ds_load_b64 v[33:34], v3 offset:112
	s_mov_b32 s8, exec_lo
	v_cmpx_ne_u32_e32 0, v0
	s_cbranch_execz .LBB115_118
; %bb.117:
	v_cndmask_b32_e64 v3, v16, v13, s6
	v_cndmask_b32_e64 v1, v14, v1, s6
	;; [unrolled: 1-line block ×3, first 2 shown]
	s_delay_alu instid0(VALU_DEP_3) | instskip(SKIP_1) | instid1(VALU_DEP_2)
	v_and_b32_e32 v3, 0xff, v3
	s_waitcnt lgkmcnt(0)
	v_cmp_lt_u64_e32 vcc_lo, v[33:34], v[1:2]
	s_delay_alu instid0(VALU_DEP_2) | instskip(NEXT) | instid1(VALU_DEP_1)
	v_cmp_eq_u16_e64 s6, 0, v3
	s_and_b32 vcc_lo, s6, vcc_lo
	v_dual_cndmask_b32 v34, v2, v34 :: v_dual_cndmask_b32 v33, v1, v33
.LBB115_118:
	s_or_b32 exec_lo, exec_lo, s8
	s_waitcnt lgkmcnt(0)
	s_delay_alu instid0(VALU_DEP_1) | instskip(SKIP_1) | instid1(VALU_DEP_1)
	v_cmp_lt_u64_e32 vcc_lo, v[33:34], v[17:18]
	v_dual_cndmask_b32 v2, v18, v34 :: v_dual_and_b32 v1, 0xff, v41
	v_cmp_eq_u16_e64 s6, 0, v1
	s_delay_alu instid0(VALU_DEP_1) | instskip(NEXT) | instid1(VALU_DEP_2)
	s_and_b32 vcc_lo, s6, vcc_lo
	v_cndmask_b32_e64 v4, v18, v2, s6
	v_cndmask_b32_e32 v3, v17, v33, vcc_lo
	s_delay_alu instid0(VALU_DEP_1) | instskip(SKIP_3) | instid1(VALU_DEP_2)
	v_cmp_lt_u64_e32 vcc_lo, v[3:4], v[21:22]
	v_cndmask_b32_e32 v1, v22, v4, vcc_lo
	s_and_b32 vcc_lo, s0, vcc_lo
	v_cndmask_b32_e32 v5, v21, v3, vcc_lo
	v_cndmask_b32_e64 v6, v22, v1, s0
	s_delay_alu instid0(VALU_DEP_1) | instskip(SKIP_3) | instid1(VALU_DEP_2)
	v_cmp_lt_u64_e32 vcc_lo, v[5:6], v[23:24]
	v_cndmask_b32_e32 v1, v24, v6, vcc_lo
	s_and_b32 vcc_lo, s1, vcc_lo
	v_cndmask_b32_e32 v35, v23, v5, vcc_lo
	v_cndmask_b32_e64 v36, v24, v1, s1
	;; [unrolled: 6-line block ×6, first 2 shown]
	s_and_b32 vcc_lo, exec_lo, s7
	s_cbranch_vccnz .LBB115_120
	s_branch .LBB115_147
.LBB115_119:
                                        ; implicit-def: $vgpr33_vgpr34
                                        ; implicit-def: $vgpr39_vgpr40
                                        ; implicit-def: $vgpr37_vgpr38
                                        ; implicit-def: $vgpr35_vgpr36
                                        ; implicit-def: $vgpr13_vgpr14_vgpr15_vgpr16
                                        ; implicit-def: $vgpr9_vgpr10_vgpr11_vgpr12
                                        ; implicit-def: $vgpr5_vgpr6_vgpr7_vgpr8
                                        ; implicit-def: $vgpr1_vgpr2_vgpr3_vgpr4
	s_cbranch_execz .LBB115_147
.LBB115_120:
	s_cmp_eq_u64 s[28:29], 0
	s_cbranch_scc1 .LBB115_122
; %bb.121:
	s_load_b64 s[26:27], s[28:29], 0x0
.LBB115_122:
	v_cmp_lt_u64_e64 s0, v[17:18], v[21:22]
	v_cmp_eq_u16_e32 vcc_lo, 0, v62
	v_or_b32_e32 v3, v58, v53
	v_cmp_eq_u16_e64 s6, 0, v55
	s_mov_b32 s7, exec_lo
	s_delay_alu instid0(VALU_DEP_4) | instskip(NEXT) | instid1(VALU_DEP_2)
	s_and_b32 s0, vcc_lo, s0
	v_or_b32_e32 v3, v3, v52
	v_cndmask_b32_e64 v2, v22, v18, s0
	v_cndmask_b32_e64 v1, v21, v17, s0
	v_cmp_eq_u16_e64 s0, 0, v61
	s_delay_alu instid0(VALU_DEP_4) | instskip(NEXT) | instid1(VALU_DEP_3)
	v_or_b32_e32 v3, v3, v51
	v_cmp_lt_u64_e64 s1, v[1:2], v[23:24]
	s_delay_alu instid0(VALU_DEP_2) | instskip(NEXT) | instid1(VALU_DEP_2)
	v_or_b32_e32 v3, v3, v50
	s_and_b32 s1, s0, s1
	s_delay_alu instid0(SALU_CYCLE_1) | instskip(SKIP_3) | instid1(VALU_DEP_3)
	v_cndmask_b32_e64 v2, v24, v2, s1
	v_cndmask_b32_e64 v1, v23, v1, s1
	v_cmp_eq_u16_e64 s1, 0, v60
	v_or_b32_e32 v3, v3, v41
	v_cmp_lt_u64_e64 s2, v[1:2], v[25:26]
	s_delay_alu instid0(VALU_DEP_2) | instskip(SKIP_1) | instid1(VALU_DEP_3)
	v_and_b32_e32 v7, 1, v3
	v_and_b32_e32 v5, 15, v54
	s_and_b32 s2, s1, s2
	s_delay_alu instid0(VALU_DEP_2) | instskip(SKIP_4) | instid1(VALU_DEP_3)
	v_mov_b32_e32 v6, v7
	v_cndmask_b32_e64 v2, v26, v2, s2
	v_cndmask_b32_e64 v1, v25, v1, s2
	v_cmp_eq_u16_e64 s2, 0, v59
	v_mov_b32_dpp v8, v7 row_shr:1 row_mask:0xf bank_mask:0xf
	v_cmp_lt_u64_e64 s3, v[1:2], v[27:28]
	s_delay_alu instid0(VALU_DEP_1) | instskip(NEXT) | instid1(SALU_CYCLE_1)
	s_and_b32 s3, s2, s3
	v_cndmask_b32_e64 v2, v28, v2, s3
	v_cndmask_b32_e64 v1, v27, v1, s3
	v_cmp_eq_u16_e64 s3, 0, v57
	s_delay_alu instid0(VALU_DEP_2) | instskip(NEXT) | instid1(VALU_DEP_1)
	v_cmp_lt_u64_e64 s4, v[1:2], v[29:30]
	s_and_b32 s4, s3, s4
	s_delay_alu instid0(SALU_CYCLE_1) | instskip(SKIP_2) | instid1(VALU_DEP_2)
	v_cndmask_b32_e64 v2, v30, v2, s4
	v_cndmask_b32_e64 v1, v29, v1, s4
	v_cmp_eq_u16_e64 s4, 0, v56
	v_cmp_lt_u64_e64 s5, v[1:2], v[19:20]
	s_delay_alu instid0(VALU_DEP_1) | instskip(NEXT) | instid1(SALU_CYCLE_1)
	s_and_b32 s5, s4, s5
	v_cndmask_b32_e64 v2, v20, v2, s5
	v_cndmask_b32_e64 v1, v19, v1, s5
	s_delay_alu instid0(VALU_DEP_1) | instskip(NEXT) | instid1(VALU_DEP_1)
	v_cmp_lt_u64_e64 s5, v[1:2], v[31:32]
	s_and_b32 s5, s6, s5
	s_delay_alu instid0(SALU_CYCLE_1) | instskip(SKIP_2) | instid1(VALU_DEP_3)
	v_cndmask_b32_e64 v2, v32, v2, s5
	v_cndmask_b32_e64 v1, v31, v1, s5
	v_cmp_eq_u32_e64 s5, 1, v7
	v_mov_b32_dpp v4, v2 row_shr:1 row_mask:0xf bank_mask:0xf
	s_delay_alu instid0(VALU_DEP_3)
	v_mov_b32_dpp v3, v1 row_shr:1 row_mask:0xf bank_mask:0xf
	v_cmpx_ne_u32_e32 0, v5
; %bb.123:
	s_delay_alu instid0(VALU_DEP_2) | instskip(SKIP_1) | instid1(VALU_DEP_1)
	v_cmp_lt_u64_e64 s6, v[3:4], v[1:2]
	v_and_b32_e32 v6, 1, v8
	v_or_b32_e32 v7, v6, v7
	s_delay_alu instid0(VALU_DEP_3) | instskip(SKIP_1) | instid1(VALU_DEP_3)
	v_cndmask_b32_e64 v3, v1, v3, s6
	v_cndmask_b32_e64 v4, v2, v4, s6
	v_and_b32_e32 v6, 0xffff, v7
	s_delay_alu instid0(VALU_DEP_3) | instskip(NEXT) | instid1(VALU_DEP_3)
	v_cndmask_b32_e64 v1, v3, v1, s5
	v_cndmask_b32_e64 v2, v4, v2, s5
; %bb.124:
	s_or_b32 exec_lo, exec_lo, s7
	s_delay_alu instid0(VALU_DEP_2) | instskip(NEXT) | instid1(VALU_DEP_2)
	v_mov_b32_dpp v3, v1 row_shr:2 row_mask:0xf bank_mask:0xf
	v_mov_b32_dpp v4, v2 row_shr:2 row_mask:0xf bank_mask:0xf
	;; [unrolled: 1-line block ×3, first 2 shown]
	s_mov_b32 s9, exec_lo
	v_cmpx_lt_u32_e32 1, v5
	s_cbranch_execz .LBB115_126
; %bb.125:
	v_and_b32_e32 v6, 1, v7
	v_and_b32_e32 v8, 1, v8
	v_cmp_lt_u64_e64 s7, v[3:4], v[1:2]
	v_cmp_eq_u16_e64 s8, 0, v7
	s_delay_alu instid0(VALU_DEP_4) | instskip(NEXT) | instid1(VALU_DEP_4)
	v_cmp_eq_u32_e64 s5, 1, v6
	v_cmp_eq_u32_e64 s6, 1, v8
	s_delay_alu instid0(VALU_DEP_1) | instskip(NEXT) | instid1(VALU_DEP_3)
	s_or_b32 s6, s5, s6
	s_and_b32 s5, s8, s7
	v_cndmask_b32_e64 v7, 0, 1, s6
	v_cndmask_b32_e64 v2, v2, v4, s5
	v_cndmask_b32_e64 v1, v1, v3, s5
	v_cndmask_b32_e64 v6, 0, 1, s6
.LBB115_126:
	s_or_b32 exec_lo, exec_lo, s9
	s_delay_alu instid0(VALU_DEP_2) | instskip(SKIP_1) | instid1(VALU_DEP_3)
	v_mov_b32_dpp v3, v1 row_shr:4 row_mask:0xf bank_mask:0xf
	v_mov_b32_dpp v4, v2 row_shr:4 row_mask:0xf bank_mask:0xf
	;; [unrolled: 1-line block ×3, first 2 shown]
	s_mov_b32 s9, exec_lo
	v_cmpx_lt_u32_e32 3, v5
	s_cbranch_execz .LBB115_128
; %bb.127:
	v_and_b32_e32 v6, 1, v7
	v_and_b32_e32 v8, 1, v8
	v_cmp_lt_u64_e64 s7, v[3:4], v[1:2]
	v_cmp_eq_u16_e64 s8, 0, v7
	s_delay_alu instid0(VALU_DEP_4) | instskip(NEXT) | instid1(VALU_DEP_4)
	v_cmp_eq_u32_e64 s5, 1, v6
	v_cmp_eq_u32_e64 s6, 1, v8
	s_delay_alu instid0(VALU_DEP_1) | instskip(NEXT) | instid1(VALU_DEP_3)
	s_or_b32 s6, s5, s6
	s_and_b32 s5, s8, s7
	v_cndmask_b32_e64 v7, 0, 1, s6
	v_cndmask_b32_e64 v2, v2, v4, s5
	v_cndmask_b32_e64 v1, v1, v3, s5
	v_cndmask_b32_e64 v6, 0, 1, s6
.LBB115_128:
	s_or_b32 exec_lo, exec_lo, s9
	s_delay_alu instid0(VALU_DEP_2) | instskip(SKIP_1) | instid1(VALU_DEP_3)
	v_mov_b32_dpp v3, v1 row_shr:8 row_mask:0xf bank_mask:0xf
	v_mov_b32_dpp v4, v2 row_shr:8 row_mask:0xf bank_mask:0xf
	v_mov_b32_dpp v8, v6 row_shr:8 row_mask:0xf bank_mask:0xf
	s_mov_b32 s9, exec_lo
	v_cmpx_lt_u32_e32 7, v5
	s_cbranch_execz .LBB115_130
; %bb.129:
	v_and_b32_e32 v5, 1, v7
	v_and_b32_e32 v6, 1, v8
	v_cmp_lt_u64_e64 s7, v[3:4], v[1:2]
	v_cmp_eq_u16_e64 s8, 0, v7
	s_delay_alu instid0(VALU_DEP_4) | instskip(NEXT) | instid1(VALU_DEP_4)
	v_cmp_eq_u32_e64 s5, 1, v5
	v_cmp_eq_u32_e64 s6, 1, v6
	s_delay_alu instid0(VALU_DEP_1) | instskip(NEXT) | instid1(VALU_DEP_3)
	s_or_b32 s6, s5, s6
	s_and_b32 s5, s8, s7
	v_cndmask_b32_e64 v7, 0, 1, s6
	v_cndmask_b32_e64 v2, v2, v4, s5
	;; [unrolled: 1-line block ×4, first 2 shown]
.LBB115_130:
	s_or_b32 exec_lo, exec_lo, s9
	ds_swizzle_b32 v3, v1 offset:swizzle(BROADCAST,32,15)
	ds_swizzle_b32 v4, v2 offset:swizzle(BROADCAST,32,15)
	;; [unrolled: 1-line block ×3, first 2 shown]
	v_and_b32_e32 v6, 16, v54
	s_mov_b32 s9, exec_lo
	s_delay_alu instid0(VALU_DEP_1)
	v_cmpx_ne_u32_e32 0, v6
	s_cbranch_execz .LBB115_132
; %bb.131:
	v_and_b32_e32 v6, 1, v7
	s_waitcnt lgkmcnt(0)
	v_and_b32_e32 v5, 1, v5
	v_cmp_lt_u64_e64 s7, v[3:4], v[1:2]
	v_cmp_eq_u16_e64 s8, 0, v7
	v_cmp_eq_u32_e64 s5, 1, v6
	s_delay_alu instid0(VALU_DEP_4) | instskip(NEXT) | instid1(VALU_DEP_4)
	v_cmp_eq_u32_e64 s6, 1, v5
	v_cndmask_b32_e64 v4, v2, v4, s7
	s_delay_alu instid0(VALU_DEP_2) | instskip(NEXT) | instid1(SALU_CYCLE_1)
	s_or_b32 s5, s5, s6
	v_cndmask_b32_e64 v7, 0, 1, s5
	s_and_b32 s5, s8, s7
	s_delay_alu instid0(VALU_DEP_2)
	v_cndmask_b32_e64 v2, v2, v4, s8
	v_cndmask_b32_e64 v1, v1, v3, s5
.LBB115_132:
	s_or_b32 exec_lo, exec_lo, s9
	s_waitcnt lgkmcnt(0)
	v_or_b32_e32 v3, 31, v0
	s_mov_b32 s6, exec_lo
	s_delay_alu instid0(VALU_DEP_1)
	v_cmpx_eq_u32_e64 v3, v0
	s_cbranch_execz .LBB115_134
; %bb.133:
	v_lshlrev_b32_e32 v3, 4, v47
	ds_store_b64 v3, v[1:2]
	ds_store_b8 v3, v7 offset:8
.LBB115_134:
	s_or_b32 exec_lo, exec_lo, s6
	s_delay_alu instid0(SALU_CYCLE_1)
	s_mov_b32 s9, exec_lo
	s_waitcnt lgkmcnt(0)
	s_barrier
	buffer_gl0_inv
	v_cmpx_gt_u32_e32 8, v0
	s_cbranch_execz .LBB115_142
; %bb.135:
	v_lshlrev_b32_e32 v8, 4, v0
	s_mov_b32 s7, exec_lo
	ds_load_b64 v[3:4], v8
	ds_load_b32 v13, v8 offset:8
	v_and_b32_e32 v9, 7, v54
	s_waitcnt lgkmcnt(1)
	v_mov_b32_dpp v5, v3 row_shr:1 row_mask:0xf bank_mask:0xf
	s_waitcnt lgkmcnt(0)
	v_mov_b32_e32 v10, v13
	v_mov_b32_dpp v6, v4 row_shr:1 row_mask:0xf bank_mask:0xf
	v_dual_mov_b32 v12, v13 :: v_dual_and_b32 v11, 0xffffff00, v13
	v_mov_b32_dpp v14, v13 row_shr:1 row_mask:0xf bank_mask:0xf
	v_cmpx_ne_u32_e32 0, v9
; %bb.136:
	v_and_b32_e32 v10, 0xff, v13
	s_delay_alu instid0(VALU_DEP_3) | instskip(SKIP_1) | instid1(VALU_DEP_3)
	v_or_b32_e32 v13, v14, v13
	v_cmp_lt_u64_e64 s5, v[5:6], v[3:4]
	v_cmp_eq_u16_e64 s6, 0, v10
	s_delay_alu instid0(VALU_DEP_3) | instskip(SKIP_1) | instid1(VALU_DEP_3)
	v_and_b32_e32 v12, 1, v13
	v_and_b32_e32 v10, 1, v13
	s_and_b32 s5, s6, s5
	s_delay_alu instid0(VALU_DEP_2)
	v_or_b32_e32 v13, v12, v11
	v_cndmask_b32_e64 v4, v4, v6, s5
	v_cndmask_b32_e64 v3, v3, v5, s5
; %bb.137:
	s_or_b32 exec_lo, exec_lo, s7
	s_delay_alu instid0(VALU_DEP_1) | instskip(NEXT) | instid1(VALU_DEP_3)
	v_mov_b32_dpp v5, v3 row_shr:2 row_mask:0xf bank_mask:0xf
	v_mov_b32_dpp v6, v4 row_shr:2 row_mask:0xf bank_mask:0xf
	;; [unrolled: 1-line block ×3, first 2 shown]
	s_mov_b32 s14, exec_lo
	v_cmpx_lt_u32_e32 1, v9
	s_cbranch_execz .LBB115_139
; %bb.138:
	v_and_b32_e32 v10, 1, v12
	v_and_b32_e32 v13, 1, v14
	;; [unrolled: 1-line block ×3, first 2 shown]
	v_cmp_lt_u64_e64 s7, v[5:6], v[3:4]
	s_delay_alu instid0(VALU_DEP_4) | instskip(NEXT) | instid1(VALU_DEP_4)
	v_cmp_eq_u32_e64 s5, 1, v10
	v_cmp_eq_u32_e64 s6, 1, v13
	s_delay_alu instid0(VALU_DEP_4) | instskip(NEXT) | instid1(VALU_DEP_2)
	v_cmp_eq_u16_e64 s8, 0, v12
	s_or_b32 s5, s5, s6
	s_delay_alu instid0(SALU_CYCLE_1) | instskip(SKIP_1) | instid1(VALU_DEP_3)
	v_cndmask_b32_e64 v10, 0, 1, s5
	v_cndmask_b32_e64 v12, 0, 1, s5
	s_and_b32 s5, s8, s7
	s_delay_alu instid0(SALU_CYCLE_1) | instskip(SKIP_1) | instid1(VALU_DEP_3)
	v_cndmask_b32_e64 v4, v4, v6, s5
	v_cndmask_b32_e64 v3, v3, v5, s5
	v_or_b32_e32 v13, v11, v12
	v_mov_b32_e32 v12, v10
.LBB115_139:
	s_or_b32 exec_lo, exec_lo, s14
	s_delay_alu instid0(VALU_DEP_3)
	v_mov_b32_dpp v5, v3 row_shr:4 row_mask:0xf bank_mask:0xf
	v_mov_b32_dpp v6, v4 row_shr:4 row_mask:0xf bank_mask:0xf
	;; [unrolled: 1-line block ×3, first 2 shown]
	s_mov_b32 s14, exec_lo
	v_cmpx_lt_u32_e32 3, v9
	s_cbranch_execz .LBB115_141
; %bb.140:
	v_and_b32_e32 v9, 1, v12
	v_and_b32_e32 v10, 1, v11
	v_and_b32_e32 v11, 0xff, v12
	v_cmp_lt_u64_e64 s5, v[5:6], v[3:4]
	s_delay_alu instid0(VALU_DEP_4) | instskip(NEXT) | instid1(VALU_DEP_4)
	v_cmp_eq_u32_e64 s6, 1, v9
	v_cmp_eq_u32_e64 s7, 1, v10
	s_delay_alu instid0(VALU_DEP_4) | instskip(NEXT) | instid1(VALU_DEP_4)
	v_cmp_eq_u16_e64 s8, 0, v11
	v_cndmask_b32_e64 v6, v4, v6, s5
	s_delay_alu instid0(VALU_DEP_3) | instskip(NEXT) | instid1(VALU_DEP_2)
	s_or_b32 s6, s6, s7
	s_and_b32 s5, s8, s5
	v_cndmask_b32_e64 v10, 0, 1, s6
	s_delay_alu instid0(VALU_DEP_2)
	v_cndmask_b32_e64 v4, v4, v6, s8
	v_cndmask_b32_e64 v3, v3, v5, s5
.LBB115_141:
	s_or_b32 exec_lo, exec_lo, s14
	ds_store_b64 v8, v[3:4]
	ds_store_b8 v8, v10 offset:8
.LBB115_142:
	s_or_b32 exec_lo, exec_lo, s9
	v_dual_mov_b32 v3, s26 :: v_dual_mov_b32 v4, s27
	s_mov_b32 s7, exec_lo
	s_waitcnt lgkmcnt(0)
	s_barrier
	buffer_gl0_inv
	v_cmpx_lt_u32_e32 31, v0
	s_cbranch_execz .LBB115_144
; %bb.143:
	v_lshl_add_u32 v5, v47, 4, -16
	ds_load_b64 v[3:4], v5
	ds_load_u8 v5, v5 offset:8
	s_waitcnt lgkmcnt(1)
	v_cmp_lt_u64_e64 s5, s[26:27], v[3:4]
	s_waitcnt lgkmcnt(0)
	v_cmp_eq_u16_e64 s6, 0, v5
	s_delay_alu instid0(VALU_DEP_2) | instskip(NEXT) | instid1(VALU_DEP_2)
	v_cndmask_b32_e64 v6, v4, s27, s5
	s_and_b32 s5, s6, s5
	s_delay_alu instid0(SALU_CYCLE_1) | instskip(NEXT) | instid1(VALU_DEP_2)
	v_cndmask_b32_e64 v3, v3, s26, s5
	v_cndmask_b32_e64 v4, v4, v6, s6
.LBB115_144:
	s_or_b32 exec_lo, exec_lo, s7
	v_add_nc_u32_e32 v5, -1, v54
	s_delay_alu instid0(VALU_DEP_2) | instskip(SKIP_1) | instid1(VALU_DEP_3)
	v_cmp_lt_u64_e64 s5, v[3:4], v[1:2]
	v_cmp_eq_u16_e64 s6, 0, v7
	v_cmp_gt_i32_e64 s7, 0, v5
	s_delay_alu instid0(VALU_DEP_2) | instskip(NEXT) | instid1(SALU_CYCLE_1)
	s_and_b32 s5, s6, s5
	v_cndmask_b32_e64 v2, v2, v4, s5
	s_delay_alu instid0(VALU_DEP_2) | instskip(SKIP_2) | instid1(VALU_DEP_3)
	v_cndmask_b32_e64 v5, v5, v54, s7
	v_cndmask_b32_e64 v1, v1, v3, s5
	v_cmp_eq_u32_e64 s5, 0, v54
	v_lshlrev_b32_e32 v5, 2, v5
	ds_bpermute_b32 v2, v5, v2
	ds_bpermute_b32 v1, v5, v1
	s_waitcnt lgkmcnt(1)
	v_cndmask_b32_e64 v34, v2, v4, s5
	s_waitcnt lgkmcnt(0)
	v_cndmask_b32_e64 v33, v1, v3, s5
	v_cmp_eq_u32_e64 s5, 0, v0
	v_and_b32_e32 v3, 0xff, v41
	s_delay_alu instid0(VALU_DEP_2) | instskip(NEXT) | instid1(VALU_DEP_4)
	v_cndmask_b32_e64 v2, v34, s27, s5
	v_cndmask_b32_e64 v1, v33, s26, s5
	s_delay_alu instid0(VALU_DEP_3) | instskip(NEXT) | instid1(VALU_DEP_2)
	v_cmp_eq_u16_e64 s7, 0, v3
	v_cmp_lt_u64_e64 s6, v[1:2], v[17:18]
	s_delay_alu instid0(VALU_DEP_1) | instskip(NEXT) | instid1(VALU_DEP_3)
	v_cndmask_b32_e64 v2, v18, v2, s6
	s_and_b32 s6, s7, s6
	s_delay_alu instid0(SALU_CYCLE_1) | instskip(NEXT) | instid1(VALU_DEP_2)
	v_cndmask_b32_e64 v3, v17, v1, s6
	v_cndmask_b32_e64 v4, v18, v2, s7
	s_delay_alu instid0(VALU_DEP_1) | instskip(NEXT) | instid1(VALU_DEP_1)
	v_cmp_lt_u64_e64 s6, v[3:4], v[21:22]
	v_cndmask_b32_e64 v1, v22, v4, s6
	s_delay_alu instid0(VALU_DEP_1) | instskip(SKIP_2) | instid1(VALU_DEP_1)
	v_cndmask_b32_e32 v6, v22, v1, vcc_lo
	s_and_b32 vcc_lo, vcc_lo, s6
	v_cndmask_b32_e32 v5, v21, v3, vcc_lo
	v_cmp_lt_u64_e32 vcc_lo, v[5:6], v[23:24]
	v_cndmask_b32_e32 v1, v24, v6, vcc_lo
	s_and_b32 vcc_lo, s0, vcc_lo
	v_cndmask_b32_e32 v35, v23, v5, vcc_lo
	s_delay_alu instid0(VALU_DEP_2) | instskip(NEXT) | instid1(VALU_DEP_1)
	v_cndmask_b32_e64 v36, v24, v1, s0
	v_cmp_lt_u64_e32 vcc_lo, v[35:36], v[25:26]
	v_cndmask_b32_e32 v1, v26, v36, vcc_lo
	s_and_b32 vcc_lo, s1, vcc_lo
	v_cndmask_b32_e32 v9, v25, v35, vcc_lo
	s_delay_alu instid0(VALU_DEP_2) | instskip(NEXT) | instid1(VALU_DEP_1)
	v_cndmask_b32_e64 v10, v26, v1, s1
	;; [unrolled: 6-line block ×4, first 2 shown]
	v_cmp_lt_u64_e32 vcc_lo, v[13:14], v[19:20]
	v_cndmask_b32_e32 v1, v20, v14, vcc_lo
	s_and_b32 vcc_lo, s4, vcc_lo
	v_cndmask_b32_e32 v39, v19, v13, vcc_lo
	s_delay_alu instid0(VALU_DEP_2)
	v_cndmask_b32_e64 v40, v20, v1, s4
	s_and_saveexec_b32 s1, s5
	s_cbranch_execz .LBB115_146
; %bb.145:
	v_dual_mov_b32 v7, 0 :: v_dual_mov_b32 v34, s27
	v_mov_b32_e32 v33, s26
	ds_load_b64 v[1:2], v7 offset:112
	ds_load_u8 v8, v7 offset:120
	s_waitcnt lgkmcnt(1)
	v_cmp_lt_u64_e32 vcc_lo, s[26:27], v[1:2]
	s_waitcnt lgkmcnt(0)
	v_cmp_eq_u16_e64 s0, 0, v8
	v_cndmask_b32_e64 v11, v2, s27, vcc_lo
	s_delay_alu instid0(VALU_DEP_1)
	v_cndmask_b32_e64 v2, v2, v11, s0
	s_and_b32 s0, s0, vcc_lo
	v_mov_b32_e32 v11, 2
	v_cndmask_b32_e64 v1, v1, s26, s0
	s_clause 0x1
	global_store_b64 v7, v[1:2], s[18:19] offset:512
	global_store_b8 v7, v8, s[18:19] offset:520
	s_waitcnt_vscnt null, 0x0
	buffer_gl1_inv
	buffer_gl0_inv
	global_store_b8 v7, v11, s[20:21] offset:32
.LBB115_146:
	s_or_b32 exec_lo, exec_lo, s1
.LBB115_147:
	v_lshlrev_b32_e32 v27, 1, v0
	v_lshlrev_b32_e32 v2, 3, v0
	s_add_u32 s0, s24, s12
	s_addc_u32 s1, s25, s13
	s_and_b32 vcc_lo, exec_lo, s11
	s_cbranch_vccz .LBB115_157
; %bb.148:
	v_and_b32_e32 v1, 0x1f8, v27
	v_lshrrev_b32_e32 v7, 5, v49
	v_lshrrev_b32_e32 v8, 5, v48
	s_waitcnt_vscnt null, 0x0
	s_barrier
	v_lshl_add_u32 v1, v0, 6, v1
	buffer_gl0_inv
	v_lshrrev_b32_e32 v11, 5, v45
	v_lshrrev_b32_e32 v12, 5, v44
	v_lshrrev_b32_e32 v15, 5, v43
	ds_store_2addr_b64 v1, v[33:34], v[3:4] offset1:1
	ds_store_2addr_b64 v1, v[5:6], v[35:36] offset0:2 offset1:3
	ds_store_2addr_b64 v1, v[9:10], v[37:38] offset0:4 offset1:5
	;; [unrolled: 1-line block ×3, first 2 shown]
	v_add_lshl_u32 v1, v7, v0, 3
	v_add_lshl_u32 v7, v8, v0, 3
	v_lshrrev_b32_e32 v8, 5, v46
	v_lshrrev_b32_e32 v16, 5, v42
	v_add_lshl_u32 v11, v11, v0, 3
	v_add_lshl_u32 v12, v12, v0, 3
	s_waitcnt lgkmcnt(0)
	v_add_lshl_u32 v8, v8, v0, 3
	s_barrier
	buffer_gl0_inv
	v_add_lshl_u32 v15, v15, v0, 3
	v_add_lshl_u32 v16, v16, v0, 3
	ds_load_b64 v[25:26], v1 offset:2048
	ds_load_b64 v[23:24], v7 offset:4096
	;; [unrolled: 1-line block ×7, first 2 shown]
	v_add_co_u32 v15, s3, s0, v2
	v_mov_b32_e32 v1, 0
	v_add_co_ci_u32_e64 v16, null, s1, 0, s3
	s_lshl_b32 s2, s10, 11
	s_mov_b32 s3, exec_lo
	s_sub_i32 s2, s22, s2
	s_delay_alu instid0(SALU_CYCLE_1)
	v_cmpx_gt_u32_e64 s2, v0
	s_cbranch_execnz .LBB115_169
; %bb.149:
	s_or_b32 exec_lo, exec_lo, s3
	s_delay_alu instid0(SALU_CYCLE_1)
	s_mov_b32 s3, exec_lo
	v_cmpx_gt_u32_e64 s2, v49
	s_cbranch_execnz .LBB115_170
.LBB115_150:
	s_or_b32 exec_lo, exec_lo, s3
	s_delay_alu instid0(SALU_CYCLE_1)
	s_mov_b32 s3, exec_lo
	v_cmpx_gt_u32_e64 s2, v48
	s_cbranch_execnz .LBB115_171
.LBB115_151:
	s_or_b32 exec_lo, exec_lo, s3
	s_delay_alu instid0(SALU_CYCLE_1)
	s_mov_b32 s3, exec_lo
	v_cmpx_gt_u32_e64 s2, v46
	s_cbranch_execnz .LBB115_172
.LBB115_152:
	s_or_b32 exec_lo, exec_lo, s3
	s_delay_alu instid0(SALU_CYCLE_1)
	s_mov_b32 s3, exec_lo
	v_cmpx_gt_u32_e64 s2, v45
	s_cbranch_execnz .LBB115_173
.LBB115_153:
	s_or_b32 exec_lo, exec_lo, s3
	s_delay_alu instid0(SALU_CYCLE_1)
	s_mov_b32 s3, exec_lo
	v_cmpx_gt_u32_e64 s2, v44
	s_cbranch_execnz .LBB115_174
.LBB115_154:
	s_or_b32 exec_lo, exec_lo, s3
	s_delay_alu instid0(SALU_CYCLE_1)
	s_mov_b32 s3, exec_lo
	v_cmpx_gt_u32_e64 s2, v43
	s_cbranch_execz .LBB115_156
.LBB115_155:
	v_add_co_u32 v15, vcc_lo, 0x3000, v15
	v_add_co_ci_u32_e32 v16, vcc_lo, 0, v16, vcc_lo
	s_waitcnt lgkmcnt(1)
	global_store_b64 v[15:16], v[11:12], off
.LBB115_156:
	s_or_b32 exec_lo, exec_lo, s3
	v_cmp_gt_u32_e64 s2, s2, v42
	s_branch .LBB115_159
.LBB115_157:
	s_mov_b32 s2, 0
                                        ; implicit-def: $vgpr7_vgpr8
	s_cbranch_execz .LBB115_159
; %bb.158:
	v_and_b32_e32 v1, 0x1f8, v27
	s_waitcnt lgkmcnt(0)
	v_lshrrev_b32_e32 v7, 5, v49
	s_waitcnt_vscnt null, 0x0
	s_barrier
	buffer_gl0_inv
	v_lshl_add_u32 v1, v0, 6, v1
	v_lshrrev_b32_e32 v8, 5, v45
	v_lshrrev_b32_e32 v11, 5, v42
	v_add_co_u32 v23, s3, s0, v2
	ds_store_2addr_b64 v1, v[33:34], v[3:4] offset1:1
	ds_store_2addr_b64 v1, v[5:6], v[35:36] offset0:2 offset1:3
	ds_store_2addr_b64 v1, v[9:10], v[37:38] offset0:4 offset1:5
	;; [unrolled: 1-line block ×3, first 2 shown]
	v_add_lshl_u32 v3, v47, v0, 3
	v_add_lshl_u32 v5, v7, v0, 3
	s_waitcnt lgkmcnt(0)
	s_barrier
	buffer_gl0_inv
	ds_load_b64 v[3:4], v3
	ds_load_b64 v[5:6], v5 offset:2048
	v_lshrrev_b32_e32 v1, 5, v48
	v_lshrrev_b32_e32 v7, 5, v46
	;; [unrolled: 1-line block ×4, first 2 shown]
	v_add_lshl_u32 v8, v8, v0, 3
	v_add_lshl_u32 v1, v1, v0, 3
	;; [unrolled: 1-line block ×6, first 2 shown]
	ds_load_b64 v[9:10], v1 offset:4096
	ds_load_b64 v[11:12], v7 offset:6144
	;; [unrolled: 1-line block ×6, first 2 shown]
	v_add_co_ci_u32_e64 v24, null, s1, 0, s3
	v_mov_b32_e32 v1, 0
	s_or_b32 s2, s2, exec_lo
	s_waitcnt lgkmcnt(6)
	global_store_b64 v2, v[5:6], s[0:1] offset:2048
	v_add_co_u32 v5, vcc_lo, 0x1000, v23
	v_add_co_ci_u32_e32 v6, vcc_lo, 0, v24, vcc_lo
	v_add_co_u32 v19, vcc_lo, v23, 0x2000
	v_add_co_ci_u32_e32 v20, vcc_lo, 0, v24, vcc_lo
	;; [unrolled: 2-line block ×3, first 2 shown]
	global_store_b64 v2, v[3:4], s[0:1]
	s_waitcnt lgkmcnt(3)
	global_store_b64 v[19:20], v[13:14], off
	v_add_co_u32 v2, vcc_lo, 0x3000, v23
	v_add_co_ci_u32_e32 v3, vcc_lo, 0, v24, vcc_lo
	global_store_b64 v[5:6], v[11:12], off offset:2048
	s_waitcnt lgkmcnt(2)
	s_clause 0x1
	global_store_b64 v[21:22], v[15:16], off offset:2048
	global_store_b64 v[19:20], v[9:10], off offset:-4096
	s_waitcnt lgkmcnt(1)
	global_store_b64 v[2:3], v[17:18], off
.LBB115_159:
	s_delay_alu instid0(VALU_DEP_1)
	s_and_saveexec_b32 s3, s2
	s_cbranch_execnz .LBB115_161
; %bb.160:
	s_nop 0
	s_sendmsg sendmsg(MSG_DEALLOC_VGPRS)
	s_endpgm
.LBB115_161:
	v_lshlrev_b64 v[0:1], 3, v[0:1]
	s_delay_alu instid0(VALU_DEP_1) | instskip(NEXT) | instid1(VALU_DEP_2)
	v_add_co_u32 v0, vcc_lo, s0, v0
	v_add_co_ci_u32_e32 v1, vcc_lo, s1, v1, vcc_lo
	s_delay_alu instid0(VALU_DEP_2) | instskip(NEXT) | instid1(VALU_DEP_2)
	v_add_co_u32 v0, vcc_lo, 0x3000, v0
	v_add_co_ci_u32_e32 v1, vcc_lo, 0, v1, vcc_lo
	s_waitcnt lgkmcnt(0)
	global_store_b64 v[0:1], v[7:8], off offset:2048
	s_nop 0
	s_sendmsg sendmsg(MSG_DEALLOC_VGPRS)
	s_endpgm
.LBB115_162:
	global_load_b64 v[1:2], v[3:4], off
	s_or_b32 exec_lo, exec_lo, s7
                                        ; implicit-def: $vgpr13_vgpr14
	s_and_saveexec_b32 s7, s0
	s_cbranch_execz .LBB115_21
.LBB115_163:
	global_load_b64 v[13:14], v[3:4], off offset:2048
	s_or_b32 exec_lo, exec_lo, s7
                                        ; implicit-def: $vgpr15_vgpr16
	s_and_saveexec_b32 s0, s3
	s_cbranch_execz .LBB115_22
.LBB115_164:
	v_add_co_u32 v15, vcc_lo, 0x1000, v3
	v_add_co_ci_u32_e32 v16, vcc_lo, 0, v4, vcc_lo
	global_load_b64 v[15:16], v[15:16], off
	s_or_b32 exec_lo, exec_lo, s0
                                        ; implicit-def: $vgpr17_vgpr18
	s_and_saveexec_b32 s0, s2
	s_cbranch_execz .LBB115_23
.LBB115_165:
	v_add_co_u32 v17, vcc_lo, 0x1000, v3
	v_add_co_ci_u32_e32 v18, vcc_lo, 0, v4, vcc_lo
	global_load_b64 v[17:18], v[17:18], off offset:2048
	s_or_b32 exec_lo, exec_lo, s0
                                        ; implicit-def: $vgpr19_vgpr20
	s_and_saveexec_b32 s0, s1
	s_cbranch_execz .LBB115_24
.LBB115_166:
	v_add_co_u32 v19, vcc_lo, 0x2000, v3
	v_add_co_ci_u32_e32 v20, vcc_lo, 0, v4, vcc_lo
	global_load_b64 v[19:20], v[19:20], off
	s_or_b32 exec_lo, exec_lo, s0
                                        ; implicit-def: $vgpr21_vgpr22
	s_and_saveexec_b32 s0, s4
	s_cbranch_execz .LBB115_25
.LBB115_167:
	v_add_co_u32 v21, vcc_lo, 0x2000, v3
	v_add_co_ci_u32_e32 v22, vcc_lo, 0, v4, vcc_lo
	global_load_b64 v[21:22], v[21:22], off offset:2048
	s_or_b32 exec_lo, exec_lo, s0
                                        ; implicit-def: $vgpr23_vgpr24
	s_and_saveexec_b32 s0, s5
	s_cbranch_execz .LBB115_26
.LBB115_168:
	v_add_co_u32 v23, vcc_lo, 0x3000, v3
	v_add_co_ci_u32_e32 v24, vcc_lo, 0, v4, vcc_lo
	global_load_b64 v[23:24], v[23:24], off
	s_or_b32 exec_lo, exec_lo, s0
                                        ; implicit-def: $vgpr25_vgpr26
	s_and_saveexec_b32 s0, s6
	s_cbranch_execnz .LBB115_27
	s_branch .LBB115_28
.LBB115_169:
	v_add_lshl_u32 v28, v47, v0, 3
	ds_load_b64 v[28:29], v28
	s_waitcnt lgkmcnt(0)
	global_store_b64 v[15:16], v[28:29], off
	s_or_b32 exec_lo, exec_lo, s3
	s_delay_alu instid0(SALU_CYCLE_1)
	s_mov_b32 s3, exec_lo
	v_cmpx_gt_u32_e64 s2, v49
	s_cbranch_execz .LBB115_150
.LBB115_170:
	s_waitcnt lgkmcnt(6)
	global_store_b64 v[15:16], v[25:26], off offset:2048
	s_or_b32 exec_lo, exec_lo, s3
	s_delay_alu instid0(SALU_CYCLE_1)
	s_mov_b32 s3, exec_lo
	v_cmpx_gt_u32_e64 s2, v48
	s_cbranch_execz .LBB115_151
.LBB115_171:
	s_waitcnt lgkmcnt(6)
	v_add_co_u32 v25, vcc_lo, 0x1000, v15
	v_add_co_ci_u32_e32 v26, vcc_lo, 0, v16, vcc_lo
	s_waitcnt lgkmcnt(5)
	global_store_b64 v[25:26], v[23:24], off
	s_or_b32 exec_lo, exec_lo, s3
	s_delay_alu instid0(SALU_CYCLE_1)
	s_mov_b32 s3, exec_lo
	v_cmpx_gt_u32_e64 s2, v46
	s_cbranch_execz .LBB115_152
.LBB115_172:
	s_waitcnt lgkmcnt(5)
	v_add_co_u32 v23, vcc_lo, 0x1000, v15
	v_add_co_ci_u32_e32 v24, vcc_lo, 0, v16, vcc_lo
	s_waitcnt lgkmcnt(4)
	global_store_b64 v[23:24], v[21:22], off offset:2048
	s_or_b32 exec_lo, exec_lo, s3
	s_delay_alu instid0(SALU_CYCLE_1)
	s_mov_b32 s3, exec_lo
	v_cmpx_gt_u32_e64 s2, v45
	s_cbranch_execz .LBB115_153
.LBB115_173:
	s_waitcnt lgkmcnt(4)
	v_add_co_u32 v21, vcc_lo, 0x2000, v15
	v_add_co_ci_u32_e32 v22, vcc_lo, 0, v16, vcc_lo
	s_waitcnt lgkmcnt(3)
	global_store_b64 v[21:22], v[19:20], off
	s_or_b32 exec_lo, exec_lo, s3
	s_delay_alu instid0(SALU_CYCLE_1)
	s_mov_b32 s3, exec_lo
	v_cmpx_gt_u32_e64 s2, v44
	s_cbranch_execz .LBB115_154
.LBB115_174:
	s_waitcnt lgkmcnt(3)
	v_add_co_u32 v19, vcc_lo, 0x2000, v15
	v_add_co_ci_u32_e32 v20, vcc_lo, 0, v16, vcc_lo
	s_waitcnt lgkmcnt(2)
	global_store_b64 v[19:20], v[17:18], off offset:2048
	s_or_b32 exec_lo, exec_lo, s3
	s_delay_alu instid0(SALU_CYCLE_1)
	s_mov_b32 s3, exec_lo
	v_cmpx_gt_u32_e64 s2, v43
	s_cbranch_execnz .LBB115_155
	s_branch .LBB115_156
	.section	.rodata,"a",@progbits
	.p2align	6, 0x0
	.amdhsa_kernel _ZN7rocprim6detail25device_scan_by_key_kernelILNS0_25lookback_scan_determinismE0ELb1ENS0_26wrapped_scan_by_key_configINS_14default_configEiyEEPiN6hipcub22TransformInputIteratorIyNS7_6CastOpIyEEPylEESB_yNS7_8EqualityENS7_3MinENS0_19lookback_scan_stateINS_5tupleIJybEEELb0ELb0EEEyEEvT2_T3_T4_T5_T6_T7_T8_mmmPKNSG_IJT9_bEEE
		.amdhsa_group_segment_fixed_size 16896
		.amdhsa_private_segment_fixed_size 0
		.amdhsa_kernarg_size 104
		.amdhsa_user_sgpr_count 15
		.amdhsa_user_sgpr_dispatch_ptr 0
		.amdhsa_user_sgpr_queue_ptr 0
		.amdhsa_user_sgpr_kernarg_segment_ptr 1
		.amdhsa_user_sgpr_dispatch_id 0
		.amdhsa_user_sgpr_private_segment_size 0
		.amdhsa_wavefront_size32 1
		.amdhsa_uses_dynamic_stack 0
		.amdhsa_enable_private_segment 0
		.amdhsa_system_sgpr_workgroup_id_x 1
		.amdhsa_system_sgpr_workgroup_id_y 0
		.amdhsa_system_sgpr_workgroup_id_z 0
		.amdhsa_system_sgpr_workgroup_info 0
		.amdhsa_system_vgpr_workitem_id 0
		.amdhsa_next_free_vgpr 73
		.amdhsa_next_free_sgpr 40
		.amdhsa_reserve_vcc 1
		.amdhsa_float_round_mode_32 0
		.amdhsa_float_round_mode_16_64 0
		.amdhsa_float_denorm_mode_32 3
		.amdhsa_float_denorm_mode_16_64 3
		.amdhsa_dx10_clamp 1
		.amdhsa_ieee_mode 1
		.amdhsa_fp16_overflow 0
		.amdhsa_workgroup_processor_mode 1
		.amdhsa_memory_ordered 1
		.amdhsa_forward_progress 0
		.amdhsa_shared_vgpr_count 0
		.amdhsa_exception_fp_ieee_invalid_op 0
		.amdhsa_exception_fp_denorm_src 0
		.amdhsa_exception_fp_ieee_div_zero 0
		.amdhsa_exception_fp_ieee_overflow 0
		.amdhsa_exception_fp_ieee_underflow 0
		.amdhsa_exception_fp_ieee_inexact 0
		.amdhsa_exception_int_div_zero 0
	.end_amdhsa_kernel
	.section	.text._ZN7rocprim6detail25device_scan_by_key_kernelILNS0_25lookback_scan_determinismE0ELb1ENS0_26wrapped_scan_by_key_configINS_14default_configEiyEEPiN6hipcub22TransformInputIteratorIyNS7_6CastOpIyEEPylEESB_yNS7_8EqualityENS7_3MinENS0_19lookback_scan_stateINS_5tupleIJybEEELb0ELb0EEEyEEvT2_T3_T4_T5_T6_T7_T8_mmmPKNSG_IJT9_bEEE,"axG",@progbits,_ZN7rocprim6detail25device_scan_by_key_kernelILNS0_25lookback_scan_determinismE0ELb1ENS0_26wrapped_scan_by_key_configINS_14default_configEiyEEPiN6hipcub22TransformInputIteratorIyNS7_6CastOpIyEEPylEESB_yNS7_8EqualityENS7_3MinENS0_19lookback_scan_stateINS_5tupleIJybEEELb0ELb0EEEyEEvT2_T3_T4_T5_T6_T7_T8_mmmPKNSG_IJT9_bEEE,comdat
.Lfunc_end115:
	.size	_ZN7rocprim6detail25device_scan_by_key_kernelILNS0_25lookback_scan_determinismE0ELb1ENS0_26wrapped_scan_by_key_configINS_14default_configEiyEEPiN6hipcub22TransformInputIteratorIyNS7_6CastOpIyEEPylEESB_yNS7_8EqualityENS7_3MinENS0_19lookback_scan_stateINS_5tupleIJybEEELb0ELb0EEEyEEvT2_T3_T4_T5_T6_T7_T8_mmmPKNSG_IJT9_bEEE, .Lfunc_end115-_ZN7rocprim6detail25device_scan_by_key_kernelILNS0_25lookback_scan_determinismE0ELb1ENS0_26wrapped_scan_by_key_configINS_14default_configEiyEEPiN6hipcub22TransformInputIteratorIyNS7_6CastOpIyEEPylEESB_yNS7_8EqualityENS7_3MinENS0_19lookback_scan_stateINS_5tupleIJybEEELb0ELb0EEEyEEvT2_T3_T4_T5_T6_T7_T8_mmmPKNSG_IJT9_bEEE
                                        ; -- End function
	.section	.AMDGPU.csdata,"",@progbits
; Kernel info:
; codeLenInByte = 11556
; NumSgprs: 42
; NumVgprs: 73
; ScratchSize: 0
; MemoryBound: 0
; FloatMode: 240
; IeeeMode: 1
; LDSByteSize: 16896 bytes/workgroup (compile time only)
; SGPRBlocks: 5
; VGPRBlocks: 9
; NumSGPRsForWavesPerEU: 42
; NumVGPRsForWavesPerEU: 73
; Occupancy: 14
; WaveLimiterHint : 1
; COMPUTE_PGM_RSRC2:SCRATCH_EN: 0
; COMPUTE_PGM_RSRC2:USER_SGPR: 15
; COMPUTE_PGM_RSRC2:TRAP_HANDLER: 0
; COMPUTE_PGM_RSRC2:TGID_X_EN: 1
; COMPUTE_PGM_RSRC2:TGID_Y_EN: 0
; COMPUTE_PGM_RSRC2:TGID_Z_EN: 0
; COMPUTE_PGM_RSRC2:TIDIG_COMP_CNT: 0
	.section	.text._ZN7rocprim6detail31init_lookback_scan_state_kernelINS0_19lookback_scan_stateIjLb1ELb1EEEEEvT_jjPNS4_10value_typeE,"axG",@progbits,_ZN7rocprim6detail31init_lookback_scan_state_kernelINS0_19lookback_scan_stateIjLb1ELb1EEEEEvT_jjPNS4_10value_typeE,comdat
	.protected	_ZN7rocprim6detail31init_lookback_scan_state_kernelINS0_19lookback_scan_stateIjLb1ELb1EEEEEvT_jjPNS4_10value_typeE ; -- Begin function _ZN7rocprim6detail31init_lookback_scan_state_kernelINS0_19lookback_scan_stateIjLb1ELb1EEEEEvT_jjPNS4_10value_typeE
	.globl	_ZN7rocprim6detail31init_lookback_scan_state_kernelINS0_19lookback_scan_stateIjLb1ELb1EEEEEvT_jjPNS4_10value_typeE
	.p2align	8
	.type	_ZN7rocprim6detail31init_lookback_scan_state_kernelINS0_19lookback_scan_stateIjLb1ELb1EEEEEvT_jjPNS4_10value_typeE,@function
_ZN7rocprim6detail31init_lookback_scan_state_kernelINS0_19lookback_scan_stateIjLb1ELb1EEEEEvT_jjPNS4_10value_typeE: ; @_ZN7rocprim6detail31init_lookback_scan_state_kernelINS0_19lookback_scan_stateIjLb1ELb1EEEEEvT_jjPNS4_10value_typeE
; %bb.0:
	s_clause 0x2
	s_load_b32 s6, s[0:1], 0x24
	s_load_b64 s[4:5], s[0:1], 0x10
	s_load_b128 s[0:3], s[0:1], 0x0
	s_waitcnt lgkmcnt(0)
	s_and_b32 s6, s6, 0xffff
	s_cmp_eq_u64 s[4:5], 0
	v_mad_u64_u32 v[1:2], null, s15, s6, v[0:1]
	s_cbranch_scc1 .LBB116_9
; %bb.1:
	s_cmp_lt_u32 s3, s2
	s_mov_b32 s7, 0
	s_cselect_b32 s6, s3, 0
	s_mov_b32 s8, exec_lo
	s_delay_alu instid0(VALU_DEP_1)
	v_cmpx_eq_u32_e64 s6, v1
	s_cbranch_execz .LBB116_8
; %bb.2:
	s_add_i32 s6, s3, 32
	v_mov_b32_e32 v2, 0
	s_lshl_b64 s[6:7], s[6:7], 3
	s_delay_alu instid0(SALU_CYCLE_1) | instskip(SKIP_4) | instid1(VALU_DEP_1)
	s_add_u32 s6, s0, s6
	s_addc_u32 s7, s1, s7
	global_load_b64 v[4:5], v2, s[6:7] glc
	s_waitcnt vmcnt(0)
	v_and_b32_e32 v3, 0xff, v5
	v_cmp_ne_u64_e32 vcc_lo, 0, v[2:3]
	s_cbranch_vccnz .LBB116_7
; %bb.3:
	s_mov_b32 s3, 1
.LBB116_4:                              ; =>This Loop Header: Depth=1
                                        ;     Child Loop BB116_5 Depth 2
	s_delay_alu instid0(SALU_CYCLE_1)
	s_max_u32 s9, s3, 1
.LBB116_5:                              ;   Parent Loop BB116_4 Depth=1
                                        ; =>  This Inner Loop Header: Depth=2
	s_delay_alu instid0(SALU_CYCLE_1)
	s_add_i32 s9, s9, -1
	s_sleep 1
	s_cmp_eq_u32 s9, 0
	s_cbranch_scc0 .LBB116_5
; %bb.6:                                ;   in Loop: Header=BB116_4 Depth=1
	global_load_b64 v[4:5], v2, s[6:7] glc
	s_cmp_lt_u32 s3, 32
	s_cselect_b32 s9, -1, 0
	s_delay_alu instid0(SALU_CYCLE_1) | instskip(SKIP_3) | instid1(VALU_DEP_1)
	s_cmp_lg_u32 s9, 0
	s_addc_u32 s3, s3, 0
	s_waitcnt vmcnt(0)
	v_and_b32_e32 v3, 0xff, v5
	v_cmp_ne_u64_e32 vcc_lo, 0, v[2:3]
	s_cbranch_vccz .LBB116_4
.LBB116_7:
	v_mov_b32_e32 v0, 0
	global_store_b32 v0, v4, s[4:5]
.LBB116_8:
	s_or_b32 exec_lo, exec_lo, s8
.LBB116_9:
	s_delay_alu instid0(VALU_DEP_1)
	v_cmp_gt_u32_e32 vcc_lo, s2, v1
	s_and_saveexec_b32 s2, vcc_lo
	s_cbranch_execz .LBB116_11
; %bb.10:
	v_dual_mov_b32 v3, 0 :: v_dual_add_nc_u32 v2, 32, v1
	s_delay_alu instid0(VALU_DEP_1) | instskip(SKIP_1) | instid1(VALU_DEP_2)
	v_lshlrev_b64 v[4:5], 3, v[2:3]
	v_mov_b32_e32 v2, v3
	v_add_co_u32 v4, vcc_lo, s0, v4
	s_delay_alu instid0(VALU_DEP_3)
	v_add_co_ci_u32_e32 v5, vcc_lo, s1, v5, vcc_lo
	global_store_b64 v[4:5], v[2:3], off
.LBB116_11:
	s_or_b32 exec_lo, exec_lo, s2
	s_delay_alu instid0(SALU_CYCLE_1)
	s_mov_b32 s2, exec_lo
	v_cmpx_gt_u32_e32 32, v1
	s_cbranch_execz .LBB116_13
; %bb.12:
	v_dual_mov_b32 v2, 0 :: v_dual_mov_b32 v3, 0xff
	s_delay_alu instid0(VALU_DEP_1) | instskip(NEXT) | instid1(VALU_DEP_1)
	v_lshlrev_b64 v[0:1], 3, v[1:2]
	v_add_co_u32 v0, vcc_lo, s0, v0
	s_delay_alu instid0(VALU_DEP_2)
	v_add_co_ci_u32_e32 v1, vcc_lo, s1, v1, vcc_lo
	global_store_b64 v[0:1], v[2:3], off
.LBB116_13:
	s_nop 0
	s_sendmsg sendmsg(MSG_DEALLOC_VGPRS)
	s_endpgm
	.section	.rodata,"a",@progbits
	.p2align	6, 0x0
	.amdhsa_kernel _ZN7rocprim6detail31init_lookback_scan_state_kernelINS0_19lookback_scan_stateIjLb1ELb1EEEEEvT_jjPNS4_10value_typeE
		.amdhsa_group_segment_fixed_size 0
		.amdhsa_private_segment_fixed_size 0
		.amdhsa_kernarg_size 280
		.amdhsa_user_sgpr_count 15
		.amdhsa_user_sgpr_dispatch_ptr 0
		.amdhsa_user_sgpr_queue_ptr 0
		.amdhsa_user_sgpr_kernarg_segment_ptr 1
		.amdhsa_user_sgpr_dispatch_id 0
		.amdhsa_user_sgpr_private_segment_size 0
		.amdhsa_wavefront_size32 1
		.amdhsa_uses_dynamic_stack 0
		.amdhsa_enable_private_segment 0
		.amdhsa_system_sgpr_workgroup_id_x 1
		.amdhsa_system_sgpr_workgroup_id_y 0
		.amdhsa_system_sgpr_workgroup_id_z 0
		.amdhsa_system_sgpr_workgroup_info 0
		.amdhsa_system_vgpr_workitem_id 0
		.amdhsa_next_free_vgpr 6
		.amdhsa_next_free_sgpr 16
		.amdhsa_reserve_vcc 1
		.amdhsa_float_round_mode_32 0
		.amdhsa_float_round_mode_16_64 0
		.amdhsa_float_denorm_mode_32 3
		.amdhsa_float_denorm_mode_16_64 3
		.amdhsa_dx10_clamp 1
		.amdhsa_ieee_mode 1
		.amdhsa_fp16_overflow 0
		.amdhsa_workgroup_processor_mode 1
		.amdhsa_memory_ordered 1
		.amdhsa_forward_progress 0
		.amdhsa_shared_vgpr_count 0
		.amdhsa_exception_fp_ieee_invalid_op 0
		.amdhsa_exception_fp_denorm_src 0
		.amdhsa_exception_fp_ieee_div_zero 0
		.amdhsa_exception_fp_ieee_overflow 0
		.amdhsa_exception_fp_ieee_underflow 0
		.amdhsa_exception_fp_ieee_inexact 0
		.amdhsa_exception_int_div_zero 0
	.end_amdhsa_kernel
	.section	.text._ZN7rocprim6detail31init_lookback_scan_state_kernelINS0_19lookback_scan_stateIjLb1ELb1EEEEEvT_jjPNS4_10value_typeE,"axG",@progbits,_ZN7rocprim6detail31init_lookback_scan_state_kernelINS0_19lookback_scan_stateIjLb1ELb1EEEEEvT_jjPNS4_10value_typeE,comdat
.Lfunc_end116:
	.size	_ZN7rocprim6detail31init_lookback_scan_state_kernelINS0_19lookback_scan_stateIjLb1ELb1EEEEEvT_jjPNS4_10value_typeE, .Lfunc_end116-_ZN7rocprim6detail31init_lookback_scan_state_kernelINS0_19lookback_scan_stateIjLb1ELb1EEEEEvT_jjPNS4_10value_typeE
                                        ; -- End function
	.section	.AMDGPU.csdata,"",@progbits
; Kernel info:
; codeLenInByte = 380
; NumSgprs: 18
; NumVgprs: 6
; ScratchSize: 0
; MemoryBound: 0
; FloatMode: 240
; IeeeMode: 1
; LDSByteSize: 0 bytes/workgroup (compile time only)
; SGPRBlocks: 2
; VGPRBlocks: 0
; NumSGPRsForWavesPerEU: 18
; NumVGPRsForWavesPerEU: 6
; Occupancy: 16
; WaveLimiterHint : 0
; COMPUTE_PGM_RSRC2:SCRATCH_EN: 0
; COMPUTE_PGM_RSRC2:USER_SGPR: 15
; COMPUTE_PGM_RSRC2:TRAP_HANDLER: 0
; COMPUTE_PGM_RSRC2:TGID_X_EN: 1
; COMPUTE_PGM_RSRC2:TGID_Y_EN: 0
; COMPUTE_PGM_RSRC2:TGID_Z_EN: 0
; COMPUTE_PGM_RSRC2:TIDIG_COMP_CNT: 0
	.section	.text._ZN7rocprim6detail31init_lookback_scan_state_kernelINS0_19lookback_scan_stateIjLb0ELb1EEEEEvT_jjPNS4_10value_typeE,"axG",@progbits,_ZN7rocprim6detail31init_lookback_scan_state_kernelINS0_19lookback_scan_stateIjLb0ELb1EEEEEvT_jjPNS4_10value_typeE,comdat
	.protected	_ZN7rocprim6detail31init_lookback_scan_state_kernelINS0_19lookback_scan_stateIjLb0ELb1EEEEEvT_jjPNS4_10value_typeE ; -- Begin function _ZN7rocprim6detail31init_lookback_scan_state_kernelINS0_19lookback_scan_stateIjLb0ELb1EEEEEvT_jjPNS4_10value_typeE
	.globl	_ZN7rocprim6detail31init_lookback_scan_state_kernelINS0_19lookback_scan_stateIjLb0ELb1EEEEEvT_jjPNS4_10value_typeE
	.p2align	8
	.type	_ZN7rocprim6detail31init_lookback_scan_state_kernelINS0_19lookback_scan_stateIjLb0ELb1EEEEEvT_jjPNS4_10value_typeE,@function
_ZN7rocprim6detail31init_lookback_scan_state_kernelINS0_19lookback_scan_stateIjLb0ELb1EEEEEvT_jjPNS4_10value_typeE: ; @_ZN7rocprim6detail31init_lookback_scan_state_kernelINS0_19lookback_scan_stateIjLb0ELb1EEEEEvT_jjPNS4_10value_typeE
; %bb.0:
	s_clause 0x2
	s_load_b32 s6, s[0:1], 0x24
	s_load_b64 s[4:5], s[0:1], 0x10
	s_load_b128 s[0:3], s[0:1], 0x0
	s_waitcnt lgkmcnt(0)
	s_and_b32 s6, s6, 0xffff
	s_cmp_eq_u64 s[4:5], 0
	v_mad_u64_u32 v[1:2], null, s15, s6, v[0:1]
	s_cbranch_scc1 .LBB117_6
; %bb.1:
	s_cmp_lt_u32 s3, s2
	s_mov_b32 s7, 0
	s_cselect_b32 s6, s3, 0
	s_mov_b32 s8, exec_lo
	s_delay_alu instid0(VALU_DEP_1)
	v_cmpx_eq_u32_e64 s6, v1
	s_cbranch_execz .LBB117_5
; %bb.2:
	s_add_i32 s6, s3, 32
	v_mov_b32_e32 v4, 0
	s_lshl_b64 s[6:7], s[6:7], 3
	s_delay_alu instid0(SALU_CYCLE_1) | instskip(SKIP_4) | instid1(VALU_DEP_1)
	s_add_u32 s6, s0, s6
	s_addc_u32 s7, s1, s7
	global_load_b64 v[2:3], v4, s[6:7] glc
	s_waitcnt vmcnt(0)
	v_and_b32_e32 v5, 0xff, v3
	v_cmp_ne_u64_e32 vcc_lo, 0, v[4:5]
	s_cbranch_vccnz .LBB117_4
.LBB117_3:                              ; =>This Inner Loop Header: Depth=1
	global_load_b64 v[2:3], v4, s[6:7] glc
	s_waitcnt vmcnt(0)
	v_and_b32_e32 v5, 0xff, v3
	s_delay_alu instid0(VALU_DEP_1)
	v_cmp_eq_u64_e32 vcc_lo, 0, v[4:5]
	s_cbranch_vccnz .LBB117_3
.LBB117_4:
	v_mov_b32_e32 v0, 0
	global_store_b32 v0, v2, s[4:5]
.LBB117_5:
	s_or_b32 exec_lo, exec_lo, s8
.LBB117_6:
	s_delay_alu instid0(VALU_DEP_1)
	v_cmp_gt_u32_e32 vcc_lo, s2, v1
	s_and_saveexec_b32 s2, vcc_lo
	s_cbranch_execz .LBB117_8
; %bb.7:
	v_dual_mov_b32 v3, 0 :: v_dual_add_nc_u32 v2, 32, v1
	s_delay_alu instid0(VALU_DEP_1) | instskip(SKIP_1) | instid1(VALU_DEP_2)
	v_lshlrev_b64 v[4:5], 3, v[2:3]
	v_mov_b32_e32 v2, v3
	v_add_co_u32 v4, vcc_lo, s0, v4
	s_delay_alu instid0(VALU_DEP_3)
	v_add_co_ci_u32_e32 v5, vcc_lo, s1, v5, vcc_lo
	global_store_b64 v[4:5], v[2:3], off
.LBB117_8:
	s_or_b32 exec_lo, exec_lo, s2
	s_delay_alu instid0(SALU_CYCLE_1)
	s_mov_b32 s2, exec_lo
	v_cmpx_gt_u32_e32 32, v1
	s_cbranch_execz .LBB117_10
; %bb.9:
	v_dual_mov_b32 v2, 0 :: v_dual_mov_b32 v3, 0xff
	s_delay_alu instid0(VALU_DEP_1) | instskip(NEXT) | instid1(VALU_DEP_1)
	v_lshlrev_b64 v[0:1], 3, v[1:2]
	v_add_co_u32 v0, vcc_lo, s0, v0
	s_delay_alu instid0(VALU_DEP_2)
	v_add_co_ci_u32_e32 v1, vcc_lo, s1, v1, vcc_lo
	global_store_b64 v[0:1], v[2:3], off
.LBB117_10:
	s_nop 0
	s_sendmsg sendmsg(MSG_DEALLOC_VGPRS)
	s_endpgm
	.section	.rodata,"a",@progbits
	.p2align	6, 0x0
	.amdhsa_kernel _ZN7rocprim6detail31init_lookback_scan_state_kernelINS0_19lookback_scan_stateIjLb0ELb1EEEEEvT_jjPNS4_10value_typeE
		.amdhsa_group_segment_fixed_size 0
		.amdhsa_private_segment_fixed_size 0
		.amdhsa_kernarg_size 280
		.amdhsa_user_sgpr_count 15
		.amdhsa_user_sgpr_dispatch_ptr 0
		.amdhsa_user_sgpr_queue_ptr 0
		.amdhsa_user_sgpr_kernarg_segment_ptr 1
		.amdhsa_user_sgpr_dispatch_id 0
		.amdhsa_user_sgpr_private_segment_size 0
		.amdhsa_wavefront_size32 1
		.amdhsa_uses_dynamic_stack 0
		.amdhsa_enable_private_segment 0
		.amdhsa_system_sgpr_workgroup_id_x 1
		.amdhsa_system_sgpr_workgroup_id_y 0
		.amdhsa_system_sgpr_workgroup_id_z 0
		.amdhsa_system_sgpr_workgroup_info 0
		.amdhsa_system_vgpr_workitem_id 0
		.amdhsa_next_free_vgpr 6
		.amdhsa_next_free_sgpr 16
		.amdhsa_reserve_vcc 1
		.amdhsa_float_round_mode_32 0
		.amdhsa_float_round_mode_16_64 0
		.amdhsa_float_denorm_mode_32 3
		.amdhsa_float_denorm_mode_16_64 3
		.amdhsa_dx10_clamp 1
		.amdhsa_ieee_mode 1
		.amdhsa_fp16_overflow 0
		.amdhsa_workgroup_processor_mode 1
		.amdhsa_memory_ordered 1
		.amdhsa_forward_progress 0
		.amdhsa_shared_vgpr_count 0
		.amdhsa_exception_fp_ieee_invalid_op 0
		.amdhsa_exception_fp_denorm_src 0
		.amdhsa_exception_fp_ieee_div_zero 0
		.amdhsa_exception_fp_ieee_overflow 0
		.amdhsa_exception_fp_ieee_underflow 0
		.amdhsa_exception_fp_ieee_inexact 0
		.amdhsa_exception_int_div_zero 0
	.end_amdhsa_kernel
	.section	.text._ZN7rocprim6detail31init_lookback_scan_state_kernelINS0_19lookback_scan_stateIjLb0ELb1EEEEEvT_jjPNS4_10value_typeE,"axG",@progbits,_ZN7rocprim6detail31init_lookback_scan_state_kernelINS0_19lookback_scan_stateIjLb0ELb1EEEEEvT_jjPNS4_10value_typeE,comdat
.Lfunc_end117:
	.size	_ZN7rocprim6detail31init_lookback_scan_state_kernelINS0_19lookback_scan_stateIjLb0ELb1EEEEEvT_jjPNS4_10value_typeE, .Lfunc_end117-_ZN7rocprim6detail31init_lookback_scan_state_kernelINS0_19lookback_scan_stateIjLb0ELb1EEEEEvT_jjPNS4_10value_typeE
                                        ; -- End function
	.section	.AMDGPU.csdata,"",@progbits
; Kernel info:
; codeLenInByte = 332
; NumSgprs: 18
; NumVgprs: 6
; ScratchSize: 0
; MemoryBound: 0
; FloatMode: 240
; IeeeMode: 1
; LDSByteSize: 0 bytes/workgroup (compile time only)
; SGPRBlocks: 2
; VGPRBlocks: 0
; NumSGPRsForWavesPerEU: 18
; NumVGPRsForWavesPerEU: 6
; Occupancy: 16
; WaveLimiterHint : 0
; COMPUTE_PGM_RSRC2:SCRATCH_EN: 0
; COMPUTE_PGM_RSRC2:USER_SGPR: 15
; COMPUTE_PGM_RSRC2:TRAP_HANDLER: 0
; COMPUTE_PGM_RSRC2:TGID_X_EN: 1
; COMPUTE_PGM_RSRC2:TGID_Y_EN: 0
; COMPUTE_PGM_RSRC2:TGID_Z_EN: 0
; COMPUTE_PGM_RSRC2:TIDIG_COMP_CNT: 0
	.section	.text._ZN7rocprim6detail20lookback_scan_kernelILNS0_25lookback_scan_determinismE0ELb0ENS0_19wrapped_scan_configINS_14default_configEjEEN6hipcub21CountingInputIteratorIjlEEN10test_utils21single_index_iteratorIjEENS6_3SumEjjNS0_19lookback_scan_stateIjLb1ELb1EEEEEvT2_T3_mT5_T4_T7_jPT6_SL_bb,"axG",@progbits,_ZN7rocprim6detail20lookback_scan_kernelILNS0_25lookback_scan_determinismE0ELb0ENS0_19wrapped_scan_configINS_14default_configEjEEN6hipcub21CountingInputIteratorIjlEEN10test_utils21single_index_iteratorIjEENS6_3SumEjjNS0_19lookback_scan_stateIjLb1ELb1EEEEEvT2_T3_mT5_T4_T7_jPT6_SL_bb,comdat
	.protected	_ZN7rocprim6detail20lookback_scan_kernelILNS0_25lookback_scan_determinismE0ELb0ENS0_19wrapped_scan_configINS_14default_configEjEEN6hipcub21CountingInputIteratorIjlEEN10test_utils21single_index_iteratorIjEENS6_3SumEjjNS0_19lookback_scan_stateIjLb1ELb1EEEEEvT2_T3_mT5_T4_T7_jPT6_SL_bb ; -- Begin function _ZN7rocprim6detail20lookback_scan_kernelILNS0_25lookback_scan_determinismE0ELb0ENS0_19wrapped_scan_configINS_14default_configEjEEN6hipcub21CountingInputIteratorIjlEEN10test_utils21single_index_iteratorIjEENS6_3SumEjjNS0_19lookback_scan_stateIjLb1ELb1EEEEEvT2_T3_mT5_T4_T7_jPT6_SL_bb
	.globl	_ZN7rocprim6detail20lookback_scan_kernelILNS0_25lookback_scan_determinismE0ELb0ENS0_19wrapped_scan_configINS_14default_configEjEEN6hipcub21CountingInputIteratorIjlEEN10test_utils21single_index_iteratorIjEENS6_3SumEjjNS0_19lookback_scan_stateIjLb1ELb1EEEEEvT2_T3_mT5_T4_T7_jPT6_SL_bb
	.p2align	8
	.type	_ZN7rocprim6detail20lookback_scan_kernelILNS0_25lookback_scan_determinismE0ELb0ENS0_19wrapped_scan_configINS_14default_configEjEEN6hipcub21CountingInputIteratorIjlEEN10test_utils21single_index_iteratorIjEENS6_3SumEjjNS0_19lookback_scan_stateIjLb1ELb1EEEEEvT2_T3_mT5_T4_T7_jPT6_SL_bb,@function
_ZN7rocprim6detail20lookback_scan_kernelILNS0_25lookback_scan_determinismE0ELb0ENS0_19wrapped_scan_configINS_14default_configEjEEN6hipcub21CountingInputIteratorIjlEEN10test_utils21single_index_iteratorIjEENS6_3SumEjjNS0_19lookback_scan_stateIjLb1ELb1EEEEEvT2_T3_mT5_T4_T7_jPT6_SL_bb: ; @_ZN7rocprim6detail20lookback_scan_kernelILNS0_25lookback_scan_determinismE0ELb0ENS0_19wrapped_scan_configINS_14default_configEjEEN6hipcub21CountingInputIteratorIjlEEN10test_utils21single_index_iteratorIjEENS6_3SumEjjNS0_19lookback_scan_stateIjLb1ELb1EEEEEvT2_T3_mT5_T4_T7_jPT6_SL_bb
; %bb.0:
	s_endpgm
	.section	.rodata,"a",@progbits
	.p2align	6, 0x0
	.amdhsa_kernel _ZN7rocprim6detail20lookback_scan_kernelILNS0_25lookback_scan_determinismE0ELb0ENS0_19wrapped_scan_configINS_14default_configEjEEN6hipcub21CountingInputIteratorIjlEEN10test_utils21single_index_iteratorIjEENS6_3SumEjjNS0_19lookback_scan_stateIjLb1ELb1EEEEEvT2_T3_mT5_T4_T7_jPT6_SL_bb
		.amdhsa_group_segment_fixed_size 0
		.amdhsa_private_segment_fixed_size 0
		.amdhsa_kernarg_size 84
		.amdhsa_user_sgpr_count 15
		.amdhsa_user_sgpr_dispatch_ptr 0
		.amdhsa_user_sgpr_queue_ptr 0
		.amdhsa_user_sgpr_kernarg_segment_ptr 1
		.amdhsa_user_sgpr_dispatch_id 0
		.amdhsa_user_sgpr_private_segment_size 0
		.amdhsa_wavefront_size32 1
		.amdhsa_uses_dynamic_stack 0
		.amdhsa_enable_private_segment 0
		.amdhsa_system_sgpr_workgroup_id_x 1
		.amdhsa_system_sgpr_workgroup_id_y 0
		.amdhsa_system_sgpr_workgroup_id_z 0
		.amdhsa_system_sgpr_workgroup_info 0
		.amdhsa_system_vgpr_workitem_id 0
		.amdhsa_next_free_vgpr 1
		.amdhsa_next_free_sgpr 1
		.amdhsa_reserve_vcc 0
		.amdhsa_float_round_mode_32 0
		.amdhsa_float_round_mode_16_64 0
		.amdhsa_float_denorm_mode_32 3
		.amdhsa_float_denorm_mode_16_64 3
		.amdhsa_dx10_clamp 1
		.amdhsa_ieee_mode 1
		.amdhsa_fp16_overflow 0
		.amdhsa_workgroup_processor_mode 1
		.amdhsa_memory_ordered 1
		.amdhsa_forward_progress 0
		.amdhsa_shared_vgpr_count 0
		.amdhsa_exception_fp_ieee_invalid_op 0
		.amdhsa_exception_fp_denorm_src 0
		.amdhsa_exception_fp_ieee_div_zero 0
		.amdhsa_exception_fp_ieee_overflow 0
		.amdhsa_exception_fp_ieee_underflow 0
		.amdhsa_exception_fp_ieee_inexact 0
		.amdhsa_exception_int_div_zero 0
	.end_amdhsa_kernel
	.section	.text._ZN7rocprim6detail20lookback_scan_kernelILNS0_25lookback_scan_determinismE0ELb0ENS0_19wrapped_scan_configINS_14default_configEjEEN6hipcub21CountingInputIteratorIjlEEN10test_utils21single_index_iteratorIjEENS6_3SumEjjNS0_19lookback_scan_stateIjLb1ELb1EEEEEvT2_T3_mT5_T4_T7_jPT6_SL_bb,"axG",@progbits,_ZN7rocprim6detail20lookback_scan_kernelILNS0_25lookback_scan_determinismE0ELb0ENS0_19wrapped_scan_configINS_14default_configEjEEN6hipcub21CountingInputIteratorIjlEEN10test_utils21single_index_iteratorIjEENS6_3SumEjjNS0_19lookback_scan_stateIjLb1ELb1EEEEEvT2_T3_mT5_T4_T7_jPT6_SL_bb,comdat
.Lfunc_end118:
	.size	_ZN7rocprim6detail20lookback_scan_kernelILNS0_25lookback_scan_determinismE0ELb0ENS0_19wrapped_scan_configINS_14default_configEjEEN6hipcub21CountingInputIteratorIjlEEN10test_utils21single_index_iteratorIjEENS6_3SumEjjNS0_19lookback_scan_stateIjLb1ELb1EEEEEvT2_T3_mT5_T4_T7_jPT6_SL_bb, .Lfunc_end118-_ZN7rocprim6detail20lookback_scan_kernelILNS0_25lookback_scan_determinismE0ELb0ENS0_19wrapped_scan_configINS_14default_configEjEEN6hipcub21CountingInputIteratorIjlEEN10test_utils21single_index_iteratorIjEENS6_3SumEjjNS0_19lookback_scan_stateIjLb1ELb1EEEEEvT2_T3_mT5_T4_T7_jPT6_SL_bb
                                        ; -- End function
	.section	.AMDGPU.csdata,"",@progbits
; Kernel info:
; codeLenInByte = 4
; NumSgprs: 0
; NumVgprs: 0
; ScratchSize: 0
; MemoryBound: 0
; FloatMode: 240
; IeeeMode: 1
; LDSByteSize: 0 bytes/workgroup (compile time only)
; SGPRBlocks: 0
; VGPRBlocks: 0
; NumSGPRsForWavesPerEU: 1
; NumVGPRsForWavesPerEU: 1
; Occupancy: 16
; WaveLimiterHint : 0
; COMPUTE_PGM_RSRC2:SCRATCH_EN: 0
; COMPUTE_PGM_RSRC2:USER_SGPR: 15
; COMPUTE_PGM_RSRC2:TRAP_HANDLER: 0
; COMPUTE_PGM_RSRC2:TGID_X_EN: 1
; COMPUTE_PGM_RSRC2:TGID_Y_EN: 0
; COMPUTE_PGM_RSRC2:TGID_Z_EN: 0
; COMPUTE_PGM_RSRC2:TIDIG_COMP_CNT: 0
	.section	.text._ZN7rocprim6detail20lookback_scan_kernelILNS0_25lookback_scan_determinismE0ELb0ENS0_19wrapped_scan_configINS_14default_configEjEEN6hipcub21CountingInputIteratorIjlEEN10test_utils21single_index_iteratorIjEENS6_3SumEjjNS0_19lookback_scan_stateIjLb0ELb1EEEEEvT2_T3_mT5_T4_T7_jPT6_SL_bb,"axG",@progbits,_ZN7rocprim6detail20lookback_scan_kernelILNS0_25lookback_scan_determinismE0ELb0ENS0_19wrapped_scan_configINS_14default_configEjEEN6hipcub21CountingInputIteratorIjlEEN10test_utils21single_index_iteratorIjEENS6_3SumEjjNS0_19lookback_scan_stateIjLb0ELb1EEEEEvT2_T3_mT5_T4_T7_jPT6_SL_bb,comdat
	.protected	_ZN7rocprim6detail20lookback_scan_kernelILNS0_25lookback_scan_determinismE0ELb0ENS0_19wrapped_scan_configINS_14default_configEjEEN6hipcub21CountingInputIteratorIjlEEN10test_utils21single_index_iteratorIjEENS6_3SumEjjNS0_19lookback_scan_stateIjLb0ELb1EEEEEvT2_T3_mT5_T4_T7_jPT6_SL_bb ; -- Begin function _ZN7rocprim6detail20lookback_scan_kernelILNS0_25lookback_scan_determinismE0ELb0ENS0_19wrapped_scan_configINS_14default_configEjEEN6hipcub21CountingInputIteratorIjlEEN10test_utils21single_index_iteratorIjEENS6_3SumEjjNS0_19lookback_scan_stateIjLb0ELb1EEEEEvT2_T3_mT5_T4_T7_jPT6_SL_bb
	.globl	_ZN7rocprim6detail20lookback_scan_kernelILNS0_25lookback_scan_determinismE0ELb0ENS0_19wrapped_scan_configINS_14default_configEjEEN6hipcub21CountingInputIteratorIjlEEN10test_utils21single_index_iteratorIjEENS6_3SumEjjNS0_19lookback_scan_stateIjLb0ELb1EEEEEvT2_T3_mT5_T4_T7_jPT6_SL_bb
	.p2align	8
	.type	_ZN7rocprim6detail20lookback_scan_kernelILNS0_25lookback_scan_determinismE0ELb0ENS0_19wrapped_scan_configINS_14default_configEjEEN6hipcub21CountingInputIteratorIjlEEN10test_utils21single_index_iteratorIjEENS6_3SumEjjNS0_19lookback_scan_stateIjLb0ELb1EEEEEvT2_T3_mT5_T4_T7_jPT6_SL_bb,@function
_ZN7rocprim6detail20lookback_scan_kernelILNS0_25lookback_scan_determinismE0ELb0ENS0_19wrapped_scan_configINS_14default_configEjEEN6hipcub21CountingInputIteratorIjlEEN10test_utils21single_index_iteratorIjEENS6_3SumEjjNS0_19lookback_scan_stateIjLb0ELb1EEEEEvT2_T3_mT5_T4_T7_jPT6_SL_bb: ; @_ZN7rocprim6detail20lookback_scan_kernelILNS0_25lookback_scan_determinismE0ELb0ENS0_19wrapped_scan_configINS_14default_configEjEEN6hipcub21CountingInputIteratorIjlEEN10test_utils21single_index_iteratorIjEENS6_3SumEjjNS0_19lookback_scan_stateIjLb0ELb1EEEEEvT2_T3_mT5_T4_T7_jPT6_SL_bb
; %bb.0:
	s_clause 0x2
	s_load_b32 s2, s[0:1], 0x38
	s_load_b256 s[20:27], s[0:1], 0x8
	s_load_b32 s3, s[0:1], 0x0
	s_lshl_b32 s8, s15, 10
	v_lshrrev_b32_e32 v2, 3, v0
	v_lshlrev_b32_e32 v1, 2, v0
	s_waitcnt lgkmcnt(0)
	s_add_i32 s2, s2, -1
	s_delay_alu instid0(SALU_CYCLE_1) | instskip(NEXT) | instid1(SALU_CYCLE_1)
	s_lshl_b32 s4, s2, 10
	s_sub_u32 s19, s26, s4
	s_subb_u32 s26, s27, 0
	s_cmp_lg_u32 s15, s2
	s_mov_b32 s4, -1
	s_cselect_b32 s9, -1, 0
	s_add_i32 s3, s8, s3
	s_and_b32 vcc_lo, exec_lo, s9
	v_add_nc_u32_e32 v13, s3, v0
	s_delay_alu instid0(VALU_DEP_1)
	v_add_nc_u32_e32 v18, 64, v13
	v_add_nc_u32_e32 v17, 0x80, v13
	;; [unrolled: 1-line block ×15, first 2 shown]
	s_cbranch_vccz .LBB119_2
; %bb.1:
	v_or_b32_e32 v19, 64, v0
	v_or_b32_e32 v20, 0x80, v0
	;; [unrolled: 1-line block ×7, first 2 shown]
	v_lshrrev_b32_e32 v19, 3, v19
	v_lshrrev_b32_e32 v20, 3, v20
	;; [unrolled: 1-line block ×4, first 2 shown]
	v_and_b32_e32 v21, 4, v2
	v_lshrrev_b32_e32 v24, 3, v24
	v_lshrrev_b32_e32 v25, 3, v25
	;; [unrolled: 1-line block ×3, first 2 shown]
	v_and_b32_e32 v19, 12, v19
	v_and_b32_e32 v20, 20, v20
	;; [unrolled: 1-line block ×4, first 2 shown]
	v_add_nc_u32_e32 v21, v21, v1
	v_and_b32_e32 v24, 44, v24
	v_and_b32_e32 v25, 52, v25
	;; [unrolled: 1-line block ×3, first 2 shown]
	v_add_nc_u32_e32 v19, v19, v1
	v_add_nc_u32_e32 v20, v20, v1
	v_or_b32_e32 v27, 0x200, v0
	v_add_nc_u32_e32 v22, v22, v1
	v_or_b32_e32 v28, 0x240, v0
	;; [unrolled: 2-line block ×3, first 2 shown]
	v_add_nc_u32_e32 v24, v24, v1
	v_add_nc_u32_e32 v25, v25, v1
	;; [unrolled: 1-line block ×3, first 2 shown]
	ds_store_b32 v21, v13
	ds_store_b32 v19, v18 offset:256
	ds_store_b32 v20, v17 offset:512
	ds_store_b32 v22, v16 offset:768
	ds_store_b32 v23, v15 offset:1024
	ds_store_b32 v24, v14 offset:1280
	ds_store_b32 v25, v12 offset:1536
	ds_store_b32 v26, v11 offset:1792
	v_or_b32_e32 v22, 0x2c0, v0
	v_or_b32_e32 v23, 0x300, v0
	v_lshrrev_b32_e32 v27, 3, v27
	v_or_b32_e32 v24, 0x340, v0
	v_or_b32_e32 v25, 0x380, v0
	;; [unrolled: 1-line block ×3, first 2 shown]
	v_lshrrev_b32_e32 v28, 3, v28
	v_lshrrev_b32_e32 v29, 3, v29
	;; [unrolled: 1-line block ×4, first 2 shown]
	v_and_b32_e32 v27, 0x44, v27
	v_lshrrev_b32_e32 v24, 3, v24
	v_lshrrev_b32_e32 v25, 3, v25
	v_lshrrev_b32_e32 v26, 3, v26
	v_and_b32_e32 v28, 0x4c, v28
	v_and_b32_e32 v29, 0x54, v29
	;; [unrolled: 1-line block ×4, first 2 shown]
	v_add_nc_u32_e32 v19, v27, v1
	v_and_b32_e32 v24, 0x6c, v24
	v_and_b32_e32 v25, 0x74, v25
	;; [unrolled: 1-line block ×3, first 2 shown]
	v_add_nc_u32_e32 v20, v28, v1
	v_add_nc_u32_e32 v21, v29, v1
	;; [unrolled: 1-line block ×7, first 2 shown]
	ds_store_b32 v19, v10 offset:2048
	ds_store_b32 v20, v9 offset:2304
	;; [unrolled: 1-line block ×8, first 2 shown]
	s_waitcnt lgkmcnt(0)
	s_mov_b32 s4, 0
	s_barrier
.LBB119_2:
	v_cmp_gt_u32_e64 s2, s19, v0
	s_and_not1_b32 vcc_lo, exec_lo, s4
	s_cbranch_vccnz .LBB119_4
; %bb.3:
	v_or_b32_e32 v19, 64, v0
	v_or_b32_e32 v20, 0x80, v0
	;; [unrolled: 1-line block ×5, first 2 shown]
	v_cmp_gt_u32_e32 vcc_lo, s19, v19
	v_lshrrev_b32_e32 v19, 3, v19
	v_or_b32_e32 v24, 0x180, v0
	v_or_b32_e32 v25, 0x1c0, v0
	;; [unrolled: 1-line block ×3, first 2 shown]
	s_delay_alu instid0(VALU_DEP_4)
	v_dual_cndmask_b32 v18, s3, v18 :: v_dual_and_b32 v19, 12, v19
	v_cmp_gt_u32_e32 vcc_lo, s19, v20
	v_or_b32_e32 v27, 0x240, v0
	v_lshrrev_b32_e32 v20, 3, v20
	v_and_b32_e32 v2, 4, v2
	v_or_b32_e32 v28, 0x280, v0
	v_cndmask_b32_e32 v17, s3, v17, vcc_lo
	v_cmp_gt_u32_e32 vcc_lo, s19, v21
	v_lshrrev_b32_e32 v21, 3, v21
	v_or_b32_e32 v29, 0x2c0, v0
	v_or_b32_e32 v30, 0x300, v0
	;; [unrolled: 1-line block ×3, first 2 shown]
	v_dual_cndmask_b32 v16, s3, v16 :: v_dual_add_nc_u32 v19, v19, v1
	v_cmp_gt_u32_e32 vcc_lo, s19, v22
	v_lshrrev_b32_e32 v22, 3, v22
	v_or_b32_e32 v32, 0x380, v0
	v_or_b32_e32 v33, 0x3c0, v0
	v_cndmask_b32_e64 v13, s3, v13, s2
	v_dual_cndmask_b32 v15, s3, v15 :: v_dual_add_nc_u32 v2, v2, v1
	v_cmp_gt_u32_e32 vcc_lo, s19, v23
	v_lshrrev_b32_e32 v23, 3, v23
	v_and_b32_e32 v21, 28, v21
	v_and_b32_e32 v20, 20, v20
	;; [unrolled: 1-line block ×3, first 2 shown]
	v_cndmask_b32_e32 v14, s3, v14, vcc_lo
	v_cmp_gt_u32_e32 vcc_lo, s19, v24
	v_and_b32_e32 v23, 44, v23
	v_lshrrev_b32_e32 v24, 3, v24
	v_add_nc_u32_e32 v21, v21, v1
	v_add_nc_u32_e32 v20, v20, v1
	v_cndmask_b32_e32 v12, s3, v12, vcc_lo
	v_cmp_gt_u32_e32 vcc_lo, s19, v25
	v_lshrrev_b32_e32 v25, 3, v25
	v_add_nc_u32_e32 v23, v23, v1
	v_and_b32_e32 v24, 52, v24
	v_dual_cndmask_b32 v11, s3, v11 :: v_dual_add_nc_u32 v22, v22, v1
	v_cmp_gt_u32_e32 vcc_lo, s19, v26
	v_and_b32_e32 v25, 60, v25
	v_lshrrev_b32_e32 v26, 3, v26
	v_add_nc_u32_e32 v24, v24, v1
	v_cndmask_b32_e32 v10, s3, v10, vcc_lo
	v_cmp_gt_u32_e32 vcc_lo, s19, v27
	v_lshrrev_b32_e32 v27, 3, v27
	v_add_nc_u32_e32 v25, v25, v1
	v_and_b32_e32 v26, 0x44, v26
	ds_store_b32 v2, v13
	ds_store_b32 v19, v18 offset:256
	ds_store_b32 v20, v17 offset:512
	;; [unrolled: 1-line block ×7, first 2 shown]
	v_cndmask_b32_e32 v9, s3, v9, vcc_lo
	v_cmp_gt_u32_e32 vcc_lo, s19, v28
	v_lshrrev_b32_e32 v28, 3, v28
	v_lshrrev_b32_e32 v13, 3, v29
	;; [unrolled: 1-line block ×4, first 2 shown]
	v_cndmask_b32_e32 v8, s3, v8, vcc_lo
	v_cmp_gt_u32_e32 vcc_lo, s19, v29
	v_lshrrev_b32_e32 v16, 3, v32
	v_lshrrev_b32_e32 v17, 3, v33
	v_and_b32_e32 v27, 0x4c, v27
	v_and_b32_e32 v28, 0x54, v28
	v_cndmask_b32_e32 v7, s3, v7, vcc_lo
	v_cmp_gt_u32_e32 vcc_lo, s19, v30
	v_add_nc_u32_e32 v2, v26, v1
	v_add_nc_u32_e32 v11, v27, v1
	;; [unrolled: 1-line block ×3, first 2 shown]
	v_and_b32_e32 v13, 0x5c, v13
	v_cndmask_b32_e32 v6, s3, v6, vcc_lo
	v_cmp_gt_u32_e32 vcc_lo, s19, v31
	v_and_b32_e32 v14, 0x64, v14
	v_and_b32_e32 v15, 0x6c, v15
	;; [unrolled: 1-line block ×4, first 2 shown]
	v_cndmask_b32_e32 v5, s3, v5, vcc_lo
	v_cmp_gt_u32_e32 vcc_lo, s19, v32
	v_add_nc_u32_e32 v13, v13, v1
	v_add_nc_u32_e32 v14, v14, v1
	;; [unrolled: 1-line block ×4, first 2 shown]
	v_cndmask_b32_e32 v4, s3, v4, vcc_lo
	v_cmp_gt_u32_e32 vcc_lo, s19, v33
	v_add_nc_u32_e32 v1, v17, v1
	v_cndmask_b32_e32 v3, s3, v3, vcc_lo
	ds_store_b32 v2, v10 offset:2048
	ds_store_b32 v11, v9 offset:2304
	;; [unrolled: 1-line block ×8, first 2 shown]
	s_waitcnt lgkmcnt(0)
	s_barrier
.LBB119_4:
	v_lshlrev_b32_e32 v1, 4, v0
	v_lshrrev_b32_e32 v34, 1, v0
	buffer_gl0_inv
	s_load_b64 s[4:5], s[0:1], 0x30
	v_lshrrev_b32_e32 v33, 5, v0
	v_cmp_gt_u32_e32 vcc_lo, 32, v0
	v_add_lshl_u32 v1, v34, v1, 2
	s_cmp_lg_u32 s15, 0
	ds_load_2addr_b32 v[29:30], v1 offset1:1
	ds_load_2addr_b32 v[31:32], v1 offset0:2 offset1:3
	ds_load_2addr_b32 v[27:28], v1 offset0:4 offset1:5
	;; [unrolled: 1-line block ×7, first 2 shown]
	s_waitcnt lgkmcnt(0)
	s_barrier
	buffer_gl0_inv
	s_cbranch_scc0 .LBB119_29
; %bb.5:
	v_add_nc_u32_e32 v1, v30, v29
	v_add_lshl_u32 v2, v33, v0, 2
	s_delay_alu instid0(VALU_DEP_2) | instskip(NEXT) | instid1(VALU_DEP_1)
	v_add3_u32 v1, v1, v31, v32
	v_add3_u32 v1, v1, v27, v28
	s_delay_alu instid0(VALU_DEP_1) | instskip(NEXT) | instid1(VALU_DEP_1)
	v_add3_u32 v1, v1, v25, v26
	v_add3_u32 v1, v1, v23, v24
	s_delay_alu instid0(VALU_DEP_1) | instskip(NEXT) | instid1(VALU_DEP_1)
	v_add3_u32 v1, v1, v21, v22
	v_add3_u32 v1, v1, v19, v20
	s_delay_alu instid0(VALU_DEP_1)
	v_add3_u32 v1, v1, v17, v18
	ds_store_b32 v2, v1
	s_waitcnt lgkmcnt(0)
	s_barrier
	buffer_gl0_inv
	s_and_saveexec_b32 s3, vcc_lo
	s_cbranch_execz .LBB119_7
; %bb.6:
	v_lshrrev_b32_e32 v2, 2, v0
	v_mbcnt_lo_u32_b32 v5, -1, 0
	s_delay_alu instid0(VALU_DEP_2) | instskip(NEXT) | instid1(VALU_DEP_2)
	v_and_b32_e32 v2, 12, v2
	v_and_b32_e32 v7, 15, v5
	v_add_nc_u32_e32 v9, -1, v5
	s_delay_alu instid0(VALU_DEP_3) | instskip(NEXT) | instid1(VALU_DEP_3)
	v_lshl_or_b32 v4, v0, 3, v2
	v_cmp_ne_u32_e64 s2, 0, v7
	ds_load_2addr_b32 v[2:3], v4 offset1:1
	s_waitcnt lgkmcnt(0)
	v_add_nc_u32_e32 v6, v3, v2
	s_delay_alu instid0(VALU_DEP_1) | instskip(NEXT) | instid1(VALU_DEP_1)
	v_mov_b32_dpp v8, v6 row_shr:1 row_mask:0xf bank_mask:0xf
	v_cndmask_b32_e64 v8, 0, v8, s2
	v_cmp_lt_u32_e64 s2, 1, v7
	s_delay_alu instid0(VALU_DEP_2) | instskip(NEXT) | instid1(VALU_DEP_1)
	v_add_nc_u32_e32 v6, v8, v6
	v_mov_b32_dpp v8, v6 row_shr:2 row_mask:0xf bank_mask:0xf
	s_delay_alu instid0(VALU_DEP_1) | instskip(SKIP_1) | instid1(VALU_DEP_2)
	v_cndmask_b32_e64 v8, 0, v8, s2
	v_cmp_lt_u32_e64 s2, 3, v7
	v_add_nc_u32_e32 v6, v6, v8
	s_delay_alu instid0(VALU_DEP_1) | instskip(NEXT) | instid1(VALU_DEP_1)
	v_mov_b32_dpp v8, v6 row_shr:4 row_mask:0xf bank_mask:0xf
	v_cndmask_b32_e64 v8, 0, v8, s2
	v_cmp_lt_u32_e64 s2, 7, v7
	s_delay_alu instid0(VALU_DEP_2) | instskip(NEXT) | instid1(VALU_DEP_1)
	v_add_nc_u32_e32 v6, v6, v8
	v_mov_b32_dpp v8, v6 row_shr:8 row_mask:0xf bank_mask:0xf
	s_delay_alu instid0(VALU_DEP_1) | instskip(SKIP_2) | instid1(VALU_DEP_3)
	v_cndmask_b32_e64 v7, 0, v8, s2
	v_bfe_i32 v8, v5, 4, 1
	v_cmp_gt_i32_e64 s2, 0, v9
	v_add_nc_u32_e32 v6, v6, v7
	s_delay_alu instid0(VALU_DEP_2)
	v_cndmask_b32_e64 v5, v9, v5, s2
	v_cmp_eq_u32_e64 s2, 0, v0
	ds_swizzle_b32 v7, v6 offset:swizzle(BROADCAST,32,15)
	v_lshlrev_b32_e32 v5, 2, v5
	s_waitcnt lgkmcnt(0)
	v_and_b32_e32 v7, v8, v7
	s_delay_alu instid0(VALU_DEP_1) | instskip(SKIP_3) | instid1(VALU_DEP_1)
	v_add_nc_u32_e32 v6, v6, v7
	ds_bpermute_b32 v5, v5, v6
	s_waitcnt lgkmcnt(0)
	v_add_nc_u32_e32 v2, v5, v2
	v_cndmask_b32_e64 v1, v2, v1, s2
	s_delay_alu instid0(VALU_DEP_1)
	v_add_nc_u32_e32 v2, v1, v3
	ds_store_2addr_b32 v4, v1, v2 offset1:1
.LBB119_7:
	s_or_b32 exec_lo, exec_lo, s3
	v_cmp_eq_u32_e64 s2, 0, v0
	v_mov_b32_e32 v8, 0
	s_mov_b32 s6, exec_lo
	s_waitcnt lgkmcnt(0)
	s_barrier
	buffer_gl0_inv
	v_cmpx_ne_u32_e32 0, v0
	s_cbranch_execz .LBB119_9
; %bb.8:
	v_add_nc_u32_e32 v1, -1, v0
	s_delay_alu instid0(VALU_DEP_1) | instskip(NEXT) | instid1(VALU_DEP_1)
	v_lshrrev_b32_e32 v2, 5, v1
	v_add_lshl_u32 v1, v2, v1, 2
	ds_load_b32 v8, v1
.LBB119_9:
	s_or_b32 exec_lo, exec_lo, s6
	s_and_saveexec_b32 s10, vcc_lo
	s_cbranch_execz .LBB119_28
; %bb.10:
	v_mov_b32_e32 v4, 0
	v_mbcnt_lo_u32_b32 v16, -1, 0
	s_mov_b32 s7, 0
	ds_load_b32 v1, v4 offset:256
	v_cmp_eq_u32_e64 s3, 0, v16
	s_delay_alu instid0(VALU_DEP_1)
	s_and_saveexec_b32 s11, s3
	s_cbranch_execz .LBB119_12
; %bb.11:
	s_add_i32 s6, s15, 32
	v_mov_b32_e32 v2, 1
	s_lshl_b64 s[6:7], s[6:7], 3
	s_delay_alu instid0(SALU_CYCLE_1)
	s_add_u32 s6, s4, s6
	s_addc_u32 s7, s5, s7
	s_waitcnt lgkmcnt(0)
	global_store_b64 v4, v[1:2], s[6:7]
.LBB119_12:
	s_or_b32 exec_lo, exec_lo, s11
	v_xad_u32 v2, v16, -1, s15
	s_mov_b32 s6, exec_lo
	s_delay_alu instid0(VALU_DEP_1) | instskip(NEXT) | instid1(VALU_DEP_1)
	v_add_nc_u32_e32 v3, 32, v2
	v_lshlrev_b64 v[3:4], 3, v[3:4]
	s_delay_alu instid0(VALU_DEP_1) | instskip(NEXT) | instid1(VALU_DEP_2)
	v_add_co_u32 v6, vcc_lo, s4, v3
	v_add_co_ci_u32_e32 v7, vcc_lo, s5, v4, vcc_lo
	global_load_b64 v[4:5], v[6:7], off glc
	s_waitcnt vmcnt(0)
	v_and_b32_e32 v3, 0xff, v5
	s_delay_alu instid0(VALU_DEP_1)
	v_cmpx_eq_u16_e32 0, v3
	s_cbranch_execz .LBB119_16
; %bb.13:
	s_mov_b32 s7, 0
.LBB119_14:                             ; =>This Inner Loop Header: Depth=1
	global_load_b64 v[4:5], v[6:7], off glc
	s_waitcnt vmcnt(0)
	v_and_b32_e32 v3, 0xff, v5
	s_delay_alu instid0(VALU_DEP_1) | instskip(SKIP_1) | instid1(SALU_CYCLE_1)
	v_cmp_ne_u16_e32 vcc_lo, 0, v3
	s_or_b32 s7, vcc_lo, s7
	s_and_not1_b32 exec_lo, exec_lo, s7
	s_cbranch_execnz .LBB119_14
; %bb.15:
	s_or_b32 exec_lo, exec_lo, s7
.LBB119_16:
	s_delay_alu instid0(SALU_CYCLE_1)
	s_or_b32 exec_lo, exec_lo, s6
	v_cmp_ne_u32_e32 vcc_lo, 31, v16
	v_lshlrev_b32_e64 v10, v16, -1
	v_add_nc_u32_e32 v11, 1, v16
	v_add_nc_u32_e32 v13, 2, v16
	;; [unrolled: 1-line block ×3, first 2 shown]
	v_add_co_ci_u32_e32 v3, vcc_lo, 0, v16, vcc_lo
	v_add_nc_u32_e32 v36, 8, v16
	v_add_nc_u32_e32 v38, 16, v16
	s_delay_alu instid0(VALU_DEP_3)
	v_lshlrev_b32_e32 v9, 2, v3
	v_and_b32_e32 v3, 0xff, v5
	ds_bpermute_b32 v6, v9, v4
	v_cmp_eq_u16_e32 vcc_lo, 2, v3
	v_and_or_b32 v3, vcc_lo, v10, 0x80000000
	v_cmp_gt_u32_e32 vcc_lo, 30, v16
	s_delay_alu instid0(VALU_DEP_2) | instskip(SKIP_1) | instid1(VALU_DEP_2)
	v_ctz_i32_b32_e32 v3, v3
	v_cndmask_b32_e64 v7, 0, 1, vcc_lo
	v_cmp_le_u32_e32 vcc_lo, v11, v3
	s_waitcnt lgkmcnt(0)
	s_delay_alu instid0(VALU_DEP_2) | instskip(NEXT) | instid1(VALU_DEP_1)
	v_dual_cndmask_b32 v6, 0, v6 :: v_dual_lshlrev_b32 v7, 1, v7
	v_add_lshl_u32 v12, v7, v16, 2
	v_cmp_gt_u32_e32 vcc_lo, 28, v16
	s_delay_alu instid0(VALU_DEP_3) | instskip(SKIP_4) | instid1(VALU_DEP_1)
	v_add_nc_u32_e32 v4, v6, v4
	v_cndmask_b32_e64 v7, 0, 1, vcc_lo
	v_cmp_le_u32_e32 vcc_lo, v13, v3
	ds_bpermute_b32 v6, v12, v4
	v_lshlrev_b32_e32 v7, 2, v7
	v_add_lshl_u32 v14, v7, v16, 2
	s_waitcnt lgkmcnt(0)
	v_cndmask_b32_e32 v6, 0, v6, vcc_lo
	v_cmp_gt_u32_e32 vcc_lo, 24, v16
	s_delay_alu instid0(VALU_DEP_2) | instskip(SKIP_4) | instid1(VALU_DEP_1)
	v_add_nc_u32_e32 v4, v4, v6
	v_cndmask_b32_e64 v7, 0, 1, vcc_lo
	v_cmp_le_u32_e32 vcc_lo, v15, v3
	ds_bpermute_b32 v6, v14, v4
	v_lshlrev_b32_e32 v7, 3, v7
	v_add_lshl_u32 v35, v7, v16, 2
	s_waitcnt lgkmcnt(0)
	v_cndmask_b32_e32 v6, 0, v6, vcc_lo
	v_cmp_gt_u32_e32 vcc_lo, 16, v16
	s_delay_alu instid0(VALU_DEP_2) | instskip(SKIP_4) | instid1(VALU_DEP_1)
	v_add_nc_u32_e32 v4, v4, v6
	v_cndmask_b32_e64 v7, 0, 1, vcc_lo
	v_cmp_le_u32_e32 vcc_lo, v36, v3
	ds_bpermute_b32 v6, v35, v4
	v_lshlrev_b32_e32 v7, 4, v7
	v_add_lshl_u32 v37, v7, v16, 2
	s_waitcnt lgkmcnt(0)
	v_cndmask_b32_e32 v6, 0, v6, vcc_lo
	v_cmp_le_u32_e32 vcc_lo, v38, v3
	s_delay_alu instid0(VALU_DEP_2) | instskip(SKIP_3) | instid1(VALU_DEP_1)
	v_add_nc_u32_e32 v4, v4, v6
	ds_bpermute_b32 v6, v37, v4
	s_waitcnt lgkmcnt(0)
	v_cndmask_b32_e32 v3, 0, v6, vcc_lo
	v_dual_mov_b32 v3, 0 :: v_dual_add_nc_u32 v4, v4, v3
	s_branch .LBB119_18
.LBB119_17:                             ;   in Loop: Header=BB119_18 Depth=1
	s_or_b32 exec_lo, exec_lo, s6
	ds_bpermute_b32 v7, v9, v4
	v_and_b32_e32 v6, 0xff, v5
	v_subrev_nc_u32_e32 v2, 32, v2
	s_delay_alu instid0(VALU_DEP_2) | instskip(SKIP_1) | instid1(VALU_DEP_1)
	v_cmp_eq_u16_e32 vcc_lo, 2, v6
	v_and_or_b32 v6, vcc_lo, v10, 0x80000000
	v_ctz_i32_b32_e32 v6, v6
	s_delay_alu instid0(VALU_DEP_1) | instskip(SKIP_3) | instid1(VALU_DEP_2)
	v_cmp_le_u32_e32 vcc_lo, v11, v6
	s_waitcnt lgkmcnt(0)
	v_cndmask_b32_e32 v7, 0, v7, vcc_lo
	v_cmp_le_u32_e32 vcc_lo, v13, v6
	v_add_nc_u32_e32 v4, v7, v4
	ds_bpermute_b32 v7, v12, v4
	s_waitcnt lgkmcnt(0)
	v_cndmask_b32_e32 v7, 0, v7, vcc_lo
	v_cmp_le_u32_e32 vcc_lo, v15, v6
	s_delay_alu instid0(VALU_DEP_2) | instskip(SKIP_4) | instid1(VALU_DEP_2)
	v_add_nc_u32_e32 v4, v4, v7
	ds_bpermute_b32 v7, v14, v4
	s_waitcnt lgkmcnt(0)
	v_cndmask_b32_e32 v7, 0, v7, vcc_lo
	v_cmp_le_u32_e32 vcc_lo, v36, v6
	v_add_nc_u32_e32 v4, v4, v7
	ds_bpermute_b32 v7, v35, v4
	s_waitcnt lgkmcnt(0)
	v_cndmask_b32_e32 v7, 0, v7, vcc_lo
	v_cmp_le_u32_e32 vcc_lo, v38, v6
	s_delay_alu instid0(VALU_DEP_2) | instskip(SKIP_3) | instid1(VALU_DEP_1)
	v_add_nc_u32_e32 v4, v4, v7
	ds_bpermute_b32 v7, v37, v4
	s_waitcnt lgkmcnt(0)
	v_cndmask_b32_e32 v6, 0, v7, vcc_lo
	v_add3_u32 v4, v6, v16, v4
.LBB119_18:                             ; =>This Loop Header: Depth=1
                                        ;     Child Loop BB119_21 Depth 2
	s_delay_alu instid0(VALU_DEP_1) | instskip(NEXT) | instid1(VALU_DEP_1)
	v_dual_mov_b32 v16, v4 :: v_dual_and_b32 v5, 0xff, v5
	v_cmp_ne_u16_e32 vcc_lo, 2, v5
	v_cndmask_b32_e64 v5, 0, 1, vcc_lo
	;;#ASMSTART
	;;#ASMEND
	s_delay_alu instid0(VALU_DEP_1)
	v_cmp_ne_u32_e32 vcc_lo, 0, v5
	s_cmp_lg_u32 vcc_lo, exec_lo
	s_cbranch_scc1 .LBB119_23
; %bb.19:                               ;   in Loop: Header=BB119_18 Depth=1
	v_lshlrev_b64 v[4:5], 3, v[2:3]
	s_mov_b32 s6, exec_lo
	s_delay_alu instid0(VALU_DEP_1) | instskip(NEXT) | instid1(VALU_DEP_2)
	v_add_co_u32 v6, vcc_lo, s4, v4
	v_add_co_ci_u32_e32 v7, vcc_lo, s5, v5, vcc_lo
	global_load_b64 v[4:5], v[6:7], off glc
	s_waitcnt vmcnt(0)
	v_and_b32_e32 v39, 0xff, v5
	s_delay_alu instid0(VALU_DEP_1)
	v_cmpx_eq_u16_e32 0, v39
	s_cbranch_execz .LBB119_17
; %bb.20:                               ;   in Loop: Header=BB119_18 Depth=1
	s_mov_b32 s7, 0
.LBB119_21:                             ;   Parent Loop BB119_18 Depth=1
                                        ; =>  This Inner Loop Header: Depth=2
	global_load_b64 v[4:5], v[6:7], off glc
	s_waitcnt vmcnt(0)
	v_and_b32_e32 v39, 0xff, v5
	s_delay_alu instid0(VALU_DEP_1) | instskip(SKIP_1) | instid1(SALU_CYCLE_1)
	v_cmp_ne_u16_e32 vcc_lo, 0, v39
	s_or_b32 s7, vcc_lo, s7
	s_and_not1_b32 exec_lo, exec_lo, s7
	s_cbranch_execnz .LBB119_21
; %bb.22:                               ;   in Loop: Header=BB119_18 Depth=1
	s_or_b32 exec_lo, exec_lo, s7
	s_branch .LBB119_17
.LBB119_23:                             ;   in Loop: Header=BB119_18 Depth=1
                                        ; implicit-def: $vgpr4
                                        ; implicit-def: $vgpr5
	s_cbranch_execz .LBB119_18
; %bb.24:
	s_and_saveexec_b32 s6, s3
	s_cbranch_execz .LBB119_26
; %bb.25:
	s_add_i32 s12, s15, 32
	s_mov_b32 s13, 0
	v_dual_mov_b32 v3, 0 :: v_dual_mov_b32 v2, 2
	s_lshl_b64 s[12:13], s[12:13], 3
	v_add_nc_u32_e32 v1, v16, v1
	s_add_u32 s12, s4, s12
	s_addc_u32 s13, s5, s13
	global_store_b64 v3, v[1:2], s[12:13]
.LBB119_26:
	s_or_b32 exec_lo, exec_lo, s6
	s_delay_alu instid0(SALU_CYCLE_1)
	s_and_b32 exec_lo, exec_lo, s2
	s_cbranch_execz .LBB119_28
; %bb.27:
	v_mov_b32_e32 v1, 0
	ds_store_b32 v1, v16
.LBB119_28:
	s_or_b32 exec_lo, exec_lo, s10
	v_mov_b32_e32 v1, 0
	s_waitcnt lgkmcnt(0)
	s_waitcnt_vscnt null, 0x0
	s_barrier
	buffer_gl0_inv
	ds_load_b32 v1, v1
	s_waitcnt lgkmcnt(0)
	v_add3_u32 v1, v8, v29, v1
	s_delay_alu instid0(VALU_DEP_1) | instskip(NEXT) | instid1(VALU_DEP_1)
	v_add_nc_u32_e32 v2, v1, v30
	v_add_nc_u32_e32 v3, v2, v31
	s_delay_alu instid0(VALU_DEP_1) | instskip(NEXT) | instid1(VALU_DEP_1)
	v_add_nc_u32_e32 v4, v3, v32
	v_add_nc_u32_e32 v5, v4, v27
	s_delay_alu instid0(VALU_DEP_1) | instskip(NEXT) | instid1(VALU_DEP_1)
	v_add_nc_u32_e32 v6, v5, v28
	v_add_nc_u32_e32 v7, v6, v25
	s_delay_alu instid0(VALU_DEP_1) | instskip(NEXT) | instid1(VALU_DEP_1)
	v_add_nc_u32_e32 v8, v7, v26
	v_add_nc_u32_e32 v9, v8, v23
	s_delay_alu instid0(VALU_DEP_1) | instskip(NEXT) | instid1(VALU_DEP_1)
	v_add_nc_u32_e32 v10, v9, v24
	v_add_nc_u32_e32 v11, v10, v21
	s_delay_alu instid0(VALU_DEP_1) | instskip(NEXT) | instid1(VALU_DEP_1)
	v_add_nc_u32_e32 v12, v11, v22
	v_add_nc_u32_e32 v13, v12, v19
	s_delay_alu instid0(VALU_DEP_1) | instskip(NEXT) | instid1(VALU_DEP_1)
	v_add_nc_u32_e32 v14, v13, v20
	v_add_nc_u32_e32 v15, v14, v17
	s_delay_alu instid0(VALU_DEP_1)
	v_add_nc_u32_e32 v16, v15, v18
	s_load_b128 s[28:31], s[0:1], 0x40
	s_branch .LBB119_39
.LBB119_29:
                                        ; implicit-def: $vgpr1_vgpr2_vgpr3_vgpr4_vgpr5_vgpr6_vgpr7_vgpr8_vgpr9_vgpr10_vgpr11_vgpr12_vgpr13_vgpr14_vgpr15_vgpr16
	s_load_b128 s[28:31], s[0:1], 0x40
	s_cbranch_execz .LBB119_39
; %bb.30:
	s_load_b32 s2, s[0:1], 0x50
	v_cmp_eq_u32_e32 vcc_lo, 0, v0
	s_waitcnt lgkmcnt(0)
	s_bitcmp1_b32 s2, 0
	v_cmp_ne_u32_e64 s2, 0, v0
	s_cselect_b32 s3, -1, 0
	s_delay_alu instid0(SALU_CYCLE_1) | instskip(NEXT) | instid1(SALU_CYCLE_1)
	s_and_b32 s6, vcc_lo, s3
	s_and_saveexec_b32 s3, s6
	s_cbranch_execz .LBB119_32
; %bb.31:
	s_load_b32 s6, s[28:29], 0x0
	s_waitcnt lgkmcnt(0)
	v_add_nc_u32_e32 v29, s6, v29
.LBB119_32:
	s_or_b32 exec_lo, exec_lo, s3
	s_delay_alu instid0(VALU_DEP_1) | instskip(SKIP_2) | instid1(VALU_DEP_2)
	v_add_nc_u32_e32 v1, v30, v29
	v_add_lshl_u32 v2, v33, v0, 2
	s_mov_b32 s6, exec_lo
	v_add3_u32 v1, v1, v31, v32
	s_delay_alu instid0(VALU_DEP_1) | instskip(NEXT) | instid1(VALU_DEP_1)
	v_add3_u32 v1, v1, v27, v28
	v_add3_u32 v1, v1, v25, v26
	s_delay_alu instid0(VALU_DEP_1) | instskip(NEXT) | instid1(VALU_DEP_1)
	v_add3_u32 v1, v1, v23, v24
	;; [unrolled: 3-line block ×3, first 2 shown]
	v_add3_u32 v1, v1, v17, v18
	ds_store_b32 v2, v1
	s_waitcnt lgkmcnt(0)
	s_barrier
	buffer_gl0_inv
	v_cmpx_gt_u32_e32 32, v0
	s_cbranch_execz .LBB119_34
; %bb.33:
	v_lshrrev_b32_e32 v2, 2, v0
	v_mbcnt_lo_u32_b32 v5, -1, 0
	s_delay_alu instid0(VALU_DEP_2) | instskip(NEXT) | instid1(VALU_DEP_2)
	v_and_b32_e32 v2, 12, v2
	v_and_b32_e32 v7, 15, v5
	v_add_nc_u32_e32 v9, -1, v5
	s_delay_alu instid0(VALU_DEP_3) | instskip(NEXT) | instid1(VALU_DEP_3)
	v_lshl_or_b32 v4, v0, 3, v2
	v_cmp_ne_u32_e64 s3, 0, v7
	ds_load_2addr_b32 v[2:3], v4 offset1:1
	s_waitcnt lgkmcnt(0)
	v_add_nc_u32_e32 v6, v3, v2
	s_delay_alu instid0(VALU_DEP_1) | instskip(NEXT) | instid1(VALU_DEP_1)
	v_mov_b32_dpp v8, v6 row_shr:1 row_mask:0xf bank_mask:0xf
	v_cndmask_b32_e64 v8, 0, v8, s3
	v_cmp_lt_u32_e64 s3, 1, v7
	s_delay_alu instid0(VALU_DEP_2) | instskip(NEXT) | instid1(VALU_DEP_1)
	v_add_nc_u32_e32 v6, v8, v6
	v_mov_b32_dpp v8, v6 row_shr:2 row_mask:0xf bank_mask:0xf
	s_delay_alu instid0(VALU_DEP_1) | instskip(SKIP_1) | instid1(VALU_DEP_2)
	v_cndmask_b32_e64 v8, 0, v8, s3
	v_cmp_lt_u32_e64 s3, 3, v7
	v_add_nc_u32_e32 v6, v6, v8
	s_delay_alu instid0(VALU_DEP_1) | instskip(NEXT) | instid1(VALU_DEP_1)
	v_mov_b32_dpp v8, v6 row_shr:4 row_mask:0xf bank_mask:0xf
	v_cndmask_b32_e64 v8, 0, v8, s3
	v_cmp_lt_u32_e64 s3, 7, v7
	s_delay_alu instid0(VALU_DEP_2) | instskip(NEXT) | instid1(VALU_DEP_1)
	v_add_nc_u32_e32 v6, v6, v8
	v_mov_b32_dpp v8, v6 row_shr:8 row_mask:0xf bank_mask:0xf
	s_delay_alu instid0(VALU_DEP_1) | instskip(SKIP_2) | instid1(VALU_DEP_3)
	v_cndmask_b32_e64 v7, 0, v8, s3
	v_bfe_i32 v8, v5, 4, 1
	v_cmp_gt_i32_e64 s3, 0, v9
	v_add_nc_u32_e32 v6, v6, v7
	s_delay_alu instid0(VALU_DEP_2) | instskip(SKIP_4) | instid1(VALU_DEP_1)
	v_cndmask_b32_e64 v5, v9, v5, s3
	ds_swizzle_b32 v7, v6 offset:swizzle(BROADCAST,32,15)
	v_lshlrev_b32_e32 v5, 2, v5
	s_waitcnt lgkmcnt(0)
	v_and_b32_e32 v7, v8, v7
	v_add_nc_u32_e32 v6, v6, v7
	ds_bpermute_b32 v5, v5, v6
	s_waitcnt lgkmcnt(0)
	v_add_nc_u32_e32 v2, v5, v2
	s_delay_alu instid0(VALU_DEP_1) | instskip(NEXT) | instid1(VALU_DEP_1)
	v_cndmask_b32_e32 v1, v2, v1, vcc_lo
	v_add_nc_u32_e32 v2, v1, v3
	ds_store_2addr_b32 v4, v1, v2 offset1:1
.LBB119_34:
	s_or_b32 exec_lo, exec_lo, s6
	v_mov_b32_e32 v1, 0
	s_waitcnt lgkmcnt(0)
	s_barrier
	buffer_gl0_inv
	s_and_saveexec_b32 s3, s2
	s_cbranch_execz .LBB119_36
; %bb.35:
	v_add_nc_u32_e32 v1, -1, v0
	s_delay_alu instid0(VALU_DEP_1) | instskip(NEXT) | instid1(VALU_DEP_1)
	v_lshrrev_b32_e32 v2, 5, v1
	v_add_lshl_u32 v1, v2, v1, 2
	ds_load_b32 v1, v1
.LBB119_36:
	s_or_b32 exec_lo, exec_lo, s3
	s_waitcnt lgkmcnt(0)
	v_add_nc_u32_e32 v1, v1, v29
	s_delay_alu instid0(VALU_DEP_1) | instskip(NEXT) | instid1(VALU_DEP_1)
	v_add_nc_u32_e32 v2, v1, v30
	v_add_nc_u32_e32 v3, v2, v31
	s_delay_alu instid0(VALU_DEP_1) | instskip(NEXT) | instid1(VALU_DEP_1)
	v_add_nc_u32_e32 v4, v3, v32
	;; [unrolled: 3-line block ×7, first 2 shown]
	v_add_nc_u32_e32 v15, v14, v17
	s_delay_alu instid0(VALU_DEP_1)
	v_add_nc_u32_e32 v16, v15, v18
	s_and_saveexec_b32 s2, vcc_lo
	s_cbranch_execz .LBB119_38
; %bb.37:
	v_dual_mov_b32 v19, 0 :: v_dual_mov_b32 v18, 2
	ds_load_b32 v17, v19 offset:256
	s_waitcnt lgkmcnt(0)
	global_store_b64 v19, v[17:18], s[4:5] offset:256
.LBB119_38:
	s_or_b32 exec_lo, exec_lo, s2
.LBB119_39:
	v_lshlrev_b32_e32 v18, 6, v0
	v_or_b32_e32 v17, s8, v0
	s_and_b32 vcc_lo, exec_lo, s9
	s_mov_b32 s2, -1
	s_waitcnt lgkmcnt(0)
	s_waitcnt_vscnt null, 0x0
	s_barrier
	buffer_gl0_inv
	s_cbranch_vccz .LBB119_43
; %bb.40:
	v_add_co_u32 v19, s2, s24, v17
	s_delay_alu instid0(VALU_DEP_1) | instskip(SKIP_1) | instid1(VALU_DEP_3)
	v_add_co_ci_u32_e64 v20, null, s25, 0, s2
	v_lshl_add_u32 v25, v34, 2, v18
	v_add_co_u32 v21, vcc_lo, v19, 64
	s_delay_alu instid0(VALU_DEP_3) | instskip(SKIP_2) | instid1(VALU_DEP_3)
	v_add_co_ci_u32_e32 v22, vcc_lo, 0, v20, vcc_lo
	v_add_co_u32 v23, vcc_lo, 0x80, v19
	v_add_co_ci_u32_e32 v24, vcc_lo, 0, v20, vcc_lo
	v_cmp_eq_u64_e64 s2, s[22:23], v[21:22]
	v_add_co_u32 v21, s4, 0xc0, v19
	v_cmp_eq_u64_e64 s3, s[22:23], v[19:20]
	v_add_co_ci_u32_e64 v22, s4, 0, v20, s4
	v_cmp_eq_u64_e32 vcc_lo, s[22:23], v[23:24]
	v_add_co_u32 v23, s4, 0x100, v19
	s_delay_alu instid0(VALU_DEP_1) | instskip(NEXT) | instid1(VALU_DEP_4)
	v_add_co_ci_u32_e64 v24, s4, 0, v20, s4
	v_cmp_eq_u64_e64 s4, s[22:23], v[21:22]
	v_add_co_u32 v21, s5, 0x140, v19
	s_or_b32 s3, s3, s2
	v_add_co_ci_u32_e64 v22, s5, 0, v20, s5
	s_or_b32 s6, vcc_lo, s3
	v_cmp_eq_u64_e64 s3, s[22:23], v[23:24]
	v_add_co_u32 v23, s5, 0x180, v19
	s_delay_alu instid0(VALU_DEP_1) | instskip(SKIP_3) | instid1(VALU_DEP_1)
	v_add_co_ci_u32_e64 v24, s5, 0, v20, s5
	s_or_b32 s5, s4, s6
	v_cmp_eq_u64_e64 s6, s[22:23], v[21:22]
	v_add_co_u32 v21, s7, 0x1c0, v19
	v_add_co_ci_u32_e64 v22, s7, 0, v20, s7
	s_or_b32 s8, s3, s5
	v_cmp_eq_u64_e64 s5, s[22:23], v[23:24]
	v_add_co_u32 v23, s7, 0x200, v19
	s_delay_alu instid0(VALU_DEP_1)
	v_add_co_ci_u32_e64 v24, s7, 0, v20, s7
	s_or_b32 s7, s6, s8
	v_cmp_eq_u64_e64 s8, s[22:23], v[21:22]
	v_add_co_u32 v21, s9, 0x240, v19
	s_or_b32 s10, s5, s7
	v_cmp_eq_u64_e64 s7, s[22:23], v[23:24]
	v_add_co_ci_u32_e64 v22, s9, 0, v20, s9
	s_delay_alu instid0(VALU_DEP_4)
	s_or_b32 s9, s8, s10
	ds_store_2addr_b32 v25, v1, v2 offset1:1
	ds_store_2addr_b32 v25, v3, v4 offset0:2 offset1:3
	ds_store_2addr_b32 v25, v5, v6 offset0:4 offset1:5
	;; [unrolled: 1-line block ×7, first 2 shown]
	s_or_b32 s11, s7, s9
	v_cmp_eq_u64_e64 s9, s[22:23], v[21:22]
	v_add_co_u32 v21, s10, 0x280, v19
	s_delay_alu instid0(VALU_DEP_1) | instskip(SKIP_1) | instid1(VALU_DEP_3)
	v_add_co_ci_u32_e64 v22, s10, 0, v20, s10
	s_waitcnt lgkmcnt(0)
	s_or_b32 s12, s9, s11
	s_barrier
	s_delay_alu instid0(VALU_DEP_1) | instskip(SKIP_1) | instid1(VALU_DEP_1)
	v_cmp_eq_u64_e64 s10, s[22:23], v[21:22]
	v_add_co_u32 v21, s11, 0x2c0, v19
	v_add_co_ci_u32_e64 v22, s11, 0, v20, s11
	v_add_co_u32 v23, s11, 0x300, v19
	s_delay_alu instid0(VALU_DEP_1) | instskip(NEXT) | instid1(VALU_DEP_3)
	v_add_co_ci_u32_e64 v24, s11, 0, v20, s11
	v_cmp_eq_u64_e64 s11, s[22:23], v[21:22]
	v_add_co_u32 v21, s13, 0x340, v19
	s_delay_alu instid0(VALU_DEP_1) | instskip(SKIP_3) | instid1(VALU_DEP_1)
	v_add_co_ci_u32_e64 v22, s13, 0, v20, s13
	s_or_b32 s14, s10, s12
	v_cmp_eq_u64_e64 s12, s[22:23], v[23:24]
	v_add_co_u32 v23, s13, 0x380, v19
	v_add_co_ci_u32_e64 v24, s13, 0, v20, s13
	v_add_co_u32 v19, s13, 0x3c0, v19
	s_delay_alu instid0(VALU_DEP_1)
	v_add_co_ci_u32_e64 v20, s13, 0, v20, s13
	v_cmp_eq_u64_e64 s13, s[22:23], v[21:22]
	s_or_b32 s15, s11, s14
	v_cmp_eq_u64_e64 s14, s[22:23], v[23:24]
	s_or_b32 s16, s12, s15
	v_cmp_eq_u64_e64 s15, s[22:23], v[19:20]
	v_mov_b32_e32 v19, 0
	s_or_b32 s16, s13, s16
	buffer_gl0_inv
	s_or_b32 s16, s14, s16
	s_delay_alu instid0(SALU_CYCLE_1) | instskip(NEXT) | instid1(SALU_CYCLE_1)
	s_or_b32 s17, s15, s16
	s_and_saveexec_b32 s16, s17
	s_cbranch_execz .LBB119_42
; %bb.41:
	v_or_b32_e32 v20, 64, v0
	v_or_b32_e32 v21, 0x80, v0
	;; [unrolled: 1-line block ×3, first 2 shown]
	v_add_lshl_u32 v23, v33, v0, 2
	v_or_b32_e32 v24, 0x100, v0
	v_lshrrev_b32_e32 v20, 5, v20
	v_lshrrev_b32_e32 v21, 5, v21
	v_lshrrev_b32_e32 v22, 5, v22
	v_or_b32_e32 v26, 0x180, v0
	v_lshrrev_b32_e32 v24, 5, v24
	v_add_lshl_u32 v20, v20, v0, 2
	v_add_lshl_u32 v21, v21, v0, 2
	v_add_lshl_u32 v22, v22, v0, 2
	v_lshrrev_b32_e32 v26, 5, v26
	v_or_b32_e32 v25, 0x140, v0
	ds_load_b32 v20, v20 offset:256
	ds_load_b32 v23, v23
	ds_load_b32 v21, v21 offset:512
	ds_load_b32 v22, v22 offset:768
	v_add_lshl_u32 v24, v24, v0, 2
	v_add_lshl_u32 v26, v26, v0, 2
	v_lshrrev_b32_e32 v25, 5, v25
	v_or_b32_e32 v27, 0x1c0, v0
	v_or_b32_e32 v28, 0x200, v0
	ds_load_b32 v24, v24 offset:1024
	ds_load_b32 v26, v26 offset:1536
	v_add_lshl_u32 v25, v25, v0, 2
	v_lshrrev_b32_e32 v27, 5, v27
	v_lshrrev_b32_e32 v28, 5, v28
	ds_load_b32 v25, v25 offset:1280
	v_add_lshl_u32 v28, v28, v0, 2
	s_waitcnt lgkmcnt(5)
	v_cndmask_b32_e64 v20, v23, v20, s2
	v_add_lshl_u32 v23, v27, v0, 2
	ds_load_b32 v28, v28 offset:2048
	v_or_b32_e32 v27, 0x240, v0
	s_waitcnt lgkmcnt(5)
	v_cndmask_b32_e32 v20, v20, v21, vcc_lo
	ds_load_b32 v21, v23 offset:1792
	s_waitcnt lgkmcnt(5)
	v_cndmask_b32_e64 v20, v20, v22, s4
	v_or_b32_e32 v22, 0x2c0, v0
	s_waitcnt lgkmcnt(4)
	s_delay_alu instid0(VALU_DEP_2) | instskip(NEXT) | instid1(VALU_DEP_2)
	v_cndmask_b32_e64 v20, v20, v24, s3
	v_lshrrev_b32_e32 v22, 5, v22
	v_or_b32_e32 v24, 0x300, v0
	s_waitcnt lgkmcnt(2)
	s_delay_alu instid0(VALU_DEP_3) | instskip(NEXT) | instid1(VALU_DEP_3)
	v_cndmask_b32_e64 v20, v20, v25, s6
	v_add_lshl_u32 v22, v22, v0, 2
	s_delay_alu instid0(VALU_DEP_3) | instskip(SKIP_1) | instid1(VALU_DEP_4)
	v_lshrrev_b32_e32 v24, 5, v24
	v_or_b32_e32 v25, 0x340, v0
	v_cndmask_b32_e64 v20, v20, v26, s5
	ds_load_b32 v22, v22 offset:2816
	v_lshrrev_b32_e32 v23, 5, v27
	v_or_b32_e32 v27, 0x280, v0
	v_add_lshl_u32 v24, v24, v0, 2
	v_lshrrev_b32_e32 v25, 5, v25
	v_or_b32_e32 v26, 0x380, v0
	v_add_lshl_u32 v23, v23, v0, 2
	v_lshrrev_b32_e32 v27, 5, v27
	s_waitcnt lgkmcnt(1)
	v_cndmask_b32_e64 v20, v20, v21, s8
	ds_load_b32 v21, v24 offset:3072
	v_add_lshl_u32 v24, v25, v0, 2
	ds_load_b32 v23, v23 offset:2304
	v_add_lshl_u32 v27, v27, v0, 2
	v_lshrrev_b32_e32 v25, 5, v26
	v_or_b32_e32 v26, 0x3c0, v0
	v_cndmask_b32_e64 v20, v20, v28, s7
	ds_load_b32 v24, v24 offset:3328
	ds_load_b32 v27, v27 offset:2560
	v_add_lshl_u32 v25, v25, v0, 2
	v_lshrrev_b32_e32 v26, 5, v26
	s_waitcnt lgkmcnt(2)
	v_cndmask_b32_e64 v20, v20, v23, s9
	ds_load_b32 v23, v25 offset:3584
	v_add_lshl_u32 v25, v26, v0, 2
	s_waitcnt lgkmcnt(1)
	v_cndmask_b32_e64 v20, v20, v27, s10
	ds_load_b32 v25, v25 offset:3840
	v_cndmask_b32_e64 v20, v20, v22, s11
	s_delay_alu instid0(VALU_DEP_1) | instskip(NEXT) | instid1(VALU_DEP_1)
	v_cndmask_b32_e64 v20, v20, v21, s12
	v_cndmask_b32_e64 v20, v20, v24, s13
	s_waitcnt lgkmcnt(1)
	s_delay_alu instid0(VALU_DEP_1) | instskip(SKIP_1) | instid1(VALU_DEP_1)
	v_cndmask_b32_e64 v20, v20, v23, s14
	s_waitcnt lgkmcnt(0)
	v_cndmask_b32_e64 v20, v20, v25, s15
	global_store_b32 v19, v20, s[20:21]
.LBB119_42:
	s_or_b32 exec_lo, exec_lo, s16
	s_mov_b32 s2, 0
.LBB119_43:
	s_delay_alu instid0(SALU_CYCLE_1)
	s_and_not1_b32 vcc_lo, exec_lo, s2
	s_cbranch_vccnz .LBB119_101
; %bb.44:
	v_lshl_add_u32 v18, v34, 2, v18
	v_add_nc_u32_e32 v20, 0x1c0, v0
	v_add_nc_u32_e32 v22, 0x240, v0
	;; [unrolled: 1-line block ×4, first 2 shown]
	ds_store_2addr_b32 v18, v1, v2 offset1:1
	ds_store_2addr_b32 v18, v3, v4 offset0:2 offset1:3
	ds_store_2addr_b32 v18, v5, v6 offset0:4 offset1:5
	;; [unrolled: 1-line block ×7, first 2 shown]
	v_add_nc_u32_e32 v1, 64, v0
	v_add_nc_u32_e32 v13, 0xc0, v0
	;; [unrolled: 1-line block ×5, first 2 shown]
	v_lshrrev_b32_e32 v3, 5, v1
	v_add_nc_u32_e32 v16, 0x180, v0
	v_lshrrev_b32_e32 v4, 5, v12
	v_lshrrev_b32_e32 v6, 5, v14
	;; [unrolled: 1-line block ×3, first 2 shown]
	v_add_lshl_u32 v5, v3, v0, 2
	v_lshrrev_b32_e32 v3, 5, v13
	v_lshrrev_b32_e32 v9, 5, v20
	v_add_lshl_u32 v2, v33, v0, 2
	v_lshrrev_b32_e32 v18, 5, v22
	v_add_lshl_u32 v4, v4, v0, 2
	v_add_lshl_u32 v8, v3, v0, 2
	v_lshrrev_b32_e32 v3, 5, v16
	v_add_nc_u32_e32 v21, 0x200, v0
	v_lshrrev_b32_e32 v19, 5, v23
	v_add_lshl_u32 v6, v6, v0, 2
	v_add_lshl_u32 v7, v7, v0, 2
	;; [unrolled: 1-line block ×4, first 2 shown]
	s_waitcnt lgkmcnt(0)
	s_waitcnt_vscnt null, 0x0
	s_barrier
	buffer_gl0_inv
	ds_load_b32 v3, v2
	ds_load_b32 v2, v5 offset:256
	ds_load_b32 v4, v4 offset:512
	;; [unrolled: 1-line block ×7, first 2 shown]
	v_add_lshl_u32 v26, v18, v0, 2
	v_lshrrev_b32_e32 v10, 5, v24
	v_add_co_u32 v18, s2, s24, v17
	v_lshrrev_b32_e32 v11, 5, v21
	v_add_lshl_u32 v27, v19, v0, 2
	v_add_co_ci_u32_e64 v19, null, s25, 0, s2
	v_add_lshl_u32 v17, v10, v0, 2
	v_add_co_u32 v10, vcc_lo, v18, 64
	v_add_lshl_u32 v25, v11, v0, 2
	s_delay_alu instid0(VALU_DEP_4) | instskip(SKIP_3) | instid1(VALU_DEP_4)
	v_add_co_ci_u32_e32 v11, vcc_lo, 0, v19, vcc_lo
	v_cmp_eq_u64_e64 s2, s[22:23], v[18:19]
	v_cmp_gt_u32_e32 vcc_lo, s19, v0
	v_cmp_gt_u32_e64 s3, s19, v1
	v_cmp_eq_u64_e64 s4, s[22:23], v[10:11]
	v_add_co_u32 v10, s5, 0x80, v18
	s_delay_alu instid0(VALU_DEP_1) | instskip(SKIP_1) | instid1(VALU_DEP_3)
	v_add_co_ci_u32_e64 v11, s5, 0, v19, s5
	s_and_b32 s5, vcc_lo, s2
	s_and_b32 vcc_lo, s3, s4
	v_cmp_gt_u32_e64 s2, s19, v12
	s_delay_alu instid0(VALU_DEP_2) | instskip(SKIP_1) | instid1(VALU_DEP_1)
	v_cmp_eq_u64_e64 s3, s[22:23], v[10:11]
	v_add_co_u32 v10, s4, 0xc0, v18
	v_add_co_ci_u32_e64 v11, s4, 0, v19, s4
	s_or_b32 s6, s5, vcc_lo
	s_delay_alu instid0(VALU_DEP_3) | instskip(SKIP_1) | instid1(VALU_DEP_2)
	s_and_b32 s2, s2, s3
	v_cmp_gt_u32_e64 s3, s19, v13
	v_cmp_eq_u64_e64 s4, s[22:23], v[10:11]
	v_add_co_u32 v10, s5, 0x100, v18
	s_delay_alu instid0(VALU_DEP_1) | instskip(SKIP_1) | instid1(VALU_DEP_3)
	v_add_co_ci_u32_e64 v11, s5, 0, v19, s5
	s_or_b32 s7, s2, s6
	s_and_b32 s3, s3, s4
	v_cmp_gt_u32_e64 s4, s19, v14
	s_delay_alu instid0(VALU_DEP_2) | instskip(SKIP_1) | instid1(VALU_DEP_1)
	v_cmp_eq_u64_e64 s5, s[22:23], v[10:11]
	v_add_co_u32 v10, s6, 0x140, v18
	v_add_co_ci_u32_e64 v11, s6, 0, v19, s6
	s_or_b32 s8, s3, s7
	s_delay_alu instid0(VALU_DEP_3) | instskip(SKIP_1) | instid1(VALU_DEP_2)
	s_and_b32 s4, s4, s5
	v_cmp_gt_u32_e64 s5, s19, v15
	v_cmp_eq_u64_e64 s6, s[22:23], v[10:11]
	v_add_co_u32 v10, s7, 0x180, v18
	s_delay_alu instid0(VALU_DEP_1) | instskip(SKIP_1) | instid1(VALU_DEP_3)
	v_add_co_ci_u32_e64 v11, s7, 0, v19, s7
	s_or_b32 s9, s4, s8
	s_and_b32 s5, s5, s6
	v_cmp_gt_u32_e64 s6, s19, v16
	s_delay_alu instid0(VALU_DEP_2) | instskip(SKIP_1) | instid1(VALU_DEP_1)
	v_cmp_eq_u64_e64 s7, s[22:23], v[10:11]
	v_add_co_u32 v10, s8, 0x1c0, v18
	v_add_co_ci_u32_e64 v11, s8, 0, v19, s8
	s_or_b32 s10, s5, s9
	;; [unrolled: 15-line block ×3, first 2 shown]
	v_add_nc_u32_e32 v29, 0x340, v0
	s_delay_alu instid0(VALU_DEP_4) | instskip(NEXT) | instid1(VALU_DEP_2)
	s_and_b32 s8, s8, s9
	v_cmp_eq_u64_e64 s10, s[22:23], v[10:11]
	v_add_co_u32 v10, s11, 0x280, v18
	s_delay_alu instid0(VALU_DEP_1)
	v_add_co_ci_u32_e64 v11, s11, 0, v19, s11
	v_lshrrev_b32_e32 v12, 5, v29
	v_add_nc_u32_e32 v30, 0x380, v0
	v_cmp_gt_u32_e64 s9, s19, v22
	s_or_b32 s13, s8, s12
	v_cmp_eq_u64_e64 s11, s[22:23], v[10:11]
	v_add_co_u32 v10, s12, 0x2c0, v18
	s_delay_alu instid0(VALU_DEP_1)
	v_add_co_ci_u32_e64 v11, s12, 0, v19, s12
	v_add_nc_u32_e32 v28, 0x300, v0
	v_add_lshl_u32 v15, v12, v0, 2
	v_lshrrev_b32_e32 v12, 5, v30
	v_add_nc_u32_e32 v22, 0x3c0, v0
	s_and_b32 s9, s9, s10
	v_cmp_gt_u32_e64 s10, s19, v23
	s_or_b32 s14, s9, s13
	v_cmp_eq_u64_e64 s12, s[22:23], v[10:11]
	v_add_co_u32 v10, s13, 0x300, v18
	v_lshrrev_b32_e32 v1, 5, v28
	v_add_lshl_u32 v16, v12, v0, 2
	v_lshrrev_b32_e32 v12, 5, v22
	v_add_co_ci_u32_e64 v11, s13, 0, v19, s13
	s_and_b32 s10, s10, s11
	v_add_lshl_u32 v1, v1, v0, 2
	v_cmp_gt_u32_e64 s11, s19, v24
	s_or_b32 s15, s10, s14
	v_add_co_u32 v20, s14, 0x340, v18
	v_add_lshl_u32 v23, v12, v0, 2
	v_cmp_eq_u64_e64 s13, s[22:23], v[10:11]
	ds_load_b32 v10, v25 offset:2048
	ds_load_b32 v11, v26 offset:2304
	;; [unrolled: 1-line block ×8, first 2 shown]
	v_mov_b32_e32 v1, 0
	v_add_co_ci_u32_e64 v21, s14, 0, v19, s14
	s_and_b32 s11, s11, s12
	v_cmp_gt_u32_e64 s12, s19, v28
	s_or_b32 s16, s11, s15
	s_delay_alu instid0(VALU_DEP_2) | instskip(SKIP_1) | instid1(VALU_DEP_1)
	v_cmp_eq_u64_e64 s14, s[22:23], v[20:21]
	v_add_co_u32 v20, s15, 0x380, v18
	v_add_co_ci_u32_e64 v21, s15, 0, v19, s15
	v_add_co_u32 v18, s15, 0x3c0, v18
	s_delay_alu instid0(VALU_DEP_1)
	v_add_co_ci_u32_e64 v19, s15, 0, v19, s15
	s_and_b32 s12, s12, s13
	v_cmp_gt_u32_e64 s13, s19, v29
	v_cmp_eq_u64_e64 s15, s[22:23], v[20:21]
	s_or_b32 s24, s12, s16
	v_cmp_gt_u32_e64 s16, s19, v30
	v_cmp_eq_u64_e64 s17, s[22:23], v[18:19]
	v_cmp_gt_u32_e64 s18, s19, v22
	s_and_b32 s13, s13, s14
	s_delay_alu instid0(SALU_CYCLE_1) | instskip(SKIP_1) | instid1(VALU_DEP_1)
	s_or_b32 s22, s13, s24
	s_and_b32 s14, s16, s15
	s_and_b32 s15, s18, s17
	s_or_b32 s16, s14, s22
	s_delay_alu instid0(SALU_CYCLE_1) | instskip(NEXT) | instid1(SALU_CYCLE_1)
	s_or_b32 s17, s15, s16
	s_and_saveexec_b32 s16, s17
	s_cbranch_execz .LBB119_46
; %bb.45:
	s_waitcnt lgkmcnt(14)
	v_cndmask_b32_e32 v18, v3, v2, vcc_lo
	s_waitcnt lgkmcnt(13)
	s_delay_alu instid0(VALU_DEP_1) | instskip(SKIP_1) | instid1(VALU_DEP_1)
	v_cndmask_b32_e64 v18, v18, v4, s2
	s_waitcnt lgkmcnt(12)
	v_cndmask_b32_e64 v18, v18, v5, s3
	s_waitcnt lgkmcnt(11)
	s_delay_alu instid0(VALU_DEP_1) | instskip(SKIP_1) | instid1(VALU_DEP_1)
	v_cndmask_b32_e64 v18, v18, v6, s4
	s_waitcnt lgkmcnt(10)
	v_cndmask_b32_e64 v18, v18, v7, s5
	;; [unrolled: 5-line block ×7, first 2 shown]
	global_store_b32 v1, v18, s[20:21]
.LBB119_46:
	s_or_b32 exec_lo, exec_lo, s16
	s_load_b32 s0, s[0:1], 0x50
	s_waitcnt lgkmcnt(0)
	s_bfe_u32 s0, s0, 0x10008
	s_delay_alu instid0(SALU_CYCLE_1)
	s_cmp_eq_u32 s0, 0
	s_cbranch_scc1 .LBB119_101
; %bb.47:
	v_mov_b32_e32 v1, 0
	s_add_u32 s0, s19, -1
	s_addc_u32 s1, s26, -1
	s_delay_alu instid0(SALU_CYCLE_1)
	s_lshr_b64 s[2:3], s[0:1], 4
	s_mov_b32 s1, exec_lo
	v_cmpx_eq_u64_e64 s[2:3], v[0:1]
	s_cbranch_execz .LBB119_101
; %bb.48:
	s_and_b32 s0, s0, 15
	s_mov_b32 s1, 0
	s_delay_alu instid0(SALU_CYCLE_1) | instskip(NEXT) | instid1(VALU_DEP_1)
	v_cmp_lt_i64_e64 s2, s[0:1], 8
	s_and_b32 vcc_lo, exec_lo, s2
	s_mov_b32 s2, -1
	s_cbranch_vccnz .LBB119_75
; %bb.49:
	v_cmp_lt_i64_e64 s2, s[0:1], 12
	s_delay_alu instid0(VALU_DEP_1)
	s_and_b32 vcc_lo, exec_lo, s2
	s_mov_b32 s2, -1
	s_cbranch_vccnz .LBB119_62
; %bb.50:
	v_cmp_lt_i64_e64 s2, s[0:1], 14
	s_delay_alu instid0(VALU_DEP_1)
	s_and_b32 vcc_lo, exec_lo, s2
	s_mov_b32 s2, -1
	s_cbranch_vccnz .LBB119_56
; %bb.51:
	v_cmp_gt_i64_e64 s2, s[0:1], 14
	s_delay_alu instid0(VALU_DEP_1)
	s_and_b32 vcc_lo, exec_lo, s2
	s_mov_b32 s2, -1
	s_cbranch_vccz .LBB119_53
; %bb.52:
	v_mov_b32_e32 v0, 0
	s_mov_b32 s2, 0
	global_store_b32 v0, v17, s[30:31]
.LBB119_53:
	s_and_not1_b32 vcc_lo, exec_lo, s2
	s_cbranch_vccnz .LBB119_55
; %bb.54:
	v_mov_b32_e32 v0, 0
	global_store_b32 v0, v16, s[30:31]
.LBB119_55:
	s_mov_b32 s2, 0
.LBB119_56:
	s_delay_alu instid0(SALU_CYCLE_1)
	s_and_not1_b32 vcc_lo, exec_lo, s2
	s_cbranch_vccnz .LBB119_61
; %bb.57:
	v_cmp_gt_i64_e64 s2, s[0:1], 12
	s_delay_alu instid0(VALU_DEP_1)
	s_and_b32 vcc_lo, exec_lo, s2
	s_mov_b32 s2, -1
	s_cbranch_vccz .LBB119_59
; %bb.58:
	v_mov_b32_e32 v0, 0
	s_mov_b32 s2, 0
	global_store_b32 v0, v15, s[30:31]
.LBB119_59:
	s_and_not1_b32 vcc_lo, exec_lo, s2
	s_cbranch_vccnz .LBB119_61
; %bb.60:
	v_mov_b32_e32 v0, 0
	global_store_b32 v0, v14, s[30:31]
.LBB119_61:
	s_mov_b32 s2, 0
.LBB119_62:
	s_delay_alu instid0(SALU_CYCLE_1)
	s_and_not1_b32 vcc_lo, exec_lo, s2
	s_cbranch_vccnz .LBB119_74
; %bb.63:
	v_cmp_lt_i64_e64 s2, s[0:1], 10
	s_delay_alu instid0(VALU_DEP_1)
	s_and_b32 vcc_lo, exec_lo, s2
	s_mov_b32 s2, -1
	s_cbranch_vccnz .LBB119_69
; %bb.64:
	v_cmp_gt_i64_e64 s2, s[0:1], 10
	s_delay_alu instid0(VALU_DEP_1)
	s_and_b32 vcc_lo, exec_lo, s2
	s_mov_b32 s2, -1
	s_cbranch_vccz .LBB119_66
; %bb.65:
	v_mov_b32_e32 v0, 0
	s_mov_b32 s2, 0
	global_store_b32 v0, v13, s[30:31]
.LBB119_66:
	s_and_not1_b32 vcc_lo, exec_lo, s2
	s_cbranch_vccnz .LBB119_68
; %bb.67:
	v_mov_b32_e32 v0, 0
	global_store_b32 v0, v12, s[30:31]
.LBB119_68:
	s_mov_b32 s2, 0
.LBB119_69:
	s_delay_alu instid0(SALU_CYCLE_1)
	s_and_not1_b32 vcc_lo, exec_lo, s2
	s_cbranch_vccnz .LBB119_74
; %bb.70:
	v_cmp_gt_i64_e64 s2, s[0:1], 8
	s_delay_alu instid0(VALU_DEP_1)
	s_and_b32 vcc_lo, exec_lo, s2
	s_mov_b32 s2, -1
	s_cbranch_vccz .LBB119_72
; %bb.71:
	v_mov_b32_e32 v0, 0
	s_mov_b32 s2, 0
	global_store_b32 v0, v11, s[30:31]
.LBB119_72:
	s_and_not1_b32 vcc_lo, exec_lo, s2
	s_cbranch_vccnz .LBB119_74
; %bb.73:
	v_mov_b32_e32 v0, 0
	global_store_b32 v0, v10, s[30:31]
.LBB119_74:
	s_mov_b32 s2, 0
.LBB119_75:
	s_delay_alu instid0(SALU_CYCLE_1)
	s_and_not1_b32 vcc_lo, exec_lo, s2
	s_cbranch_vccnz .LBB119_101
; %bb.76:
	v_cmp_lt_i64_e64 s2, s[0:1], 4
	s_delay_alu instid0(VALU_DEP_1)
	s_and_b32 vcc_lo, exec_lo, s2
	s_mov_b32 s2, -1
	s_cbranch_vccnz .LBB119_89
; %bb.77:
	v_cmp_lt_i64_e64 s2, s[0:1], 6
	s_delay_alu instid0(VALU_DEP_1)
	s_and_b32 vcc_lo, exec_lo, s2
	s_mov_b32 s2, -1
	s_cbranch_vccnz .LBB119_83
; %bb.78:
	v_cmp_gt_i64_e64 s2, s[0:1], 6
	s_delay_alu instid0(VALU_DEP_1)
	s_and_b32 vcc_lo, exec_lo, s2
	s_mov_b32 s2, -1
	s_cbranch_vccz .LBB119_80
; %bb.79:
	v_mov_b32_e32 v0, 0
	s_mov_b32 s2, 0
	global_store_b32 v0, v9, s[30:31]
.LBB119_80:
	s_and_not1_b32 vcc_lo, exec_lo, s2
	s_cbranch_vccnz .LBB119_82
; %bb.81:
	v_mov_b32_e32 v0, 0
	global_store_b32 v0, v8, s[30:31]
.LBB119_82:
	s_mov_b32 s2, 0
.LBB119_83:
	s_delay_alu instid0(SALU_CYCLE_1)
	s_and_not1_b32 vcc_lo, exec_lo, s2
	s_cbranch_vccnz .LBB119_88
; %bb.84:
	v_cmp_gt_i64_e64 s2, s[0:1], 4
	s_delay_alu instid0(VALU_DEP_1)
	s_and_b32 vcc_lo, exec_lo, s2
	s_mov_b32 s2, -1
	s_cbranch_vccz .LBB119_86
; %bb.85:
	v_mov_b32_e32 v0, 0
	s_mov_b32 s2, 0
	global_store_b32 v0, v7, s[30:31]
.LBB119_86:
	s_and_not1_b32 vcc_lo, exec_lo, s2
	s_cbranch_vccnz .LBB119_88
; %bb.87:
	v_mov_b32_e32 v0, 0
	global_store_b32 v0, v6, s[30:31]
.LBB119_88:
	s_mov_b32 s2, 0
.LBB119_89:
	s_delay_alu instid0(SALU_CYCLE_1)
	s_and_not1_b32 vcc_lo, exec_lo, s2
	s_cbranch_vccnz .LBB119_101
; %bb.90:
	v_cmp_lt_i64_e64 s2, s[0:1], 2
	s_delay_alu instid0(VALU_DEP_1)
	s_and_b32 vcc_lo, exec_lo, s2
	s_mov_b32 s2, -1
	s_cbranch_vccnz .LBB119_96
; %bb.91:
	v_cmp_gt_i64_e64 s2, s[0:1], 2
	s_delay_alu instid0(VALU_DEP_1)
	s_and_b32 vcc_lo, exec_lo, s2
	s_mov_b32 s2, -1
	s_cbranch_vccz .LBB119_93
; %bb.92:
	v_mov_b32_e32 v0, 0
	s_mov_b32 s2, 0
	global_store_b32 v0, v5, s[30:31]
.LBB119_93:
	s_and_not1_b32 vcc_lo, exec_lo, s2
	s_cbranch_vccnz .LBB119_95
; %bb.94:
	v_mov_b32_e32 v0, 0
	global_store_b32 v0, v4, s[30:31]
.LBB119_95:
	s_mov_b32 s2, 0
.LBB119_96:
	s_delay_alu instid0(SALU_CYCLE_1)
	s_and_not1_b32 vcc_lo, exec_lo, s2
	s_cbranch_vccnz .LBB119_101
; %bb.97:
	s_cmp_eq_u64 s[0:1], 1
	s_mov_b32 s0, -1
	s_cbranch_scc1 .LBB119_99
; %bb.98:
	v_mov_b32_e32 v0, 0
	s_mov_b32 s0, 0
	global_store_b32 v0, v3, s[30:31]
.LBB119_99:
	s_and_not1_b32 vcc_lo, exec_lo, s0
	s_cbranch_vccnz .LBB119_101
; %bb.100:
	v_mov_b32_e32 v0, 0
	global_store_b32 v0, v2, s[30:31]
.LBB119_101:
	s_nop 0
	s_sendmsg sendmsg(MSG_DEALLOC_VGPRS)
	s_endpgm
	.section	.rodata,"a",@progbits
	.p2align	6, 0x0
	.amdhsa_kernel _ZN7rocprim6detail20lookback_scan_kernelILNS0_25lookback_scan_determinismE0ELb0ENS0_19wrapped_scan_configINS_14default_configEjEEN6hipcub21CountingInputIteratorIjlEEN10test_utils21single_index_iteratorIjEENS6_3SumEjjNS0_19lookback_scan_stateIjLb0ELb1EEEEEvT2_T3_mT5_T4_T7_jPT6_SL_bb
		.amdhsa_group_segment_fixed_size 4224
		.amdhsa_private_segment_fixed_size 0
		.amdhsa_kernarg_size 84
		.amdhsa_user_sgpr_count 15
		.amdhsa_user_sgpr_dispatch_ptr 0
		.amdhsa_user_sgpr_queue_ptr 0
		.amdhsa_user_sgpr_kernarg_segment_ptr 1
		.amdhsa_user_sgpr_dispatch_id 0
		.amdhsa_user_sgpr_private_segment_size 0
		.amdhsa_wavefront_size32 1
		.amdhsa_uses_dynamic_stack 0
		.amdhsa_enable_private_segment 0
		.amdhsa_system_sgpr_workgroup_id_x 1
		.amdhsa_system_sgpr_workgroup_id_y 0
		.amdhsa_system_sgpr_workgroup_id_z 0
		.amdhsa_system_sgpr_workgroup_info 0
		.amdhsa_system_vgpr_workitem_id 0
		.amdhsa_next_free_vgpr 40
		.amdhsa_next_free_sgpr 32
		.amdhsa_reserve_vcc 1
		.amdhsa_float_round_mode_32 0
		.amdhsa_float_round_mode_16_64 0
		.amdhsa_float_denorm_mode_32 3
		.amdhsa_float_denorm_mode_16_64 3
		.amdhsa_dx10_clamp 1
		.amdhsa_ieee_mode 1
		.amdhsa_fp16_overflow 0
		.amdhsa_workgroup_processor_mode 1
		.amdhsa_memory_ordered 1
		.amdhsa_forward_progress 0
		.amdhsa_shared_vgpr_count 0
		.amdhsa_exception_fp_ieee_invalid_op 0
		.amdhsa_exception_fp_denorm_src 0
		.amdhsa_exception_fp_ieee_div_zero 0
		.amdhsa_exception_fp_ieee_overflow 0
		.amdhsa_exception_fp_ieee_underflow 0
		.amdhsa_exception_fp_ieee_inexact 0
		.amdhsa_exception_int_div_zero 0
	.end_amdhsa_kernel
	.section	.text._ZN7rocprim6detail20lookback_scan_kernelILNS0_25lookback_scan_determinismE0ELb0ENS0_19wrapped_scan_configINS_14default_configEjEEN6hipcub21CountingInputIteratorIjlEEN10test_utils21single_index_iteratorIjEENS6_3SumEjjNS0_19lookback_scan_stateIjLb0ELb1EEEEEvT2_T3_mT5_T4_T7_jPT6_SL_bb,"axG",@progbits,_ZN7rocprim6detail20lookback_scan_kernelILNS0_25lookback_scan_determinismE0ELb0ENS0_19wrapped_scan_configINS_14default_configEjEEN6hipcub21CountingInputIteratorIjlEEN10test_utils21single_index_iteratorIjEENS6_3SumEjjNS0_19lookback_scan_stateIjLb0ELb1EEEEEvT2_T3_mT5_T4_T7_jPT6_SL_bb,comdat
.Lfunc_end119:
	.size	_ZN7rocprim6detail20lookback_scan_kernelILNS0_25lookback_scan_determinismE0ELb0ENS0_19wrapped_scan_configINS_14default_configEjEEN6hipcub21CountingInputIteratorIjlEEN10test_utils21single_index_iteratorIjEENS6_3SumEjjNS0_19lookback_scan_stateIjLb0ELb1EEEEEvT2_T3_mT5_T4_T7_jPT6_SL_bb, .Lfunc_end119-_ZN7rocprim6detail20lookback_scan_kernelILNS0_25lookback_scan_determinismE0ELb0ENS0_19wrapped_scan_configINS_14default_configEjEEN6hipcub21CountingInputIteratorIjlEEN10test_utils21single_index_iteratorIjEENS6_3SumEjjNS0_19lookback_scan_stateIjLb0ELb1EEEEEvT2_T3_mT5_T4_T7_jPT6_SL_bb
                                        ; -- End function
	.section	.AMDGPU.csdata,"",@progbits
; Kernel info:
; codeLenInByte = 7376
; NumSgprs: 34
; NumVgprs: 40
; ScratchSize: 0
; MemoryBound: 0
; FloatMode: 240
; IeeeMode: 1
; LDSByteSize: 4224 bytes/workgroup (compile time only)
; SGPRBlocks: 4
; VGPRBlocks: 4
; NumSGPRsForWavesPerEU: 34
; NumVGPRsForWavesPerEU: 40
; Occupancy: 16
; WaveLimiterHint : 0
; COMPUTE_PGM_RSRC2:SCRATCH_EN: 0
; COMPUTE_PGM_RSRC2:USER_SGPR: 15
; COMPUTE_PGM_RSRC2:TRAP_HANDLER: 0
; COMPUTE_PGM_RSRC2:TGID_X_EN: 1
; COMPUTE_PGM_RSRC2:TGID_Y_EN: 0
; COMPUTE_PGM_RSRC2:TGID_Z_EN: 0
; COMPUTE_PGM_RSRC2:TIDIG_COMP_CNT: 0
	.section	.text._ZN7rocprim6detail16transform_kernelINS0_24wrapped_transform_configINS_14default_configEjEEjPjS5_NS_8identityIjEEEEvT1_mT2_T3_,"axG",@progbits,_ZN7rocprim6detail16transform_kernelINS0_24wrapped_transform_configINS_14default_configEjEEjPjS5_NS_8identityIjEEEEvT1_mT2_T3_,comdat
	.protected	_ZN7rocprim6detail16transform_kernelINS0_24wrapped_transform_configINS_14default_configEjEEjPjS5_NS_8identityIjEEEEvT1_mT2_T3_ ; -- Begin function _ZN7rocprim6detail16transform_kernelINS0_24wrapped_transform_configINS_14default_configEjEEjPjS5_NS_8identityIjEEEEvT1_mT2_T3_
	.globl	_ZN7rocprim6detail16transform_kernelINS0_24wrapped_transform_configINS_14default_configEjEEjPjS5_NS_8identityIjEEEEvT1_mT2_T3_
	.p2align	8
	.type	_ZN7rocprim6detail16transform_kernelINS0_24wrapped_transform_configINS_14default_configEjEEjPjS5_NS_8identityIjEEEEvT1_mT2_T3_,@function
_ZN7rocprim6detail16transform_kernelINS0_24wrapped_transform_configINS_14default_configEjEEjPjS5_NS_8identityIjEEEEvT1_mT2_T3_: ; @_ZN7rocprim6detail16transform_kernelINS0_24wrapped_transform_configINS_14default_configEjEEjPjS5_NS_8identityIjEEEEvT1_mT2_T3_
; %bb.0:
	s_clause 0x2
	s_load_b32 s2, s[0:1], 0x20
	s_load_b128 s[4:7], s[0:1], 0x0
	s_load_b64 s[16:17], s[0:1], 0x10
	s_mov_b32 s21, 0
	s_lshl_b32 s20, s15, 12
	v_lshlrev_b32_e32 v3, 2, v0
	s_lshl_b64 s[18:19], s[20:21], 2
	s_waitcnt lgkmcnt(0)
	s_add_i32 s2, s2, -1
	s_add_u32 s0, s4, s18
	s_addc_u32 s1, s5, s19
	v_add_co_u32 v1, s0, s0, v3
	s_delay_alu instid0(VALU_DEP_1)
	v_add_co_ci_u32_e64 v2, null, s1, 0, s0
	s_cmp_lg_u32 s15, s2
	s_mov_b32 s0, -1
	s_cbranch_scc0 .LBB120_2
; %bb.1:
	v_add_co_u32 v4, vcc_lo, 0x1000, v1
	v_add_co_ci_u32_e32 v5, vcc_lo, 0, v2, vcc_lo
	v_add_co_u32 v6, vcc_lo, v1, 0x2000
	v_add_co_ci_u32_e32 v7, vcc_lo, 0, v2, vcc_lo
	;; [unrolled: 2-line block ×3, first 2 shown]
	v_add_co_u32 v10, vcc_lo, 0x3000, v1
	global_load_b32 v13, v[6:7], off
	v_add_co_ci_u32_e32 v11, vcc_lo, 0, v2, vcc_lo
	s_clause 0xe
	global_load_b32 v14, v[1:2], off
	global_load_b32 v15, v[1:2], off offset:1024
	global_load_b32 v16, v[1:2], off offset:2048
	;; [unrolled: 1-line block ×9, first 2 shown]
	global_load_b32 v24, v[10:11], off
	global_load_b32 v25, v[10:11], off offset:1024
	global_load_b32 v26, v[6:7], off offset:-4096
	global_load_b32 v27, v[10:11], off offset:2048
	global_load_b32 v4, v[10:11], off offset:3072
	s_add_u32 s2, s16, s18
	s_addc_u32 s3, s17, s19
	v_add_co_u32 v11, s1, s2, v3
	s_delay_alu instid0(VALU_DEP_1) | instskip(NEXT) | instid1(VALU_DEP_2)
	v_add_co_ci_u32_e64 v12, null, s3, 0, s1
	v_add_co_u32 v5, vcc_lo, 0x1000, v11
	s_delay_alu instid0(VALU_DEP_2)
	v_add_co_ci_u32_e32 v6, vcc_lo, 0, v12, vcc_lo
	v_add_co_u32 v7, vcc_lo, v11, 0x2000
	v_add_co_ci_u32_e32 v8, vcc_lo, 0, v12, vcc_lo
	v_add_co_u32 v9, vcc_lo, 0x2000, v11
	;; [unrolled: 2-line block ×3, first 2 shown]
	s_mov_b32 s21, -1
	v_add_co_ci_u32_e32 v12, vcc_lo, 0, v12, vcc_lo
	s_waitcnt vmcnt(15)
	global_store_b32 v[7:8], v13, off
	s_waitcnt vmcnt(14)
	global_store_b32 v3, v14, s[2:3]
	s_waitcnt vmcnt(13)
	global_store_b32 v3, v15, s[2:3] offset:1024
	s_waitcnt vmcnt(12)
	global_store_b32 v3, v16, s[2:3] offset:2048
	;; [unrolled: 2-line block ×3, first 2 shown]
	s_waitcnt vmcnt(10)
	global_store_b32 v[5:6], v18, off offset:1024
	s_waitcnt vmcnt(9)
	global_store_b32 v[5:6], v19, off offset:2048
	;; [unrolled: 2-line block ×6, first 2 shown]
	s_waitcnt vmcnt(4)
	global_store_b32 v[11:12], v24, off
	s_waitcnt vmcnt(3)
	global_store_b32 v[11:12], v25, off offset:1024
	s_waitcnt vmcnt(2)
	global_store_b32 v[7:8], v26, off offset:-4096
	s_waitcnt vmcnt(1)
	global_store_b32 v[11:12], v27, off offset:2048
	s_cbranch_execz .LBB120_3
	s_branch .LBB120_52
.LBB120_2:
                                        ; implicit-def: $vgpr4
	s_and_not1_b32 vcc_lo, exec_lo, s0
	s_cbranch_vccnz .LBB120_52
.LBB120_3:
	s_sub_i32 s15, s6, s20
                                        ; implicit-def: $vgpr5
	s_delay_alu instid0(SALU_CYCLE_1)
	v_cmp_gt_u32_e32 vcc_lo, s15, v0
	s_and_saveexec_b32 s0, vcc_lo
	s_cbranch_execz .LBB120_5
; %bb.4:
	global_load_b32 v5, v[1:2], off
.LBB120_5:
	s_or_b32 exec_lo, exec_lo, s0
	s_waitcnt vmcnt(0)
	v_or_b32_e32 v4, 0x100, v0
                                        ; implicit-def: $vgpr6
	s_delay_alu instid0(VALU_DEP_1) | instskip(NEXT) | instid1(VALU_DEP_1)
	v_cmp_gt_u32_e64 s0, s15, v4
	s_and_saveexec_b32 s1, s0
	s_cbranch_execz .LBB120_7
; %bb.6:
	global_load_b32 v6, v[1:2], off offset:1024
.LBB120_7:
	s_or_b32 exec_lo, exec_lo, s1
	v_or_b32_e32 v4, 0x200, v0
                                        ; implicit-def: $vgpr7
	s_delay_alu instid0(VALU_DEP_1) | instskip(NEXT) | instid1(VALU_DEP_1)
	v_cmp_gt_u32_e64 s1, s15, v4
	s_and_saveexec_b32 s2, s1
	s_cbranch_execz .LBB120_9
; %bb.8:
	global_load_b32 v7, v[1:2], off offset:2048
.LBB120_9:
	s_or_b32 exec_lo, exec_lo, s2
	v_or_b32_e32 v4, 0x300, v0
                                        ; implicit-def: $vgpr8
	s_delay_alu instid0(VALU_DEP_1) | instskip(NEXT) | instid1(VALU_DEP_1)
	v_cmp_gt_u32_e64 s2, s15, v4
	s_and_saveexec_b32 s3, s2
	s_cbranch_execz .LBB120_11
; %bb.10:
	global_load_b32 v8, v[1:2], off offset:3072
.LBB120_11:
	s_or_b32 exec_lo, exec_lo, s3
	v_or_b32_e32 v4, 0x400, v0
                                        ; implicit-def: $vgpr9
	s_delay_alu instid0(VALU_DEP_1) | instskip(NEXT) | instid1(VALU_DEP_1)
	v_cmp_gt_u32_e64 s3, s15, v4
	s_and_saveexec_b32 s5, s3
	s_cbranch_execz .LBB120_13
; %bb.12:
	v_add_co_u32 v9, s4, 0x1000, v1
	s_delay_alu instid0(VALU_DEP_1)
	v_add_co_ci_u32_e64 v10, s4, 0, v2, s4
	global_load_b32 v9, v[9:10], off
.LBB120_13:
	s_or_b32 exec_lo, exec_lo, s5
	v_or_b32_e32 v4, 0x500, v0
                                        ; implicit-def: $vgpr10
	s_delay_alu instid0(VALU_DEP_1) | instskip(NEXT) | instid1(VALU_DEP_1)
	v_cmp_gt_u32_e64 s4, s15, v4
	s_and_saveexec_b32 s6, s4
	s_cbranch_execz .LBB120_15
; %bb.14:
	v_add_co_u32 v10, s5, 0x1000, v1
	s_delay_alu instid0(VALU_DEP_1)
	v_add_co_ci_u32_e64 v11, s5, 0, v2, s5
	global_load_b32 v10, v[10:11], off offset:1024
.LBB120_15:
	s_or_b32 exec_lo, exec_lo, s6
	v_or_b32_e32 v4, 0x600, v0
                                        ; implicit-def: $vgpr11
	s_delay_alu instid0(VALU_DEP_1) | instskip(NEXT) | instid1(VALU_DEP_1)
	v_cmp_gt_u32_e64 s5, s15, v4
	s_and_saveexec_b32 s7, s5
	s_cbranch_execz .LBB120_17
; %bb.16:
	v_add_co_u32 v11, s6, 0x1000, v1
	s_delay_alu instid0(VALU_DEP_1)
	v_add_co_ci_u32_e64 v12, s6, 0, v2, s6
	global_load_b32 v11, v[11:12], off offset:2048
.LBB120_17:
	s_or_b32 exec_lo, exec_lo, s7
	v_or_b32_e32 v4, 0x700, v0
                                        ; implicit-def: $vgpr12
	s_delay_alu instid0(VALU_DEP_1) | instskip(NEXT) | instid1(VALU_DEP_1)
	v_cmp_gt_u32_e64 s6, s15, v4
	s_and_saveexec_b32 s8, s6
	s_cbranch_execz .LBB120_19
; %bb.18:
	v_add_co_u32 v12, s7, 0x1000, v1
	s_delay_alu instid0(VALU_DEP_1)
	v_add_co_ci_u32_e64 v13, s7, 0, v2, s7
	global_load_b32 v12, v[12:13], off offset:3072
.LBB120_19:
	s_or_b32 exec_lo, exec_lo, s8
	v_or_b32_e32 v4, 0x800, v0
                                        ; implicit-def: $vgpr13
	s_delay_alu instid0(VALU_DEP_1) | instskip(NEXT) | instid1(VALU_DEP_1)
	v_cmp_gt_u32_e64 s7, s15, v4
	s_and_saveexec_b32 s9, s7
	s_cbranch_execz .LBB120_21
; %bb.20:
	v_add_co_u32 v13, s8, 0x2000, v1
	s_delay_alu instid0(VALU_DEP_1)
	v_add_co_ci_u32_e64 v14, s8, 0, v2, s8
	global_load_b32 v13, v[13:14], off
.LBB120_21:
	s_or_b32 exec_lo, exec_lo, s9
	v_or_b32_e32 v4, 0x900, v0
                                        ; implicit-def: $vgpr14
	s_delay_alu instid0(VALU_DEP_1) | instskip(NEXT) | instid1(VALU_DEP_1)
	v_cmp_gt_u32_e64 s8, s15, v4
	s_and_saveexec_b32 s10, s8
	s_cbranch_execz .LBB120_23
; %bb.22:
	v_add_co_u32 v14, s9, 0x2000, v1
	s_delay_alu instid0(VALU_DEP_1)
	v_add_co_ci_u32_e64 v15, s9, 0, v2, s9
	global_load_b32 v14, v[14:15], off offset:1024
.LBB120_23:
	s_or_b32 exec_lo, exec_lo, s10
	v_or_b32_e32 v4, 0xa00, v0
                                        ; implicit-def: $vgpr15
	s_delay_alu instid0(VALU_DEP_1) | instskip(NEXT) | instid1(VALU_DEP_1)
	v_cmp_gt_u32_e64 s9, s15, v4
	s_and_saveexec_b32 s11, s9
	s_cbranch_execz .LBB120_25
; %bb.24:
	v_add_co_u32 v15, s10, 0x2000, v1
	s_delay_alu instid0(VALU_DEP_1)
	v_add_co_ci_u32_e64 v16, s10, 0, v2, s10
	global_load_b32 v15, v[15:16], off offset:2048
.LBB120_25:
	s_or_b32 exec_lo, exec_lo, s11
	v_or_b32_e32 v4, 0xb00, v0
                                        ; implicit-def: $vgpr16
	s_delay_alu instid0(VALU_DEP_1) | instskip(NEXT) | instid1(VALU_DEP_1)
	v_cmp_gt_u32_e64 s10, s15, v4
	s_and_saveexec_b32 s12, s10
	s_cbranch_execz .LBB120_27
; %bb.26:
	v_add_co_u32 v16, s11, 0x2000, v1
	s_delay_alu instid0(VALU_DEP_1)
	v_add_co_ci_u32_e64 v17, s11, 0, v2, s11
	global_load_b32 v16, v[16:17], off offset:3072
.LBB120_27:
	s_or_b32 exec_lo, exec_lo, s12
	v_or_b32_e32 v4, 0xc00, v0
                                        ; implicit-def: $vgpr17
	s_delay_alu instid0(VALU_DEP_1) | instskip(NEXT) | instid1(VALU_DEP_1)
	v_cmp_gt_u32_e64 s11, s15, v4
	s_and_saveexec_b32 s13, s11
	s_cbranch_execz .LBB120_29
; %bb.28:
	v_add_co_u32 v17, s12, 0x3000, v1
	s_delay_alu instid0(VALU_DEP_1)
	v_add_co_ci_u32_e64 v18, s12, 0, v2, s12
	global_load_b32 v17, v[17:18], off
.LBB120_29:
	s_or_b32 exec_lo, exec_lo, s13
	v_or_b32_e32 v4, 0xd00, v0
                                        ; implicit-def: $vgpr18
	s_delay_alu instid0(VALU_DEP_1) | instskip(NEXT) | instid1(VALU_DEP_1)
	v_cmp_gt_u32_e64 s12, s15, v4
	s_and_saveexec_b32 s14, s12
	s_cbranch_execz .LBB120_31
; %bb.30:
	v_add_co_u32 v18, s13, 0x3000, v1
	s_delay_alu instid0(VALU_DEP_1)
	v_add_co_ci_u32_e64 v19, s13, 0, v2, s13
	global_load_b32 v18, v[18:19], off offset:1024
.LBB120_31:
	s_or_b32 exec_lo, exec_lo, s14
	v_or_b32_e32 v4, 0xe00, v0
                                        ; implicit-def: $vgpr19
	s_delay_alu instid0(VALU_DEP_1) | instskip(NEXT) | instid1(VALU_DEP_1)
	v_cmp_gt_u32_e64 s13, s15, v4
	s_and_saveexec_b32 s20, s13
	s_cbranch_execz .LBB120_33
; %bb.32:
	v_add_co_u32 v19, s14, 0x3000, v1
	s_delay_alu instid0(VALU_DEP_1)
	v_add_co_ci_u32_e64 v20, s14, 0, v2, s14
	global_load_b32 v19, v[19:20], off offset:2048
.LBB120_33:
	s_or_b32 exec_lo, exec_lo, s20
	v_or_b32_e32 v0, 0xf00, v0
                                        ; implicit-def: $vgpr4
	s_delay_alu instid0(VALU_DEP_1) | instskip(NEXT) | instid1(VALU_DEP_1)
	v_cmp_gt_u32_e64 s21, s15, v0
	s_and_saveexec_b32 s15, s21
	s_cbranch_execz .LBB120_35
; %bb.34:
	v_add_co_u32 v0, s14, 0x3000, v1
	s_delay_alu instid0(VALU_DEP_1)
	v_add_co_ci_u32_e64 v1, s14, 0, v2, s14
	global_load_b32 v4, v[0:1], off offset:3072
.LBB120_35:
	s_or_b32 exec_lo, exec_lo, s15
	s_add_u32 s14, s16, s18
	s_addc_u32 s15, s17, s19
	v_add_co_u32 v0, s14, s14, v3
	s_delay_alu instid0(VALU_DEP_1) | instskip(SKIP_1) | instid1(SALU_CYCLE_1)
	v_add_co_ci_u32_e64 v1, null, s15, 0, s14
	s_and_saveexec_b32 s14, vcc_lo
	s_xor_b32 s14, exec_lo, s14
	s_cbranch_execnz .LBB120_55
; %bb.36:
	s_or_b32 exec_lo, exec_lo, s14
	s_and_saveexec_b32 s14, s0
	s_cbranch_execnz .LBB120_56
.LBB120_37:
	s_or_b32 exec_lo, exec_lo, s14
	s_and_saveexec_b32 s0, s1
	s_cbranch_execnz .LBB120_57
.LBB120_38:
	s_or_b32 exec_lo, exec_lo, s0
	s_and_saveexec_b32 s0, s2
	s_cbranch_execnz .LBB120_58
.LBB120_39:
	s_or_b32 exec_lo, exec_lo, s0
	s_and_saveexec_b32 s0, s3
	s_cbranch_execnz .LBB120_59
.LBB120_40:
	s_or_b32 exec_lo, exec_lo, s0
	s_and_saveexec_b32 s0, s4
	s_cbranch_execnz .LBB120_60
.LBB120_41:
	s_or_b32 exec_lo, exec_lo, s0
	s_and_saveexec_b32 s0, s5
	s_cbranch_execnz .LBB120_61
.LBB120_42:
	s_or_b32 exec_lo, exec_lo, s0
	s_and_saveexec_b32 s0, s6
	s_cbranch_execnz .LBB120_62
.LBB120_43:
	s_or_b32 exec_lo, exec_lo, s0
	s_and_saveexec_b32 s0, s7
	s_cbranch_execnz .LBB120_63
.LBB120_44:
	s_or_b32 exec_lo, exec_lo, s0
	s_and_saveexec_b32 s0, s8
	s_cbranch_execnz .LBB120_64
.LBB120_45:
	s_or_b32 exec_lo, exec_lo, s0
	s_and_saveexec_b32 s0, s9
	s_cbranch_execnz .LBB120_65
.LBB120_46:
	s_or_b32 exec_lo, exec_lo, s0
	s_and_saveexec_b32 s0, s10
	s_cbranch_execnz .LBB120_66
.LBB120_47:
	s_or_b32 exec_lo, exec_lo, s0
	s_and_saveexec_b32 s0, s11
	s_cbranch_execnz .LBB120_67
.LBB120_48:
	s_or_b32 exec_lo, exec_lo, s0
	s_and_saveexec_b32 s0, s12
	s_cbranch_execnz .LBB120_68
.LBB120_49:
	s_or_b32 exec_lo, exec_lo, s0
	s_and_saveexec_b32 s0, s13
	s_cbranch_execz .LBB120_51
.LBB120_50:
	v_add_co_u32 v0, vcc_lo, 0x3000, v0
	v_add_co_ci_u32_e32 v1, vcc_lo, 0, v1, vcc_lo
	s_waitcnt vmcnt(0)
	global_store_b32 v[0:1], v19, off offset:2048
.LBB120_51:
	s_or_b32 exec_lo, exec_lo, s0
.LBB120_52:
	s_and_saveexec_b32 s0, s21
	s_cbranch_execnz .LBB120_54
; %bb.53:
	s_nop 0
	s_sendmsg sendmsg(MSG_DEALLOC_VGPRS)
	s_endpgm
.LBB120_54:
	s_add_u32 s0, s16, s18
	s_addc_u32 s1, s17, s19
	v_add_co_u32 v0, s0, s0, v3
	s_delay_alu instid0(VALU_DEP_1) | instskip(NEXT) | instid1(VALU_DEP_2)
	v_add_co_ci_u32_e64 v1, null, s1, 0, s0
	v_add_co_u32 v0, vcc_lo, 0x3000, v0
	s_delay_alu instid0(VALU_DEP_2)
	v_add_co_ci_u32_e32 v1, vcc_lo, 0, v1, vcc_lo
	s_waitcnt vmcnt(0)
	global_store_b32 v[0:1], v4, off offset:3072
	s_nop 0
	s_sendmsg sendmsg(MSG_DEALLOC_VGPRS)
	s_endpgm
.LBB120_55:
	global_store_b32 v[0:1], v5, off
	s_or_b32 exec_lo, exec_lo, s14
	s_and_saveexec_b32 s14, s0
	s_cbranch_execz .LBB120_37
.LBB120_56:
	s_waitcnt vmcnt(0)
	global_store_b32 v[0:1], v6, off offset:1024
	s_or_b32 exec_lo, exec_lo, s14
	s_and_saveexec_b32 s0, s1
	s_cbranch_execz .LBB120_38
.LBB120_57:
	s_waitcnt vmcnt(0)
	global_store_b32 v[0:1], v7, off offset:2048
	s_or_b32 exec_lo, exec_lo, s0
	s_and_saveexec_b32 s0, s2
	s_cbranch_execz .LBB120_39
.LBB120_58:
	s_waitcnt vmcnt(0)
	global_store_b32 v[0:1], v8, off offset:3072
	s_or_b32 exec_lo, exec_lo, s0
	s_and_saveexec_b32 s0, s3
	s_cbranch_execz .LBB120_40
.LBB120_59:
	v_add_co_u32 v5, vcc_lo, 0x1000, v0
	s_waitcnt vmcnt(0)
	v_add_co_ci_u32_e32 v6, vcc_lo, 0, v1, vcc_lo
	global_store_b32 v[5:6], v9, off
	s_or_b32 exec_lo, exec_lo, s0
	s_and_saveexec_b32 s0, s4
	s_cbranch_execz .LBB120_41
.LBB120_60:
	v_add_co_u32 v5, vcc_lo, 0x1000, v0
	s_waitcnt vmcnt(0)
	v_add_co_ci_u32_e32 v6, vcc_lo, 0, v1, vcc_lo
	global_store_b32 v[5:6], v10, off offset:1024
	s_or_b32 exec_lo, exec_lo, s0
	s_and_saveexec_b32 s0, s5
	s_cbranch_execz .LBB120_42
.LBB120_61:
	v_add_co_u32 v5, vcc_lo, 0x1000, v0
	s_waitcnt vmcnt(0)
	v_add_co_ci_u32_e32 v6, vcc_lo, 0, v1, vcc_lo
	global_store_b32 v[5:6], v11, off offset:2048
	s_or_b32 exec_lo, exec_lo, s0
	s_and_saveexec_b32 s0, s6
	s_cbranch_execz .LBB120_43
.LBB120_62:
	v_add_co_u32 v5, vcc_lo, 0x1000, v0
	s_waitcnt vmcnt(0)
	v_add_co_ci_u32_e32 v6, vcc_lo, 0, v1, vcc_lo
	global_store_b32 v[5:6], v12, off offset:3072
	s_or_b32 exec_lo, exec_lo, s0
	s_and_saveexec_b32 s0, s7
	s_cbranch_execz .LBB120_44
.LBB120_63:
	v_add_co_u32 v5, vcc_lo, 0x2000, v0
	s_waitcnt vmcnt(0)
	v_add_co_ci_u32_e32 v6, vcc_lo, 0, v1, vcc_lo
	global_store_b32 v[5:6], v13, off
	s_or_b32 exec_lo, exec_lo, s0
	s_and_saveexec_b32 s0, s8
	s_cbranch_execz .LBB120_45
.LBB120_64:
	v_add_co_u32 v5, vcc_lo, 0x2000, v0
	s_waitcnt vmcnt(0)
	v_add_co_ci_u32_e32 v6, vcc_lo, 0, v1, vcc_lo
	global_store_b32 v[5:6], v14, off offset:1024
	s_or_b32 exec_lo, exec_lo, s0
	s_and_saveexec_b32 s0, s9
	s_cbranch_execz .LBB120_46
.LBB120_65:
	v_add_co_u32 v5, vcc_lo, 0x2000, v0
	s_waitcnt vmcnt(0)
	v_add_co_ci_u32_e32 v6, vcc_lo, 0, v1, vcc_lo
	global_store_b32 v[5:6], v15, off offset:2048
	s_or_b32 exec_lo, exec_lo, s0
	s_and_saveexec_b32 s0, s10
	s_cbranch_execz .LBB120_47
.LBB120_66:
	v_add_co_u32 v5, vcc_lo, 0x2000, v0
	s_waitcnt vmcnt(0)
	v_add_co_ci_u32_e32 v6, vcc_lo, 0, v1, vcc_lo
	global_store_b32 v[5:6], v16, off offset:3072
	s_or_b32 exec_lo, exec_lo, s0
	s_and_saveexec_b32 s0, s11
	s_cbranch_execz .LBB120_48
.LBB120_67:
	v_add_co_u32 v5, vcc_lo, 0x3000, v0
	s_waitcnt vmcnt(0)
	v_add_co_ci_u32_e32 v6, vcc_lo, 0, v1, vcc_lo
	global_store_b32 v[5:6], v17, off
	s_or_b32 exec_lo, exec_lo, s0
	s_and_saveexec_b32 s0, s12
	s_cbranch_execz .LBB120_49
.LBB120_68:
	v_add_co_u32 v5, vcc_lo, 0x3000, v0
	s_waitcnt vmcnt(0)
	v_add_co_ci_u32_e32 v6, vcc_lo, 0, v1, vcc_lo
	global_store_b32 v[5:6], v18, off offset:1024
	s_or_b32 exec_lo, exec_lo, s0
	s_and_saveexec_b32 s0, s13
	s_cbranch_execnz .LBB120_50
	s_branch .LBB120_51
	.section	.rodata,"a",@progbits
	.p2align	6, 0x0
	.amdhsa_kernel _ZN7rocprim6detail16transform_kernelINS0_24wrapped_transform_configINS_14default_configEjEEjPjS5_NS_8identityIjEEEEvT1_mT2_T3_
		.amdhsa_group_segment_fixed_size 0
		.amdhsa_private_segment_fixed_size 0
		.amdhsa_kernarg_size 288
		.amdhsa_user_sgpr_count 15
		.amdhsa_user_sgpr_dispatch_ptr 0
		.amdhsa_user_sgpr_queue_ptr 0
		.amdhsa_user_sgpr_kernarg_segment_ptr 1
		.amdhsa_user_sgpr_dispatch_id 0
		.amdhsa_user_sgpr_private_segment_size 0
		.amdhsa_wavefront_size32 1
		.amdhsa_uses_dynamic_stack 0
		.amdhsa_enable_private_segment 0
		.amdhsa_system_sgpr_workgroup_id_x 1
		.amdhsa_system_sgpr_workgroup_id_y 0
		.amdhsa_system_sgpr_workgroup_id_z 0
		.amdhsa_system_sgpr_workgroup_info 0
		.amdhsa_system_vgpr_workitem_id 0
		.amdhsa_next_free_vgpr 28
		.amdhsa_next_free_sgpr 22
		.amdhsa_reserve_vcc 1
		.amdhsa_float_round_mode_32 0
		.amdhsa_float_round_mode_16_64 0
		.amdhsa_float_denorm_mode_32 3
		.amdhsa_float_denorm_mode_16_64 3
		.amdhsa_dx10_clamp 1
		.amdhsa_ieee_mode 1
		.amdhsa_fp16_overflow 0
		.amdhsa_workgroup_processor_mode 1
		.amdhsa_memory_ordered 1
		.amdhsa_forward_progress 0
		.amdhsa_shared_vgpr_count 0
		.amdhsa_exception_fp_ieee_invalid_op 0
		.amdhsa_exception_fp_denorm_src 0
		.amdhsa_exception_fp_ieee_div_zero 0
		.amdhsa_exception_fp_ieee_overflow 0
		.amdhsa_exception_fp_ieee_underflow 0
		.amdhsa_exception_fp_ieee_inexact 0
		.amdhsa_exception_int_div_zero 0
	.end_amdhsa_kernel
	.section	.text._ZN7rocprim6detail16transform_kernelINS0_24wrapped_transform_configINS_14default_configEjEEjPjS5_NS_8identityIjEEEEvT1_mT2_T3_,"axG",@progbits,_ZN7rocprim6detail16transform_kernelINS0_24wrapped_transform_configINS_14default_configEjEEjPjS5_NS_8identityIjEEEEvT1_mT2_T3_,comdat
.Lfunc_end120:
	.size	_ZN7rocprim6detail16transform_kernelINS0_24wrapped_transform_configINS_14default_configEjEEjPjS5_NS_8identityIjEEEEvT1_mT2_T3_, .Lfunc_end120-_ZN7rocprim6detail16transform_kernelINS0_24wrapped_transform_configINS_14default_configEjEEjPjS5_NS_8identityIjEEEEvT1_mT2_T3_
                                        ; -- End function
	.section	.AMDGPU.csdata,"",@progbits
; Kernel info:
; codeLenInByte = 2336
; NumSgprs: 24
; NumVgprs: 28
; ScratchSize: 0
; MemoryBound: 0
; FloatMode: 240
; IeeeMode: 1
; LDSByteSize: 0 bytes/workgroup (compile time only)
; SGPRBlocks: 2
; VGPRBlocks: 3
; NumSGPRsForWavesPerEU: 24
; NumVGPRsForWavesPerEU: 28
; Occupancy: 16
; WaveLimiterHint : 1
; COMPUTE_PGM_RSRC2:SCRATCH_EN: 0
; COMPUTE_PGM_RSRC2:USER_SGPR: 15
; COMPUTE_PGM_RSRC2:TRAP_HANDLER: 0
; COMPUTE_PGM_RSRC2:TGID_X_EN: 1
; COMPUTE_PGM_RSRC2:TGID_Y_EN: 0
; COMPUTE_PGM_RSRC2:TGID_Z_EN: 0
; COMPUTE_PGM_RSRC2:TIDIG_COMP_CNT: 0
	.section	.text._ZN7rocprim6detail18single_scan_kernelILb0ENS0_19wrapped_scan_configINS_14default_configEjEEN6hipcub21CountingInputIteratorIjlEEN10test_utils21single_index_iteratorIjEENS5_3SumEjjEEvT1_mT4_T2_T3_,"axG",@progbits,_ZN7rocprim6detail18single_scan_kernelILb0ENS0_19wrapped_scan_configINS_14default_configEjEEN6hipcub21CountingInputIteratorIjlEEN10test_utils21single_index_iteratorIjEENS5_3SumEjjEEvT1_mT4_T2_T3_,comdat
	.protected	_ZN7rocprim6detail18single_scan_kernelILb0ENS0_19wrapped_scan_configINS_14default_configEjEEN6hipcub21CountingInputIteratorIjlEEN10test_utils21single_index_iteratorIjEENS5_3SumEjjEEvT1_mT4_T2_T3_ ; -- Begin function _ZN7rocprim6detail18single_scan_kernelILb0ENS0_19wrapped_scan_configINS_14default_configEjEEN6hipcub21CountingInputIteratorIjlEEN10test_utils21single_index_iteratorIjEENS5_3SumEjjEEvT1_mT4_T2_T3_
	.globl	_ZN7rocprim6detail18single_scan_kernelILb0ENS0_19wrapped_scan_configINS_14default_configEjEEN6hipcub21CountingInputIteratorIjlEEN10test_utils21single_index_iteratorIjEENS5_3SumEjjEEvT1_mT4_T2_T3_
	.p2align	8
	.type	_ZN7rocprim6detail18single_scan_kernelILb0ENS0_19wrapped_scan_configINS_14default_configEjEEN6hipcub21CountingInputIteratorIjlEEN10test_utils21single_index_iteratorIjEENS5_3SumEjjEEvT1_mT4_T2_T3_,@function
_ZN7rocprim6detail18single_scan_kernelILb0ENS0_19wrapped_scan_configINS_14default_configEjEEN6hipcub21CountingInputIteratorIjlEEN10test_utils21single_index_iteratorIjEENS5_3SumEjjEEvT1_mT4_T2_T3_: ; @_ZN7rocprim6detail18single_scan_kernelILb0ENS0_19wrapped_scan_configINS_14default_configEjEEN6hipcub21CountingInputIteratorIjlEEN10test_utils21single_index_iteratorIjEENS5_3SumEjjEEvT1_mT4_T2_T3_
; %bb.0:
	s_clause 0x3
	s_load_b32 s15, s[0:1], 0x0
	s_load_b32 s18, s[0:1], 0x8
	s_load_b128 s[24:27], s[0:1], 0x18
	s_load_b64 s[16:17], s[0:1], 0x28
	v_or_b32_e32 v30, 0x380, v0
	v_or_b32_e32 v23, 0x200, v0
	v_or_b32_e32 v25, 0x280, v0
	v_or_b32_e32 v28, 0x300, v0
	v_or_b32_e32 v24, 0x240, v0
	v_or_b32_e32 v26, 0x2c0, v0
	v_or_b32_e32 v1, 64, v0
	v_or_b32_e32 v2, 0x80, v0
	v_or_b32_e32 v29, 0x340, v0
	v_or_b32_e32 v3, 0xc0, v0
	v_or_b32_e32 v4, 0x100, v0
	v_or_b32_e32 v6, 0x140, v0
	v_or_b32_e32 v7, 0x180, v0
	v_or_b32_e32 v8, 0x1c0, v0
	v_lshlrev_b32_e32 v33, 2, v0
	v_or_b32_e32 v31, 0x3c0, v0
	s_waitcnt lgkmcnt(0)
	v_cmp_gt_u32_e32 vcc_lo, s18, v30
	v_add_nc_u32_e32 v5, s15, v0
	v_cmp_gt_u32_e64 s7, s18, v23
	v_cmp_gt_u32_e64 s4, s18, v25
	;; [unrolled: 1-line block ×4, first 2 shown]
	v_add_nc_u32_e32 v17, 0x200, v5
	v_cmp_gt_u32_e64 s2, s18, v26
	v_cmp_gt_u32_e64 s9, s18, v1
	;; [unrolled: 1-line block ×4, first 2 shown]
	v_cndmask_b32_e64 v34, s15, v17, s7
	v_add_nc_u32_e32 v17, 0x280, v5
	v_lshrrev_b32_e32 v1, 3, v1
	v_lshrrev_b32_e32 v2, 3, v2
	v_cmp_gt_u32_e64 s13, s18, v3
	v_cmp_gt_u32_e64 s14, s18, v4
	v_cndmask_b32_e64 v36, s15, v17, s4
	v_add_nc_u32_e32 v17, 0x300, v5
	v_cmp_gt_u32_e64 s10, s18, v6
	v_and_b32_e32 v1, 12, v1
	v_and_b32_e32 v2, 20, v2
	v_lshrrev_b32_e32 v3, 3, v3
	v_cndmask_b32_e64 v38, s15, v17, s3
	v_add_nc_u32_e32 v17, 0x380, v5
	v_lshrrev_b32_e32 v4, 3, v4
	v_lshrrev_b32_e32 v6, 3, v6
	v_add_nc_u32_e32 v19, v1, v33
	s_delay_alu instid0(VALU_DEP_4) | instskip(SKIP_1) | instid1(VALU_DEP_4)
	v_dual_cndmask_b32 v40, s15, v17 :: v_dual_and_b32 v1, 28, v3
	v_add_nc_u32_e32 v18, 0x240, v5
	v_and_b32_e32 v3, 44, v6
	v_lshrrev_b32_e32 v6, 3, v8
	s_delay_alu instid0(VALU_DEP_4)
	v_add_nc_u32_e32 v20, v1, v33
	v_cmp_gt_u32_e64 s8, s18, v0
	v_cndmask_b32_e64 v35, s15, v18, s6
	v_add_nc_u32_e32 v18, 0x2c0, v5
	v_add_nc_u32_e32 v22, v3, v33
	v_lshrrev_b32_e32 v3, 3, v23
	v_cmp_gt_u32_e64 s11, s18, v7
	v_add_nc_u32_e32 v10, 64, v5
	v_cndmask_b32_e64 v37, s15, v18, s2
	v_add_nc_u32_e32 v18, 0x340, v5
	v_add_nc_u32_e32 v11, 0x80, v5
	;; [unrolled: 1-line block ×5, first 2 shown]
	v_cndmask_b32_e64 v39, s15, v18, s0
	v_lshrrev_b32_e32 v18, 3, v0
	v_add_nc_u32_e32 v15, 0x180, v5
	v_add_nc_u32_e32 v16, 0x1c0, v5
	v_cmp_gt_u32_e64 s5, s18, v8
	v_cndmask_b32_e64 v9, s15, v5, s8
	v_and_b32_e32 v17, 4, v18
	v_add_nc_u32_e32 v18, v2, v33
	v_and_b32_e32 v2, 36, v4
	v_lshrrev_b32_e32 v4, 3, v7
	v_lshrrev_b32_e32 v7, 1, v0
	v_add_nc_u32_e32 v5, 0x3c0, v5
	v_cmp_gt_u32_e64 s1, s18, v31
	v_add_nc_u32_e32 v21, v2, v33
	v_and_b32_e32 v1, 52, v4
	v_and_b32_e32 v2, 60, v6
	v_lshrrev_b32_e32 v4, 3, v24
	v_lshrrev_b32_e32 v6, 3, v25
	v_add_nc_u32_e32 v17, v17, v33
	v_add_nc_u32_e32 v24, v1, v33
	;; [unrolled: 1-line block ×3, first 2 shown]
	v_and_b32_e32 v1, 0x44, v3
	v_and_b32_e32 v2, 0x4c, v4
	;; [unrolled: 1-line block ×3, first 2 shown]
	v_lshrrev_b32_e32 v4, 3, v26
	v_lshrrev_b32_e32 v6, 3, v31
	v_add_nc_u32_e32 v27, v1, v33
	v_add_nc_u32_e32 v26, v2, v33
	;; [unrolled: 1-line block ×3, first 2 shown]
	v_and_b32_e32 v1, 0x5c, v4
	v_lshrrev_b32_e32 v2, 3, v28
	v_lshrrev_b32_e32 v3, 3, v29
	;; [unrolled: 1-line block ×3, first 2 shown]
	v_cndmask_b32_e64 v10, s15, v10, s9
	v_add_nc_u32_e32 v28, v1, v33
	v_and_b32_e32 v1, 0x64, v2
	v_and_b32_e32 v2, 0x6c, v3
	;; [unrolled: 1-line block ×4, first 2 shown]
	v_lshlrev_b32_e32 v6, 4, v0
	v_add_nc_u32_e32 v32, v1, v33
	v_add_nc_u32_e32 v31, v2, v33
	;; [unrolled: 1-line block ×4, first 2 shown]
	v_add_lshl_u32 v33, v7, v6, 2
	v_cndmask_b32_e64 v11, s15, v11, s12
	v_cndmask_b32_e64 v12, s15, v12, s13
	;; [unrolled: 1-line block ×7, first 2 shown]
	ds_store_b32 v17, v9
	ds_store_b32 v19, v10 offset:256
	ds_store_b32 v18, v11 offset:512
	;; [unrolled: 1-line block ×15, first 2 shown]
	s_waitcnt lgkmcnt(0)
	s_barrier
	buffer_gl0_inv
	ds_load_2addr_b32 v[15:16], v33 offset1:1
	ds_load_2addr_b32 v[13:14], v33 offset0:2 offset1:3
	ds_load_2addr_b32 v[11:12], v33 offset0:4 offset1:5
	;; [unrolled: 1-line block ×5, first 2 shown]
	s_mov_b32 s18, exec_lo
	s_waitcnt lgkmcnt(5)
	v_add_nc_u32_e32 v1, v16, v15
	s_waitcnt lgkmcnt(4)
	s_delay_alu instid0(VALU_DEP_1) | instskip(SKIP_1) | instid1(VALU_DEP_1)
	v_add3_u32 v1, v1, v13, v14
	s_waitcnt lgkmcnt(3)
	v_add3_u32 v34, v1, v11, v12
	ds_load_2addr_b32 v[3:4], v33 offset0:12 offset1:13
	ds_load_2addr_b32 v[1:2], v33 offset0:14 offset1:15
	s_waitcnt lgkmcnt(0)
	s_barrier
	buffer_gl0_inv
	v_add3_u32 v34, v34, v9, v10
	s_delay_alu instid0(VALU_DEP_1) | instskip(NEXT) | instid1(VALU_DEP_1)
	v_add3_u32 v34, v34, v7, v8
	v_add3_u32 v34, v34, v5, v6
	s_delay_alu instid0(VALU_DEP_1) | instskip(NEXT) | instid1(VALU_DEP_1)
	v_add3_u32 v34, v34, v3, v4
	v_add3_u32 v34, v34, v1, v2
	ds_store_b32 v17, v34
	s_waitcnt lgkmcnt(0)
	s_barrier
	buffer_gl0_inv
	v_cmpx_gt_u32_e32 32, v0
	s_cbranch_execz .LBB121_2
; %bb.1:
	v_lshrrev_b32_e32 v35, 2, v0
	v_mbcnt_lo_u32_b32 v38, -1, 0
	s_delay_alu instid0(VALU_DEP_2) | instskip(NEXT) | instid1(VALU_DEP_2)
	v_and_b32_e32 v35, 12, v35
	v_and_b32_e32 v40, 15, v38
	v_add_nc_u32_e32 v42, -1, v38
	s_delay_alu instid0(VALU_DEP_3) | instskip(NEXT) | instid1(VALU_DEP_3)
	v_lshl_or_b32 v37, v0, 3, v35
	v_cmp_ne_u32_e64 s15, 0, v40
	ds_load_2addr_b32 v[35:36], v37 offset1:1
	s_waitcnt lgkmcnt(0)
	v_add_nc_u32_e32 v39, v36, v35
	s_delay_alu instid0(VALU_DEP_1) | instskip(NEXT) | instid1(VALU_DEP_1)
	v_mov_b32_dpp v41, v39 row_shr:1 row_mask:0xf bank_mask:0xf
	v_cndmask_b32_e64 v41, 0, v41, s15
	v_cmp_lt_u32_e64 s15, 1, v40
	s_delay_alu instid0(VALU_DEP_2) | instskip(NEXT) | instid1(VALU_DEP_1)
	v_add_nc_u32_e32 v39, v41, v39
	v_mov_b32_dpp v41, v39 row_shr:2 row_mask:0xf bank_mask:0xf
	s_delay_alu instid0(VALU_DEP_1) | instskip(SKIP_1) | instid1(VALU_DEP_2)
	v_cndmask_b32_e64 v41, 0, v41, s15
	v_cmp_lt_u32_e64 s15, 3, v40
	v_add_nc_u32_e32 v39, v39, v41
	s_delay_alu instid0(VALU_DEP_1) | instskip(NEXT) | instid1(VALU_DEP_1)
	v_mov_b32_dpp v41, v39 row_shr:4 row_mask:0xf bank_mask:0xf
	v_cndmask_b32_e64 v41, 0, v41, s15
	v_cmp_lt_u32_e64 s15, 7, v40
	s_delay_alu instid0(VALU_DEP_2) | instskip(NEXT) | instid1(VALU_DEP_1)
	v_add_nc_u32_e32 v39, v39, v41
	v_mov_b32_dpp v41, v39 row_shr:8 row_mask:0xf bank_mask:0xf
	s_delay_alu instid0(VALU_DEP_1) | instskip(SKIP_2) | instid1(VALU_DEP_3)
	v_cndmask_b32_e64 v40, 0, v41, s15
	v_bfe_i32 v41, v38, 4, 1
	v_cmp_gt_i32_e64 s15, 0, v42
	v_add_nc_u32_e32 v39, v39, v40
	s_delay_alu instid0(VALU_DEP_2)
	v_cndmask_b32_e64 v38, v42, v38, s15
	v_cmp_eq_u32_e64 s15, 0, v0
	ds_swizzle_b32 v40, v39 offset:swizzle(BROADCAST,32,15)
	v_lshlrev_b32_e32 v38, 2, v38
	s_waitcnt lgkmcnt(0)
	v_and_b32_e32 v40, v41, v40
	s_delay_alu instid0(VALU_DEP_1) | instskip(SKIP_3) | instid1(VALU_DEP_1)
	v_add_nc_u32_e32 v39, v39, v40
	ds_bpermute_b32 v38, v38, v39
	s_waitcnt lgkmcnt(0)
	v_add_nc_u32_e32 v35, v38, v35
	v_cndmask_b32_e64 v34, v35, v34, s15
	s_delay_alu instid0(VALU_DEP_1)
	v_add_nc_u32_e32 v35, v34, v36
	ds_store_2addr_b32 v37, v34, v35 offset1:1
.LBB121_2:
	s_or_b32 exec_lo, exec_lo, s18
	v_dual_mov_b32 v34, 0 :: v_dual_mov_b32 v35, 0
	s_mov_b32 s18, exec_lo
	s_waitcnt lgkmcnt(0)
	s_barrier
	buffer_gl0_inv
	v_cmpx_ne_u32_e32 0, v0
	s_cbranch_execz .LBB121_4
; %bb.3:
	v_add_nc_u32_e32 v35, -1, v0
	s_delay_alu instid0(VALU_DEP_1) | instskip(NEXT) | instid1(VALU_DEP_1)
	v_lshrrev_b32_e32 v36, 5, v35
	v_add_lshl_u32 v35, v36, v35, 2
	ds_load_b32 v35, v35
.LBB121_4:
	s_or_b32 exec_lo, exec_lo, s18
	s_waitcnt lgkmcnt(0)
	v_add_nc_u32_e32 v43, v35, v15
	v_add_co_u32 v35, s15, s16, v0
	s_delay_alu instid0(VALU_DEP_1) | instskip(NEXT) | instid1(VALU_DEP_3)
	v_add_co_ci_u32_e64 v36, null, s17, 0, s15
	v_add_nc_u32_e32 v44, v43, v16
	s_delay_alu instid0(VALU_DEP_3) | instskip(NEXT) | instid1(VALU_DEP_1)
	v_add_co_u32 v15, s16, v35, 64
	v_add_co_ci_u32_e64 v16, s16, 0, v36, s16
	s_delay_alu instid0(VALU_DEP_3) | instskip(SKIP_2) | instid1(VALU_DEP_3)
	v_add_nc_u32_e32 v45, v44, v13
	v_add_co_u32 v13, s16, 0x80, v35
	v_cmp_eq_u64_e64 s15, s[26:27], v[35:36]
	v_add_nc_u32_e32 v46, v45, v14
	v_add_co_ci_u32_e64 v14, s16, 0, v36, s16
	v_add_co_u32 v37, s16, 0xc0, v35
	s_delay_alu instid0(VALU_DEP_3) | instskip(SKIP_2) | instid1(VALU_DEP_3)
	v_add_nc_u32_e32 v47, v46, v11
	v_add_co_ci_u32_e64 v38, s16, 0, v36, s16
	v_add_co_u32 v11, s16, 0x100, v35
	v_add_nc_u32_e32 v48, v47, v12
	v_add_co_ci_u32_e64 v12, s16, 0, v36, s16
	v_add_co_u32 v39, s16, 0x140, v35
	s_delay_alu instid0(VALU_DEP_3) | instskip(SKIP_2) | instid1(VALU_DEP_3)
	v_add_nc_u32_e32 v49, v48, v9
	v_add_co_ci_u32_e64 v40, s16, 0, v36, s16
	v_add_co_u32 v9, s16, 0x180, v35
	v_add_nc_u32_e32 v50, v49, v10
	v_add_co_ci_u32_e64 v10, s16, 0, v36, s16
	v_add_co_u32 v41, s16, 0x1c0, v35
	s_delay_alu instid0(VALU_DEP_3) | instskip(SKIP_3) | instid1(VALU_DEP_4)
	v_add_nc_u32_e32 v7, v50, v7
	v_add_co_ci_u32_e64 v42, s16, 0, v36, s16
	v_cmp_eq_u64_e64 s16, s[26:27], v[15:16]
	v_cmp_eq_u64_e64 s17, s[26:27], v[13:14]
	v_add_nc_u32_e32 v8, v7, v8
	v_cmp_eq_u64_e64 s18, s[26:27], v[37:38]
	v_cmp_eq_u64_e64 s19, s[26:27], v[11:12]
	s_and_b32 s22, s8, s15
	s_and_b32 s15, s9, s16
	v_add_nc_u32_e32 v5, v8, v5
	s_and_b32 s8, s12, s17
	s_and_b32 s9, s13, s18
	s_or_b32 s13, s22, s15
	v_cmp_eq_u64_e64 s20, s[26:27], v[39:40]
	v_add_nc_u32_e32 v6, v5, v6
	s_or_b32 s13, s8, s13
	v_cmp_eq_u64_e64 s21, s[26:27], v[9:10]
	s_and_b32 s12, s14, s19
	s_or_b32 s13, s9, s13
	v_add_nc_u32_e32 v9, v6, v3
	s_or_b32 s14, s12, s13
	v_add_co_u32 v3, s13, 0x200, v35
	s_and_b32 s10, s10, s20
	s_delay_alu instid0(VALU_DEP_2)
	v_add_nc_u32_e32 v10, v9, v4
	v_add_co_ci_u32_e64 v4, s13, 0, v36, s13
	s_and_b32 s11, s11, s21
	s_or_b32 s13, s10, s14
	v_add_co_u32 v0, s16, 0x240, v35
	s_or_b32 s17, s11, s13
	v_cmp_eq_u64_e64 s13, s[26:27], v[41:42]
	v_add_nc_u32_e32 v11, v10, v1
	v_cmp_eq_u64_e64 s14, s[26:27], v[3:4]
	v_add_co_ci_u32_e64 v1, s16, 0, v36, s16
	s_barrier
	s_delay_alu instid0(VALU_DEP_4) | instskip(SKIP_1) | instid1(VALU_DEP_2)
	s_and_b32 s5, s5, s13
	v_add_nc_u32_e32 v4, v11, v2
	v_cmp_eq_u64_e64 s13, s[26:27], v[0:1]
	s_and_b32 s7, s7, s14
	v_add_co_u32 v0, s14, 0x280, v35
	s_delay_alu instid0(VALU_DEP_1) | instskip(SKIP_1) | instid1(VALU_DEP_3)
	v_add_co_ci_u32_e64 v1, s14, 0, v36, s14
	s_or_b32 s16, s5, s17
	s_and_b32 s6, s6, s13
	s_or_b32 s14, s7, s16
	s_delay_alu instid0(VALU_DEP_1) | instskip(SKIP_2) | instid1(VALU_DEP_1)
	v_cmp_eq_u64_e64 s13, s[26:27], v[0:1]
	s_or_b32 s16, s6, s14
	v_add_co_u32 v0, s14, 0x2c0, v35
	v_add_co_ci_u32_e64 v1, s14, 0, v36, s14
	v_add_co_u32 v2, s14, 0x300, v35
	s_delay_alu instid0(VALU_DEP_1) | instskip(SKIP_1) | instid1(VALU_DEP_3)
	v_add_co_ci_u32_e64 v3, s14, 0, v36, s14
	s_and_b32 s4, s4, s13
	v_cmp_eq_u64_e64 s13, s[26:27], v[0:1]
	s_or_b32 s17, s4, s16
	v_add_co_u32 v0, s16, 0x340, v35
	v_cmp_eq_u64_e64 s14, s[26:27], v[2:3]
	v_add_co_ci_u32_e64 v1, s16, 0, v36, s16
	s_delay_alu instid0(VALU_DEP_4)
	s_and_b32 s2, s2, s13
	buffer_gl0_inv
	s_or_b32 s16, s2, s17
	s_and_b32 s3, s3, s14
	v_cmp_eq_u64_e64 s13, s[26:27], v[0:1]
	v_add_co_u32 v0, s14, 0x380, v35
	s_delay_alu instid0(VALU_DEP_1) | instskip(SKIP_1) | instid1(VALU_DEP_1)
	v_add_co_ci_u32_e64 v1, s14, 0, v36, s14
	v_add_co_u32 v2, s14, 0x3c0, v35
	v_add_co_ci_u32_e64 v3, s14, 0, v36, s14
	s_and_b32 s0, s0, s13
	s_delay_alu instid0(VALU_DEP_3) | instskip(SKIP_1) | instid1(VALU_DEP_2)
	v_cmp_eq_u64_e64 s13, s[26:27], v[0:1]
	s_or_b32 s16, s3, s16
	v_cmp_eq_u64_e64 s14, s[26:27], v[2:3]
	s_or_b32 s16, s0, s16
	ds_store_2addr_b32 v33, v43, v44 offset1:1
	ds_store_2addr_b32 v33, v45, v46 offset0:2 offset1:3
	ds_store_2addr_b32 v33, v47, v48 offset0:4 offset1:5
	;; [unrolled: 1-line block ×7, first 2 shown]
	s_and_b32 vcc_lo, vcc_lo, s13
	s_waitcnt lgkmcnt(0)
	s_or_b32 s13, vcc_lo, s16
	s_and_b32 s1, s1, s14
	s_barrier
	s_or_b32 s13, s1, s13
	buffer_gl0_inv
	s_and_saveexec_b32 s14, s13
	s_cbranch_execz .LBB121_6
; %bb.5:
	ds_load_b32 v0, v19 offset:256
	ds_load_b32 v1, v17
	ds_load_b32 v2, v18 offset:512
	ds_load_b32 v3, v20 offset:768
	;; [unrolled: 1-line block ×4, first 2 shown]
	s_waitcnt lgkmcnt(4)
	v_cndmask_b32_e64 v0, v1, v0, s15
	ds_load_b32 v1, v24 offset:1536
	s_waitcnt lgkmcnt(4)
	v_cndmask_b32_e64 v0, v0, v2, s8
	s_waitcnt lgkmcnt(3)
	s_delay_alu instid0(VALU_DEP_1)
	v_cndmask_b32_e64 v0, v0, v3, s9
	ds_load_b32 v3, v27 offset:2048
	s_waitcnt lgkmcnt(3)
	v_cndmask_b32_e64 v0, v0, v4, s12
	ds_load_b32 v4, v26 offset:2304
	s_waitcnt lgkmcnt(3)
	v_cndmask_b32_e64 v0, v0, v5, s10
	ds_load_b32 v5, v25 offset:2560
	ds_load_b32 v2, v23 offset:1792
	s_waitcnt lgkmcnt(4)
	v_cndmask_b32_e64 v0, v0, v1, s11
	ds_load_b32 v1, v28 offset:2816
	s_waitcnt lgkmcnt(1)
	v_cndmask_b32_e64 v0, v0, v2, s5
	ds_load_b32 v2, v32 offset:3072
	v_cndmask_b32_e64 v0, v0, v3, s7
	ds_load_b32 v3, v31 offset:3328
	;; [unrolled: 2-line block ×4, first 2 shown]
	s_waitcnt lgkmcnt(4)
	v_cndmask_b32_e64 v0, v0, v1, s2
	s_waitcnt lgkmcnt(3)
	s_delay_alu instid0(VALU_DEP_1) | instskip(SKIP_1) | instid1(VALU_DEP_1)
	v_cndmask_b32_e64 v0, v0, v2, s3
	s_waitcnt lgkmcnt(2)
	v_cndmask_b32_e64 v0, v0, v3, s0
	s_waitcnt lgkmcnt(1)
	s_delay_alu instid0(VALU_DEP_1) | instskip(SKIP_1) | instid1(VALU_DEP_1)
	v_cndmask_b32_e32 v0, v0, v4, vcc_lo
	s_waitcnt lgkmcnt(0)
	v_cndmask_b32_e64 v0, v0, v5, s1
	global_store_b32 v34, v0, s[24:25]
.LBB121_6:
	s_nop 0
	s_sendmsg sendmsg(MSG_DEALLOC_VGPRS)
	s_endpgm
	.section	.rodata,"a",@progbits
	.p2align	6, 0x0
	.amdhsa_kernel _ZN7rocprim6detail18single_scan_kernelILb0ENS0_19wrapped_scan_configINS_14default_configEjEEN6hipcub21CountingInputIteratorIjlEEN10test_utils21single_index_iteratorIjEENS5_3SumEjjEEvT1_mT4_T2_T3_
		.amdhsa_group_segment_fixed_size 4224
		.amdhsa_private_segment_fixed_size 0
		.amdhsa_kernarg_size 52
		.amdhsa_user_sgpr_count 15
		.amdhsa_user_sgpr_dispatch_ptr 0
		.amdhsa_user_sgpr_queue_ptr 0
		.amdhsa_user_sgpr_kernarg_segment_ptr 1
		.amdhsa_user_sgpr_dispatch_id 0
		.amdhsa_user_sgpr_private_segment_size 0
		.amdhsa_wavefront_size32 1
		.amdhsa_uses_dynamic_stack 0
		.amdhsa_enable_private_segment 0
		.amdhsa_system_sgpr_workgroup_id_x 1
		.amdhsa_system_sgpr_workgroup_id_y 0
		.amdhsa_system_sgpr_workgroup_id_z 0
		.amdhsa_system_sgpr_workgroup_info 0
		.amdhsa_system_vgpr_workitem_id 0
		.amdhsa_next_free_vgpr 51
		.amdhsa_next_free_sgpr 28
		.amdhsa_reserve_vcc 1
		.amdhsa_float_round_mode_32 0
		.amdhsa_float_round_mode_16_64 0
		.amdhsa_float_denorm_mode_32 3
		.amdhsa_float_denorm_mode_16_64 3
		.amdhsa_dx10_clamp 1
		.amdhsa_ieee_mode 1
		.amdhsa_fp16_overflow 0
		.amdhsa_workgroup_processor_mode 1
		.amdhsa_memory_ordered 1
		.amdhsa_forward_progress 0
		.amdhsa_shared_vgpr_count 0
		.amdhsa_exception_fp_ieee_invalid_op 0
		.amdhsa_exception_fp_denorm_src 0
		.amdhsa_exception_fp_ieee_div_zero 0
		.amdhsa_exception_fp_ieee_overflow 0
		.amdhsa_exception_fp_ieee_underflow 0
		.amdhsa_exception_fp_ieee_inexact 0
		.amdhsa_exception_int_div_zero 0
	.end_amdhsa_kernel
	.section	.text._ZN7rocprim6detail18single_scan_kernelILb0ENS0_19wrapped_scan_configINS_14default_configEjEEN6hipcub21CountingInputIteratorIjlEEN10test_utils21single_index_iteratorIjEENS5_3SumEjjEEvT1_mT4_T2_T3_,"axG",@progbits,_ZN7rocprim6detail18single_scan_kernelILb0ENS0_19wrapped_scan_configINS_14default_configEjEEN6hipcub21CountingInputIteratorIjlEEN10test_utils21single_index_iteratorIjEENS5_3SumEjjEEvT1_mT4_T2_T3_,comdat
.Lfunc_end121:
	.size	_ZN7rocprim6detail18single_scan_kernelILb0ENS0_19wrapped_scan_configINS_14default_configEjEEN6hipcub21CountingInputIteratorIjlEEN10test_utils21single_index_iteratorIjEENS5_3SumEjjEEvT1_mT4_T2_T3_, .Lfunc_end121-_ZN7rocprim6detail18single_scan_kernelILb0ENS0_19wrapped_scan_configINS_14default_configEjEEN6hipcub21CountingInputIteratorIjlEEN10test_utils21single_index_iteratorIjEENS5_3SumEjjEEvT1_mT4_T2_T3_
                                        ; -- End function
	.section	.AMDGPU.csdata,"",@progbits
; Kernel info:
; codeLenInByte = 2600
; NumSgprs: 30
; NumVgprs: 51
; ScratchSize: 0
; MemoryBound: 0
; FloatMode: 240
; IeeeMode: 1
; LDSByteSize: 4224 bytes/workgroup (compile time only)
; SGPRBlocks: 3
; VGPRBlocks: 6
; NumSGPRsForWavesPerEU: 30
; NumVGPRsForWavesPerEU: 51
; Occupancy: 16
; WaveLimiterHint : 0
; COMPUTE_PGM_RSRC2:SCRATCH_EN: 0
; COMPUTE_PGM_RSRC2:USER_SGPR: 15
; COMPUTE_PGM_RSRC2:TRAP_HANDLER: 0
; COMPUTE_PGM_RSRC2:TGID_X_EN: 1
; COMPUTE_PGM_RSRC2:TGID_Y_EN: 0
; COMPUTE_PGM_RSRC2:TGID_Z_EN: 0
; COMPUTE_PGM_RSRC2:TIDIG_COMP_CNT: 0
	.section	.text._ZN7rocprim6detail20lookback_scan_kernelILNS0_25lookback_scan_determinismE0ELb1ENS0_19wrapped_scan_configINS_14default_configEjEEN6hipcub21CountingInputIteratorIjlEEN10test_utils21single_index_iteratorIjEENS6_3SumEjjNS0_19lookback_scan_stateIjLb1ELb1EEEEEvT2_T3_mT5_T4_T7_jPT6_SL_bb,"axG",@progbits,_ZN7rocprim6detail20lookback_scan_kernelILNS0_25lookback_scan_determinismE0ELb1ENS0_19wrapped_scan_configINS_14default_configEjEEN6hipcub21CountingInputIteratorIjlEEN10test_utils21single_index_iteratorIjEENS6_3SumEjjNS0_19lookback_scan_stateIjLb1ELb1EEEEEvT2_T3_mT5_T4_T7_jPT6_SL_bb,comdat
	.protected	_ZN7rocprim6detail20lookback_scan_kernelILNS0_25lookback_scan_determinismE0ELb1ENS0_19wrapped_scan_configINS_14default_configEjEEN6hipcub21CountingInputIteratorIjlEEN10test_utils21single_index_iteratorIjEENS6_3SumEjjNS0_19lookback_scan_stateIjLb1ELb1EEEEEvT2_T3_mT5_T4_T7_jPT6_SL_bb ; -- Begin function _ZN7rocprim6detail20lookback_scan_kernelILNS0_25lookback_scan_determinismE0ELb1ENS0_19wrapped_scan_configINS_14default_configEjEEN6hipcub21CountingInputIteratorIjlEEN10test_utils21single_index_iteratorIjEENS6_3SumEjjNS0_19lookback_scan_stateIjLb1ELb1EEEEEvT2_T3_mT5_T4_T7_jPT6_SL_bb
	.globl	_ZN7rocprim6detail20lookback_scan_kernelILNS0_25lookback_scan_determinismE0ELb1ENS0_19wrapped_scan_configINS_14default_configEjEEN6hipcub21CountingInputIteratorIjlEEN10test_utils21single_index_iteratorIjEENS6_3SumEjjNS0_19lookback_scan_stateIjLb1ELb1EEEEEvT2_T3_mT5_T4_T7_jPT6_SL_bb
	.p2align	8
	.type	_ZN7rocprim6detail20lookback_scan_kernelILNS0_25lookback_scan_determinismE0ELb1ENS0_19wrapped_scan_configINS_14default_configEjEEN6hipcub21CountingInputIteratorIjlEEN10test_utils21single_index_iteratorIjEENS6_3SumEjjNS0_19lookback_scan_stateIjLb1ELb1EEEEEvT2_T3_mT5_T4_T7_jPT6_SL_bb,@function
_ZN7rocprim6detail20lookback_scan_kernelILNS0_25lookback_scan_determinismE0ELb1ENS0_19wrapped_scan_configINS_14default_configEjEEN6hipcub21CountingInputIteratorIjlEEN10test_utils21single_index_iteratorIjEENS6_3SumEjjNS0_19lookback_scan_stateIjLb1ELb1EEEEEvT2_T3_mT5_T4_T7_jPT6_SL_bb: ; @_ZN7rocprim6detail20lookback_scan_kernelILNS0_25lookback_scan_determinismE0ELb1ENS0_19wrapped_scan_configINS_14default_configEjEEN6hipcub21CountingInputIteratorIjlEEN10test_utils21single_index_iteratorIjEENS6_3SumEjjNS0_19lookback_scan_stateIjLb1ELb1EEEEEvT2_T3_mT5_T4_T7_jPT6_SL_bb
; %bb.0:
	s_endpgm
	.section	.rodata,"a",@progbits
	.p2align	6, 0x0
	.amdhsa_kernel _ZN7rocprim6detail20lookback_scan_kernelILNS0_25lookback_scan_determinismE0ELb1ENS0_19wrapped_scan_configINS_14default_configEjEEN6hipcub21CountingInputIteratorIjlEEN10test_utils21single_index_iteratorIjEENS6_3SumEjjNS0_19lookback_scan_stateIjLb1ELb1EEEEEvT2_T3_mT5_T4_T7_jPT6_SL_bb
		.amdhsa_group_segment_fixed_size 0
		.amdhsa_private_segment_fixed_size 0
		.amdhsa_kernarg_size 84
		.amdhsa_user_sgpr_count 15
		.amdhsa_user_sgpr_dispatch_ptr 0
		.amdhsa_user_sgpr_queue_ptr 0
		.amdhsa_user_sgpr_kernarg_segment_ptr 1
		.amdhsa_user_sgpr_dispatch_id 0
		.amdhsa_user_sgpr_private_segment_size 0
		.amdhsa_wavefront_size32 1
		.amdhsa_uses_dynamic_stack 0
		.amdhsa_enable_private_segment 0
		.amdhsa_system_sgpr_workgroup_id_x 1
		.amdhsa_system_sgpr_workgroup_id_y 0
		.amdhsa_system_sgpr_workgroup_id_z 0
		.amdhsa_system_sgpr_workgroup_info 0
		.amdhsa_system_vgpr_workitem_id 0
		.amdhsa_next_free_vgpr 1
		.amdhsa_next_free_sgpr 1
		.amdhsa_reserve_vcc 0
		.amdhsa_float_round_mode_32 0
		.amdhsa_float_round_mode_16_64 0
		.amdhsa_float_denorm_mode_32 3
		.amdhsa_float_denorm_mode_16_64 3
		.amdhsa_dx10_clamp 1
		.amdhsa_ieee_mode 1
		.amdhsa_fp16_overflow 0
		.amdhsa_workgroup_processor_mode 1
		.amdhsa_memory_ordered 1
		.amdhsa_forward_progress 0
		.amdhsa_shared_vgpr_count 0
		.amdhsa_exception_fp_ieee_invalid_op 0
		.amdhsa_exception_fp_denorm_src 0
		.amdhsa_exception_fp_ieee_div_zero 0
		.amdhsa_exception_fp_ieee_overflow 0
		.amdhsa_exception_fp_ieee_underflow 0
		.amdhsa_exception_fp_ieee_inexact 0
		.amdhsa_exception_int_div_zero 0
	.end_amdhsa_kernel
	.section	.text._ZN7rocprim6detail20lookback_scan_kernelILNS0_25lookback_scan_determinismE0ELb1ENS0_19wrapped_scan_configINS_14default_configEjEEN6hipcub21CountingInputIteratorIjlEEN10test_utils21single_index_iteratorIjEENS6_3SumEjjNS0_19lookback_scan_stateIjLb1ELb1EEEEEvT2_T3_mT5_T4_T7_jPT6_SL_bb,"axG",@progbits,_ZN7rocprim6detail20lookback_scan_kernelILNS0_25lookback_scan_determinismE0ELb1ENS0_19wrapped_scan_configINS_14default_configEjEEN6hipcub21CountingInputIteratorIjlEEN10test_utils21single_index_iteratorIjEENS6_3SumEjjNS0_19lookback_scan_stateIjLb1ELb1EEEEEvT2_T3_mT5_T4_T7_jPT6_SL_bb,comdat
.Lfunc_end122:
	.size	_ZN7rocprim6detail20lookback_scan_kernelILNS0_25lookback_scan_determinismE0ELb1ENS0_19wrapped_scan_configINS_14default_configEjEEN6hipcub21CountingInputIteratorIjlEEN10test_utils21single_index_iteratorIjEENS6_3SumEjjNS0_19lookback_scan_stateIjLb1ELb1EEEEEvT2_T3_mT5_T4_T7_jPT6_SL_bb, .Lfunc_end122-_ZN7rocprim6detail20lookback_scan_kernelILNS0_25lookback_scan_determinismE0ELb1ENS0_19wrapped_scan_configINS_14default_configEjEEN6hipcub21CountingInputIteratorIjlEEN10test_utils21single_index_iteratorIjEENS6_3SumEjjNS0_19lookback_scan_stateIjLb1ELb1EEEEEvT2_T3_mT5_T4_T7_jPT6_SL_bb
                                        ; -- End function
	.section	.AMDGPU.csdata,"",@progbits
; Kernel info:
; codeLenInByte = 4
; NumSgprs: 0
; NumVgprs: 0
; ScratchSize: 0
; MemoryBound: 0
; FloatMode: 240
; IeeeMode: 1
; LDSByteSize: 0 bytes/workgroup (compile time only)
; SGPRBlocks: 0
; VGPRBlocks: 0
; NumSGPRsForWavesPerEU: 1
; NumVGPRsForWavesPerEU: 1
; Occupancy: 16
; WaveLimiterHint : 0
; COMPUTE_PGM_RSRC2:SCRATCH_EN: 0
; COMPUTE_PGM_RSRC2:USER_SGPR: 15
; COMPUTE_PGM_RSRC2:TRAP_HANDLER: 0
; COMPUTE_PGM_RSRC2:TGID_X_EN: 1
; COMPUTE_PGM_RSRC2:TGID_Y_EN: 0
; COMPUTE_PGM_RSRC2:TGID_Z_EN: 0
; COMPUTE_PGM_RSRC2:TIDIG_COMP_CNT: 0
	.section	.text._ZN7rocprim6detail20lookback_scan_kernelILNS0_25lookback_scan_determinismE0ELb1ENS0_19wrapped_scan_configINS_14default_configEjEEN6hipcub21CountingInputIteratorIjlEEN10test_utils21single_index_iteratorIjEENS6_3SumEjjNS0_19lookback_scan_stateIjLb0ELb1EEEEEvT2_T3_mT5_T4_T7_jPT6_SL_bb,"axG",@progbits,_ZN7rocprim6detail20lookback_scan_kernelILNS0_25lookback_scan_determinismE0ELb1ENS0_19wrapped_scan_configINS_14default_configEjEEN6hipcub21CountingInputIteratorIjlEEN10test_utils21single_index_iteratorIjEENS6_3SumEjjNS0_19lookback_scan_stateIjLb0ELb1EEEEEvT2_T3_mT5_T4_T7_jPT6_SL_bb,comdat
	.protected	_ZN7rocprim6detail20lookback_scan_kernelILNS0_25lookback_scan_determinismE0ELb1ENS0_19wrapped_scan_configINS_14default_configEjEEN6hipcub21CountingInputIteratorIjlEEN10test_utils21single_index_iteratorIjEENS6_3SumEjjNS0_19lookback_scan_stateIjLb0ELb1EEEEEvT2_T3_mT5_T4_T7_jPT6_SL_bb ; -- Begin function _ZN7rocprim6detail20lookback_scan_kernelILNS0_25lookback_scan_determinismE0ELb1ENS0_19wrapped_scan_configINS_14default_configEjEEN6hipcub21CountingInputIteratorIjlEEN10test_utils21single_index_iteratorIjEENS6_3SumEjjNS0_19lookback_scan_stateIjLb0ELb1EEEEEvT2_T3_mT5_T4_T7_jPT6_SL_bb
	.globl	_ZN7rocprim6detail20lookback_scan_kernelILNS0_25lookback_scan_determinismE0ELb1ENS0_19wrapped_scan_configINS_14default_configEjEEN6hipcub21CountingInputIteratorIjlEEN10test_utils21single_index_iteratorIjEENS6_3SumEjjNS0_19lookback_scan_stateIjLb0ELb1EEEEEvT2_T3_mT5_T4_T7_jPT6_SL_bb
	.p2align	8
	.type	_ZN7rocprim6detail20lookback_scan_kernelILNS0_25lookback_scan_determinismE0ELb1ENS0_19wrapped_scan_configINS_14default_configEjEEN6hipcub21CountingInputIteratorIjlEEN10test_utils21single_index_iteratorIjEENS6_3SumEjjNS0_19lookback_scan_stateIjLb0ELb1EEEEEvT2_T3_mT5_T4_T7_jPT6_SL_bb,@function
_ZN7rocprim6detail20lookback_scan_kernelILNS0_25lookback_scan_determinismE0ELb1ENS0_19wrapped_scan_configINS_14default_configEjEEN6hipcub21CountingInputIteratorIjlEEN10test_utils21single_index_iteratorIjEENS6_3SumEjjNS0_19lookback_scan_stateIjLb0ELb1EEEEEvT2_T3_mT5_T4_T7_jPT6_SL_bb: ; @_ZN7rocprim6detail20lookback_scan_kernelILNS0_25lookback_scan_determinismE0ELb1ENS0_19wrapped_scan_configINS_14default_configEjEEN6hipcub21CountingInputIteratorIjlEEN10test_utils21single_index_iteratorIjEENS6_3SumEjjNS0_19lookback_scan_stateIjLb0ELb1EEEEEvT2_T3_mT5_T4_T7_jPT6_SL_bb
; %bb.0:
	s_clause 0x2
	s_load_b32 s2, s[0:1], 0x38
	s_load_b256 s[20:27], s[0:1], 0x8
	s_load_b32 s10, s[0:1], 0x0
	s_lshl_b32 s8, s15, 10
	v_lshrrev_b32_e32 v2, 3, v0
	v_lshlrev_b32_e32 v1, 2, v0
	s_mov_b32 s4, -1
	s_waitcnt lgkmcnt(0)
	s_add_i32 s2, s2, -1
	s_delay_alu instid0(SALU_CYCLE_1) | instskip(NEXT) | instid1(SALU_CYCLE_1)
	s_lshl_b32 s3, s2, 10
	s_sub_u32 s19, s26, s3
	s_subb_u32 s26, s27, 0
	s_cmp_lg_u32 s15, s2
	s_cselect_b32 s9, -1, 0
	s_add_i32 s3, s8, s10
	s_and_b32 vcc_lo, exec_lo, s9
	v_add_nc_u32_e32 v13, s3, v0
	s_delay_alu instid0(VALU_DEP_1)
	v_add_nc_u32_e32 v18, 64, v13
	v_add_nc_u32_e32 v17, 0x80, v13
	;; [unrolled: 1-line block ×15, first 2 shown]
	s_cbranch_vccz .LBB123_2
; %bb.1:
	v_or_b32_e32 v19, 64, v0
	v_or_b32_e32 v20, 0x80, v0
	v_or_b32_e32 v22, 0xc0, v0
	v_or_b32_e32 v23, 0x100, v0
	v_or_b32_e32 v24, 0x140, v0
	v_or_b32_e32 v25, 0x180, v0
	v_or_b32_e32 v26, 0x1c0, v0
	v_lshrrev_b32_e32 v19, 3, v19
	v_lshrrev_b32_e32 v20, 3, v20
	;; [unrolled: 1-line block ×4, first 2 shown]
	v_and_b32_e32 v21, 4, v2
	v_lshrrev_b32_e32 v24, 3, v24
	v_lshrrev_b32_e32 v25, 3, v25
	;; [unrolled: 1-line block ×3, first 2 shown]
	v_and_b32_e32 v19, 12, v19
	v_and_b32_e32 v20, 20, v20
	;; [unrolled: 1-line block ×4, first 2 shown]
	v_add_nc_u32_e32 v21, v21, v1
	v_and_b32_e32 v24, 44, v24
	v_and_b32_e32 v25, 52, v25
	;; [unrolled: 1-line block ×3, first 2 shown]
	v_add_nc_u32_e32 v19, v19, v1
	v_add_nc_u32_e32 v20, v20, v1
	v_or_b32_e32 v27, 0x200, v0
	v_add_nc_u32_e32 v22, v22, v1
	v_or_b32_e32 v28, 0x240, v0
	v_add_nc_u32_e32 v23, v23, v1
	v_or_b32_e32 v29, 0x280, v0
	v_add_nc_u32_e32 v24, v24, v1
	v_add_nc_u32_e32 v25, v25, v1
	;; [unrolled: 1-line block ×3, first 2 shown]
	ds_store_b32 v21, v13
	ds_store_b32 v19, v18 offset:256
	ds_store_b32 v20, v17 offset:512
	;; [unrolled: 1-line block ×7, first 2 shown]
	v_or_b32_e32 v22, 0x2c0, v0
	v_or_b32_e32 v23, 0x300, v0
	v_lshrrev_b32_e32 v27, 3, v27
	v_or_b32_e32 v24, 0x340, v0
	v_or_b32_e32 v25, 0x380, v0
	;; [unrolled: 1-line block ×3, first 2 shown]
	v_lshrrev_b32_e32 v28, 3, v28
	v_lshrrev_b32_e32 v29, 3, v29
	;; [unrolled: 1-line block ×4, first 2 shown]
	v_and_b32_e32 v27, 0x44, v27
	v_lshrrev_b32_e32 v24, 3, v24
	v_lshrrev_b32_e32 v25, 3, v25
	;; [unrolled: 1-line block ×3, first 2 shown]
	v_and_b32_e32 v28, 0x4c, v28
	v_and_b32_e32 v29, 0x54, v29
	;; [unrolled: 1-line block ×4, first 2 shown]
	v_add_nc_u32_e32 v19, v27, v1
	v_and_b32_e32 v24, 0x6c, v24
	v_and_b32_e32 v25, 0x74, v25
	;; [unrolled: 1-line block ×3, first 2 shown]
	v_add_nc_u32_e32 v20, v28, v1
	v_add_nc_u32_e32 v21, v29, v1
	v_add_nc_u32_e32 v22, v22, v1
	v_add_nc_u32_e32 v23, v23, v1
	v_add_nc_u32_e32 v24, v24, v1
	v_add_nc_u32_e32 v25, v25, v1
	v_add_nc_u32_e32 v26, v26, v1
	ds_store_b32 v19, v10 offset:2048
	ds_store_b32 v20, v9 offset:2304
	;; [unrolled: 1-line block ×8, first 2 shown]
	s_waitcnt lgkmcnt(0)
	s_mov_b32 s4, 0
	s_barrier
.LBB123_2:
	v_cmp_gt_u32_e64 s2, s19, v0
	s_and_not1_b32 vcc_lo, exec_lo, s4
	s_cbranch_vccnz .LBB123_4
; %bb.3:
	v_or_b32_e32 v19, 64, v0
	v_or_b32_e32 v20, 0x80, v0
	;; [unrolled: 1-line block ×5, first 2 shown]
	v_cmp_gt_u32_e32 vcc_lo, s19, v19
	v_lshrrev_b32_e32 v19, 3, v19
	v_or_b32_e32 v24, 0x180, v0
	v_or_b32_e32 v25, 0x1c0, v0
	;; [unrolled: 1-line block ×3, first 2 shown]
	s_delay_alu instid0(VALU_DEP_4)
	v_dual_cndmask_b32 v18, s3, v18 :: v_dual_and_b32 v19, 12, v19
	v_cmp_gt_u32_e32 vcc_lo, s19, v20
	v_or_b32_e32 v27, 0x240, v0
	v_lshrrev_b32_e32 v20, 3, v20
	v_and_b32_e32 v2, 4, v2
	v_or_b32_e32 v28, 0x280, v0
	v_cndmask_b32_e32 v17, s3, v17, vcc_lo
	v_cmp_gt_u32_e32 vcc_lo, s19, v21
	v_lshrrev_b32_e32 v21, 3, v21
	v_or_b32_e32 v29, 0x2c0, v0
	v_or_b32_e32 v30, 0x300, v0
	;; [unrolled: 1-line block ×3, first 2 shown]
	v_dual_cndmask_b32 v16, s3, v16 :: v_dual_add_nc_u32 v19, v19, v1
	v_cmp_gt_u32_e32 vcc_lo, s19, v22
	v_lshrrev_b32_e32 v22, 3, v22
	v_or_b32_e32 v32, 0x380, v0
	v_or_b32_e32 v33, 0x3c0, v0
	v_cndmask_b32_e64 v13, s3, v13, s2
	v_dual_cndmask_b32 v15, s3, v15 :: v_dual_add_nc_u32 v2, v2, v1
	v_cmp_gt_u32_e32 vcc_lo, s19, v23
	v_lshrrev_b32_e32 v23, 3, v23
	v_and_b32_e32 v21, 28, v21
	v_and_b32_e32 v20, 20, v20
	;; [unrolled: 1-line block ×3, first 2 shown]
	v_cndmask_b32_e32 v14, s3, v14, vcc_lo
	v_cmp_gt_u32_e32 vcc_lo, s19, v24
	v_and_b32_e32 v23, 44, v23
	v_lshrrev_b32_e32 v24, 3, v24
	v_add_nc_u32_e32 v21, v21, v1
	v_add_nc_u32_e32 v20, v20, v1
	v_cndmask_b32_e32 v12, s3, v12, vcc_lo
	v_cmp_gt_u32_e32 vcc_lo, s19, v25
	v_lshrrev_b32_e32 v25, 3, v25
	v_add_nc_u32_e32 v23, v23, v1
	v_and_b32_e32 v24, 52, v24
	v_dual_cndmask_b32 v11, s3, v11 :: v_dual_add_nc_u32 v22, v22, v1
	v_cmp_gt_u32_e32 vcc_lo, s19, v26
	v_and_b32_e32 v25, 60, v25
	v_lshrrev_b32_e32 v26, 3, v26
	v_add_nc_u32_e32 v24, v24, v1
	v_cndmask_b32_e32 v10, s3, v10, vcc_lo
	v_cmp_gt_u32_e32 vcc_lo, s19, v27
	v_lshrrev_b32_e32 v27, 3, v27
	v_add_nc_u32_e32 v25, v25, v1
	v_and_b32_e32 v26, 0x44, v26
	ds_store_b32 v2, v13
	ds_store_b32 v19, v18 offset:256
	ds_store_b32 v20, v17 offset:512
	;; [unrolled: 1-line block ×7, first 2 shown]
	v_cndmask_b32_e32 v9, s3, v9, vcc_lo
	v_cmp_gt_u32_e32 vcc_lo, s19, v28
	v_lshrrev_b32_e32 v28, 3, v28
	v_lshrrev_b32_e32 v13, 3, v29
	;; [unrolled: 1-line block ×4, first 2 shown]
	v_cndmask_b32_e32 v8, s3, v8, vcc_lo
	v_cmp_gt_u32_e32 vcc_lo, s19, v29
	v_lshrrev_b32_e32 v16, 3, v32
	v_lshrrev_b32_e32 v17, 3, v33
	v_and_b32_e32 v27, 0x4c, v27
	v_and_b32_e32 v28, 0x54, v28
	v_cndmask_b32_e32 v7, s3, v7, vcc_lo
	v_cmp_gt_u32_e32 vcc_lo, s19, v30
	v_add_nc_u32_e32 v2, v26, v1
	v_add_nc_u32_e32 v11, v27, v1
	v_add_nc_u32_e32 v12, v28, v1
	v_and_b32_e32 v13, 0x5c, v13
	v_cndmask_b32_e32 v6, s3, v6, vcc_lo
	v_cmp_gt_u32_e32 vcc_lo, s19, v31
	v_and_b32_e32 v14, 0x64, v14
	v_and_b32_e32 v15, 0x6c, v15
	;; [unrolled: 1-line block ×4, first 2 shown]
	v_cndmask_b32_e32 v5, s3, v5, vcc_lo
	v_cmp_gt_u32_e32 vcc_lo, s19, v32
	v_add_nc_u32_e32 v13, v13, v1
	v_add_nc_u32_e32 v14, v14, v1
	;; [unrolled: 1-line block ×4, first 2 shown]
	v_cndmask_b32_e32 v4, s3, v4, vcc_lo
	v_cmp_gt_u32_e32 vcc_lo, s19, v33
	v_add_nc_u32_e32 v1, v17, v1
	v_cndmask_b32_e32 v3, s3, v3, vcc_lo
	ds_store_b32 v2, v10 offset:2048
	ds_store_b32 v11, v9 offset:2304
	;; [unrolled: 1-line block ×8, first 2 shown]
	s_waitcnt lgkmcnt(0)
	s_barrier
.LBB123_4:
	v_lshlrev_b32_e32 v1, 4, v0
	v_lshrrev_b32_e32 v34, 1, v0
	buffer_gl0_inv
	s_load_b64 s[4:5], s[0:1], 0x30
	v_lshrrev_b32_e32 v33, 5, v0
	v_cmp_gt_u32_e32 vcc_lo, 32, v0
	v_add_lshl_u32 v1, v34, v1, 2
	s_cmp_lg_u32 s15, 0
	ds_load_2addr_b32 v[29:30], v1 offset1:1
	ds_load_2addr_b32 v[31:32], v1 offset0:2 offset1:3
	ds_load_2addr_b32 v[27:28], v1 offset0:4 offset1:5
	;; [unrolled: 1-line block ×7, first 2 shown]
	s_waitcnt lgkmcnt(0)
	s_barrier
	buffer_gl0_inv
	v_add_nc_u32_e32 v1, v30, v29
	s_delay_alu instid0(VALU_DEP_1)
	v_add3_u32 v35, v1, v31, v32
	s_cbranch_scc0 .LBB123_29
; %bb.5:
	s_delay_alu instid0(VALU_DEP_1) | instskip(SKIP_1) | instid1(VALU_DEP_2)
	v_add3_u32 v1, v35, v27, v28
	v_add_lshl_u32 v2, v33, v0, 2
	v_add3_u32 v1, v1, v25, v26
	s_delay_alu instid0(VALU_DEP_1) | instskip(NEXT) | instid1(VALU_DEP_1)
	v_add3_u32 v1, v1, v23, v24
	v_add3_u32 v1, v1, v21, v22
	s_delay_alu instid0(VALU_DEP_1) | instskip(NEXT) | instid1(VALU_DEP_1)
	v_add3_u32 v1, v1, v17, v18
	v_add3_u32 v1, v1, v19, v20
	ds_store_b32 v2, v1
	s_waitcnt lgkmcnt(0)
	s_barrier
	buffer_gl0_inv
	s_and_saveexec_b32 s3, vcc_lo
	s_cbranch_execz .LBB123_7
; %bb.6:
	v_lshrrev_b32_e32 v2, 2, v0
	v_mbcnt_lo_u32_b32 v5, -1, 0
	s_delay_alu instid0(VALU_DEP_2) | instskip(NEXT) | instid1(VALU_DEP_2)
	v_and_b32_e32 v2, 12, v2
	v_and_b32_e32 v7, 15, v5
	v_add_nc_u32_e32 v9, -1, v5
	s_delay_alu instid0(VALU_DEP_3) | instskip(NEXT) | instid1(VALU_DEP_3)
	v_lshl_or_b32 v4, v0, 3, v2
	v_cmp_ne_u32_e64 s2, 0, v7
	ds_load_2addr_b32 v[2:3], v4 offset1:1
	s_waitcnt lgkmcnt(0)
	v_add_nc_u32_e32 v6, v3, v2
	s_delay_alu instid0(VALU_DEP_1) | instskip(NEXT) | instid1(VALU_DEP_1)
	v_mov_b32_dpp v8, v6 row_shr:1 row_mask:0xf bank_mask:0xf
	v_cndmask_b32_e64 v8, 0, v8, s2
	v_cmp_lt_u32_e64 s2, 1, v7
	s_delay_alu instid0(VALU_DEP_2) | instskip(NEXT) | instid1(VALU_DEP_1)
	v_add_nc_u32_e32 v6, v8, v6
	v_mov_b32_dpp v8, v6 row_shr:2 row_mask:0xf bank_mask:0xf
	s_delay_alu instid0(VALU_DEP_1) | instskip(SKIP_1) | instid1(VALU_DEP_2)
	v_cndmask_b32_e64 v8, 0, v8, s2
	v_cmp_lt_u32_e64 s2, 3, v7
	v_add_nc_u32_e32 v6, v6, v8
	s_delay_alu instid0(VALU_DEP_1) | instskip(NEXT) | instid1(VALU_DEP_1)
	v_mov_b32_dpp v8, v6 row_shr:4 row_mask:0xf bank_mask:0xf
	v_cndmask_b32_e64 v8, 0, v8, s2
	v_cmp_lt_u32_e64 s2, 7, v7
	s_delay_alu instid0(VALU_DEP_2) | instskip(NEXT) | instid1(VALU_DEP_1)
	v_add_nc_u32_e32 v6, v6, v8
	v_mov_b32_dpp v8, v6 row_shr:8 row_mask:0xf bank_mask:0xf
	s_delay_alu instid0(VALU_DEP_1) | instskip(SKIP_2) | instid1(VALU_DEP_3)
	v_cndmask_b32_e64 v7, 0, v8, s2
	v_bfe_i32 v8, v5, 4, 1
	v_cmp_gt_i32_e64 s2, 0, v9
	v_add_nc_u32_e32 v6, v6, v7
	s_delay_alu instid0(VALU_DEP_2)
	v_cndmask_b32_e64 v5, v9, v5, s2
	v_cmp_eq_u32_e64 s2, 0, v0
	ds_swizzle_b32 v7, v6 offset:swizzle(BROADCAST,32,15)
	v_lshlrev_b32_e32 v5, 2, v5
	s_waitcnt lgkmcnt(0)
	v_and_b32_e32 v7, v8, v7
	s_delay_alu instid0(VALU_DEP_1) | instskip(SKIP_3) | instid1(VALU_DEP_1)
	v_add_nc_u32_e32 v6, v6, v7
	ds_bpermute_b32 v5, v5, v6
	s_waitcnt lgkmcnt(0)
	v_add_nc_u32_e32 v2, v5, v2
	v_cndmask_b32_e64 v1, v2, v1, s2
	s_delay_alu instid0(VALU_DEP_1)
	v_add_nc_u32_e32 v2, v1, v3
	ds_store_2addr_b32 v4, v1, v2 offset1:1
.LBB123_7:
	s_or_b32 exec_lo, exec_lo, s3
	v_cmp_eq_u32_e64 s2, 0, v0
	v_mov_b32_e32 v8, 0
	s_mov_b32 s6, exec_lo
	s_waitcnt lgkmcnt(0)
	s_barrier
	buffer_gl0_inv
	v_cmpx_ne_u32_e32 0, v0
	s_cbranch_execz .LBB123_9
; %bb.8:
	v_add_nc_u32_e32 v1, -1, v0
	s_delay_alu instid0(VALU_DEP_1) | instskip(NEXT) | instid1(VALU_DEP_1)
	v_lshrrev_b32_e32 v2, 5, v1
	v_add_lshl_u32 v1, v2, v1, 2
	ds_load_b32 v8, v1
.LBB123_9:
	s_or_b32 exec_lo, exec_lo, s6
	s_and_saveexec_b32 s11, vcc_lo
	s_cbranch_execz .LBB123_28
; %bb.10:
	v_mov_b32_e32 v4, 0
	v_mbcnt_lo_u32_b32 v16, -1, 0
	s_mov_b32 s7, 0
	ds_load_b32 v1, v4 offset:256
	v_cmp_eq_u32_e64 s3, 0, v16
	s_delay_alu instid0(VALU_DEP_1)
	s_and_saveexec_b32 s12, s3
	s_cbranch_execz .LBB123_12
; %bb.11:
	s_add_i32 s6, s15, 32
	v_mov_b32_e32 v2, 1
	s_lshl_b64 s[6:7], s[6:7], 3
	s_delay_alu instid0(SALU_CYCLE_1)
	s_add_u32 s6, s4, s6
	s_addc_u32 s7, s5, s7
	s_waitcnt lgkmcnt(0)
	global_store_b64 v4, v[1:2], s[6:7]
.LBB123_12:
	s_or_b32 exec_lo, exec_lo, s12
	v_xad_u32 v2, v16, -1, s15
	s_mov_b32 s6, exec_lo
	s_delay_alu instid0(VALU_DEP_1) | instskip(NEXT) | instid1(VALU_DEP_1)
	v_add_nc_u32_e32 v3, 32, v2
	v_lshlrev_b64 v[3:4], 3, v[3:4]
	s_delay_alu instid0(VALU_DEP_1) | instskip(NEXT) | instid1(VALU_DEP_2)
	v_add_co_u32 v6, vcc_lo, s4, v3
	v_add_co_ci_u32_e32 v7, vcc_lo, s5, v4, vcc_lo
	global_load_b64 v[4:5], v[6:7], off glc
	s_waitcnt vmcnt(0)
	v_and_b32_e32 v3, 0xff, v5
	s_delay_alu instid0(VALU_DEP_1)
	v_cmpx_eq_u16_e32 0, v3
	s_cbranch_execz .LBB123_16
; %bb.13:
	s_mov_b32 s7, 0
.LBB123_14:                             ; =>This Inner Loop Header: Depth=1
	global_load_b64 v[4:5], v[6:7], off glc
	s_waitcnt vmcnt(0)
	v_and_b32_e32 v3, 0xff, v5
	s_delay_alu instid0(VALU_DEP_1) | instskip(SKIP_1) | instid1(SALU_CYCLE_1)
	v_cmp_ne_u16_e32 vcc_lo, 0, v3
	s_or_b32 s7, vcc_lo, s7
	s_and_not1_b32 exec_lo, exec_lo, s7
	s_cbranch_execnz .LBB123_14
; %bb.15:
	s_or_b32 exec_lo, exec_lo, s7
.LBB123_16:
	s_delay_alu instid0(SALU_CYCLE_1)
	s_or_b32 exec_lo, exec_lo, s6
	v_cmp_ne_u32_e32 vcc_lo, 31, v16
	v_lshlrev_b32_e64 v10, v16, -1
	v_add_nc_u32_e32 v11, 1, v16
	v_add_nc_u32_e32 v13, 2, v16
	;; [unrolled: 1-line block ×3, first 2 shown]
	v_add_co_ci_u32_e32 v3, vcc_lo, 0, v16, vcc_lo
	v_add_nc_u32_e32 v37, 8, v16
	v_add_nc_u32_e32 v39, 16, v16
	s_delay_alu instid0(VALU_DEP_3)
	v_lshlrev_b32_e32 v9, 2, v3
	v_and_b32_e32 v3, 0xff, v5
	ds_bpermute_b32 v6, v9, v4
	v_cmp_eq_u16_e32 vcc_lo, 2, v3
	v_and_or_b32 v3, vcc_lo, v10, 0x80000000
	v_cmp_gt_u32_e32 vcc_lo, 30, v16
	s_delay_alu instid0(VALU_DEP_2) | instskip(SKIP_1) | instid1(VALU_DEP_2)
	v_ctz_i32_b32_e32 v3, v3
	v_cndmask_b32_e64 v7, 0, 1, vcc_lo
	v_cmp_le_u32_e32 vcc_lo, v11, v3
	s_waitcnt lgkmcnt(0)
	s_delay_alu instid0(VALU_DEP_2) | instskip(NEXT) | instid1(VALU_DEP_1)
	v_dual_cndmask_b32 v6, 0, v6 :: v_dual_lshlrev_b32 v7, 1, v7
	v_add_lshl_u32 v12, v7, v16, 2
	v_cmp_gt_u32_e32 vcc_lo, 28, v16
	s_delay_alu instid0(VALU_DEP_3) | instskip(SKIP_4) | instid1(VALU_DEP_1)
	v_add_nc_u32_e32 v4, v6, v4
	v_cndmask_b32_e64 v7, 0, 1, vcc_lo
	v_cmp_le_u32_e32 vcc_lo, v13, v3
	ds_bpermute_b32 v6, v12, v4
	v_lshlrev_b32_e32 v7, 2, v7
	v_add_lshl_u32 v14, v7, v16, 2
	s_waitcnt lgkmcnt(0)
	v_cndmask_b32_e32 v6, 0, v6, vcc_lo
	v_cmp_gt_u32_e32 vcc_lo, 24, v16
	s_delay_alu instid0(VALU_DEP_2) | instskip(SKIP_4) | instid1(VALU_DEP_1)
	v_add_nc_u32_e32 v4, v4, v6
	v_cndmask_b32_e64 v7, 0, 1, vcc_lo
	v_cmp_le_u32_e32 vcc_lo, v15, v3
	ds_bpermute_b32 v6, v14, v4
	v_lshlrev_b32_e32 v7, 3, v7
	v_add_lshl_u32 v36, v7, v16, 2
	s_waitcnt lgkmcnt(0)
	v_cndmask_b32_e32 v6, 0, v6, vcc_lo
	v_cmp_gt_u32_e32 vcc_lo, 16, v16
	s_delay_alu instid0(VALU_DEP_2) | instskip(SKIP_4) | instid1(VALU_DEP_1)
	v_add_nc_u32_e32 v4, v4, v6
	v_cndmask_b32_e64 v7, 0, 1, vcc_lo
	v_cmp_le_u32_e32 vcc_lo, v37, v3
	ds_bpermute_b32 v6, v36, v4
	v_lshlrev_b32_e32 v7, 4, v7
	v_add_lshl_u32 v38, v7, v16, 2
	s_waitcnt lgkmcnt(0)
	v_cndmask_b32_e32 v6, 0, v6, vcc_lo
	v_cmp_le_u32_e32 vcc_lo, v39, v3
	s_delay_alu instid0(VALU_DEP_2) | instskip(SKIP_3) | instid1(VALU_DEP_1)
	v_add_nc_u32_e32 v4, v4, v6
	ds_bpermute_b32 v6, v38, v4
	s_waitcnt lgkmcnt(0)
	v_cndmask_b32_e32 v3, 0, v6, vcc_lo
	v_dual_mov_b32 v3, 0 :: v_dual_add_nc_u32 v4, v4, v3
	s_branch .LBB123_18
.LBB123_17:                             ;   in Loop: Header=BB123_18 Depth=1
	s_or_b32 exec_lo, exec_lo, s6
	ds_bpermute_b32 v7, v9, v4
	v_and_b32_e32 v6, 0xff, v5
	v_subrev_nc_u32_e32 v2, 32, v2
	s_delay_alu instid0(VALU_DEP_2) | instskip(SKIP_1) | instid1(VALU_DEP_1)
	v_cmp_eq_u16_e32 vcc_lo, 2, v6
	v_and_or_b32 v6, vcc_lo, v10, 0x80000000
	v_ctz_i32_b32_e32 v6, v6
	s_delay_alu instid0(VALU_DEP_1) | instskip(SKIP_3) | instid1(VALU_DEP_2)
	v_cmp_le_u32_e32 vcc_lo, v11, v6
	s_waitcnt lgkmcnt(0)
	v_cndmask_b32_e32 v7, 0, v7, vcc_lo
	v_cmp_le_u32_e32 vcc_lo, v13, v6
	v_add_nc_u32_e32 v4, v7, v4
	ds_bpermute_b32 v7, v12, v4
	s_waitcnt lgkmcnt(0)
	v_cndmask_b32_e32 v7, 0, v7, vcc_lo
	v_cmp_le_u32_e32 vcc_lo, v15, v6
	s_delay_alu instid0(VALU_DEP_2) | instskip(SKIP_4) | instid1(VALU_DEP_2)
	v_add_nc_u32_e32 v4, v4, v7
	ds_bpermute_b32 v7, v14, v4
	s_waitcnt lgkmcnt(0)
	v_cndmask_b32_e32 v7, 0, v7, vcc_lo
	v_cmp_le_u32_e32 vcc_lo, v37, v6
	v_add_nc_u32_e32 v4, v4, v7
	ds_bpermute_b32 v7, v36, v4
	s_waitcnt lgkmcnt(0)
	v_cndmask_b32_e32 v7, 0, v7, vcc_lo
	v_cmp_le_u32_e32 vcc_lo, v39, v6
	s_delay_alu instid0(VALU_DEP_2) | instskip(SKIP_3) | instid1(VALU_DEP_1)
	v_add_nc_u32_e32 v4, v4, v7
	ds_bpermute_b32 v7, v38, v4
	s_waitcnt lgkmcnt(0)
	v_cndmask_b32_e32 v6, 0, v7, vcc_lo
	v_add3_u32 v4, v6, v16, v4
.LBB123_18:                             ; =>This Loop Header: Depth=1
                                        ;     Child Loop BB123_21 Depth 2
	s_delay_alu instid0(VALU_DEP_1) | instskip(NEXT) | instid1(VALU_DEP_1)
	v_dual_mov_b32 v16, v4 :: v_dual_and_b32 v5, 0xff, v5
	v_cmp_ne_u16_e32 vcc_lo, 2, v5
	v_cndmask_b32_e64 v5, 0, 1, vcc_lo
	;;#ASMSTART
	;;#ASMEND
	s_delay_alu instid0(VALU_DEP_1)
	v_cmp_ne_u32_e32 vcc_lo, 0, v5
	s_cmp_lg_u32 vcc_lo, exec_lo
	s_cbranch_scc1 .LBB123_23
; %bb.19:                               ;   in Loop: Header=BB123_18 Depth=1
	v_lshlrev_b64 v[4:5], 3, v[2:3]
	s_mov_b32 s6, exec_lo
	s_delay_alu instid0(VALU_DEP_1) | instskip(NEXT) | instid1(VALU_DEP_2)
	v_add_co_u32 v6, vcc_lo, s4, v4
	v_add_co_ci_u32_e32 v7, vcc_lo, s5, v5, vcc_lo
	global_load_b64 v[4:5], v[6:7], off glc
	s_waitcnt vmcnt(0)
	v_and_b32_e32 v40, 0xff, v5
	s_delay_alu instid0(VALU_DEP_1)
	v_cmpx_eq_u16_e32 0, v40
	s_cbranch_execz .LBB123_17
; %bb.20:                               ;   in Loop: Header=BB123_18 Depth=1
	s_mov_b32 s7, 0
.LBB123_21:                             ;   Parent Loop BB123_18 Depth=1
                                        ; =>  This Inner Loop Header: Depth=2
	global_load_b64 v[4:5], v[6:7], off glc
	s_waitcnt vmcnt(0)
	v_and_b32_e32 v40, 0xff, v5
	s_delay_alu instid0(VALU_DEP_1) | instskip(SKIP_1) | instid1(SALU_CYCLE_1)
	v_cmp_ne_u16_e32 vcc_lo, 0, v40
	s_or_b32 s7, vcc_lo, s7
	s_and_not1_b32 exec_lo, exec_lo, s7
	s_cbranch_execnz .LBB123_21
; %bb.22:                               ;   in Loop: Header=BB123_18 Depth=1
	s_or_b32 exec_lo, exec_lo, s7
	s_branch .LBB123_17
.LBB123_23:                             ;   in Loop: Header=BB123_18 Depth=1
                                        ; implicit-def: $vgpr4
                                        ; implicit-def: $vgpr5
	s_cbranch_execz .LBB123_18
; %bb.24:
	s_and_saveexec_b32 s6, s3
	s_cbranch_execz .LBB123_26
; %bb.25:
	s_add_i32 s12, s15, 32
	s_mov_b32 s13, 0
	v_dual_mov_b32 v3, 0 :: v_dual_mov_b32 v2, 2
	s_lshl_b64 s[12:13], s[12:13], 3
	v_add_nc_u32_e32 v1, v16, v1
	s_add_u32 s12, s4, s12
	s_addc_u32 s13, s5, s13
	global_store_b64 v3, v[1:2], s[12:13]
.LBB123_26:
	s_or_b32 exec_lo, exec_lo, s6
	s_delay_alu instid0(SALU_CYCLE_1)
	s_and_b32 exec_lo, exec_lo, s2
	s_cbranch_execz .LBB123_28
; %bb.27:
	v_mov_b32_e32 v1, 0
	ds_store_b32 v1, v16
.LBB123_28:
	s_or_b32 exec_lo, exec_lo, s11
	v_mov_b32_e32 v1, 0
	s_waitcnt lgkmcnt(0)
	s_waitcnt_vscnt null, 0x0
	s_barrier
	buffer_gl0_inv
	ds_load_b32 v1, v1
	s_waitcnt lgkmcnt(0)
	v_add_nc_u32_e32 v1, v1, v8
	s_delay_alu instid0(VALU_DEP_1) | instskip(NEXT) | instid1(VALU_DEP_1)
	v_add_nc_u32_e32 v2, v1, v29
	v_add_nc_u32_e32 v3, v2, v30
	s_delay_alu instid0(VALU_DEP_1) | instskip(NEXT) | instid1(VALU_DEP_1)
	v_add_nc_u32_e32 v4, v3, v31
	;; [unrolled: 3-line block ×7, first 2 shown]
	v_add_nc_u32_e32 v15, v14, v18
	s_delay_alu instid0(VALU_DEP_1)
	v_add_nc_u32_e32 v16, v15, v19
	s_load_b128 s[28:31], s[0:1], 0x40
	s_branch .LBB123_40
.LBB123_29:
                                        ; implicit-def: $vgpr1_vgpr2_vgpr3_vgpr4_vgpr5_vgpr6_vgpr7_vgpr8_vgpr9_vgpr10_vgpr11_vgpr12_vgpr13_vgpr14_vgpr15_vgpr16
	s_load_b128 s[28:31], s[0:1], 0x40
	s_cbranch_execz .LBB123_40
; %bb.30:
	s_load_b32 s2, s[0:1], 0x50
	s_waitcnt lgkmcnt(0)
	s_bitcmp0_b32 s2, 0
	s_cbranch_scc1 .LBB123_32
; %bb.31:
	s_load_b32 s2, s[28:29], 0x0
	s_waitcnt lgkmcnt(0)
	s_add_i32 s2, s10, s2
	s_delay_alu instid0(SALU_CYCLE_1)
	s_add_i32 s3, s2, -1
	s_branch .LBB123_33
.LBB123_32:
	s_load_b32 s3, s[0:1], 0x28
.LBB123_33:
	v_add3_u32 v1, v35, v27, v28
	v_add_lshl_u32 v2, v33, v0, 2
	s_mov_b32 s2, exec_lo
	s_delay_alu instid0(VALU_DEP_2) | instskip(NEXT) | instid1(VALU_DEP_1)
	v_add3_u32 v1, v1, v25, v26
	v_add3_u32 v1, v1, v23, v24
	s_delay_alu instid0(VALU_DEP_1) | instskip(NEXT) | instid1(VALU_DEP_1)
	v_add3_u32 v1, v1, v21, v22
	v_add3_u32 v1, v1, v17, v18
	s_delay_alu instid0(VALU_DEP_1)
	v_add3_u32 v1, v1, v19, v20
	ds_store_b32 v2, v1
	s_waitcnt lgkmcnt(0)
	s_barrier
	buffer_gl0_inv
	v_cmpx_gt_u32_e32 32, v0
	s_cbranch_execz .LBB123_35
; %bb.34:
	v_lshrrev_b32_e32 v2, 2, v0
	v_mbcnt_lo_u32_b32 v5, -1, 0
	s_delay_alu instid0(VALU_DEP_2) | instskip(NEXT) | instid1(VALU_DEP_2)
	v_and_b32_e32 v2, 12, v2
	v_add_nc_u32_e32 v9, -1, v5
	s_delay_alu instid0(VALU_DEP_2) | instskip(SKIP_3) | instid1(VALU_DEP_1)
	v_lshl_or_b32 v4, v0, 3, v2
	ds_load_2addr_b32 v[2:3], v4 offset1:1
	s_waitcnt lgkmcnt(0)
	v_add_nc_u32_e32 v6, v3, v2
	v_mov_b32_dpp v8, v6 row_shr:1 row_mask:0xf bank_mask:0xf
	v_and_b32_e32 v7, 15, v5
	s_delay_alu instid0(VALU_DEP_1) | instskip(NEXT) | instid1(VALU_DEP_3)
	v_cmp_ne_u32_e32 vcc_lo, 0, v7
	v_cndmask_b32_e32 v8, 0, v8, vcc_lo
	v_cmp_lt_u32_e32 vcc_lo, 1, v7
	s_delay_alu instid0(VALU_DEP_2) | instskip(NEXT) | instid1(VALU_DEP_1)
	v_add_nc_u32_e32 v6, v8, v6
	v_mov_b32_dpp v8, v6 row_shr:2 row_mask:0xf bank_mask:0xf
	s_delay_alu instid0(VALU_DEP_1) | instskip(SKIP_1) | instid1(VALU_DEP_2)
	v_cndmask_b32_e32 v8, 0, v8, vcc_lo
	v_cmp_lt_u32_e32 vcc_lo, 3, v7
	v_add_nc_u32_e32 v6, v6, v8
	s_delay_alu instid0(VALU_DEP_1) | instskip(NEXT) | instid1(VALU_DEP_1)
	v_mov_b32_dpp v8, v6 row_shr:4 row_mask:0xf bank_mask:0xf
	v_cndmask_b32_e32 v8, 0, v8, vcc_lo
	v_cmp_lt_u32_e32 vcc_lo, 7, v7
	s_delay_alu instid0(VALU_DEP_2) | instskip(NEXT) | instid1(VALU_DEP_1)
	v_add_nc_u32_e32 v6, v6, v8
	v_mov_b32_dpp v8, v6 row_shr:8 row_mask:0xf bank_mask:0xf
	s_delay_alu instid0(VALU_DEP_1) | instskip(SKIP_2) | instid1(VALU_DEP_3)
	v_cndmask_b32_e32 v7, 0, v8, vcc_lo
	v_bfe_i32 v8, v5, 4, 1
	v_cmp_gt_i32_e32 vcc_lo, 0, v9
	v_dual_cndmask_b32 v5, v9, v5 :: v_dual_add_nc_u32 v6, v6, v7
	v_cmp_eq_u32_e32 vcc_lo, 0, v0
	ds_swizzle_b32 v7, v6 offset:swizzle(BROADCAST,32,15)
	v_lshlrev_b32_e32 v5, 2, v5
	s_waitcnt lgkmcnt(0)
	v_and_b32_e32 v7, v8, v7
	s_delay_alu instid0(VALU_DEP_1) | instskip(SKIP_3) | instid1(VALU_DEP_1)
	v_add_nc_u32_e32 v6, v6, v7
	ds_bpermute_b32 v5, v5, v6
	s_waitcnt lgkmcnt(0)
	v_add_nc_u32_e32 v2, v5, v2
	v_cndmask_b32_e32 v1, v2, v1, vcc_lo
	s_delay_alu instid0(VALU_DEP_1)
	v_add_nc_u32_e32 v2, v1, v3
	ds_store_2addr_b32 v4, v1, v2 offset1:1
.LBB123_35:
	s_or_b32 exec_lo, exec_lo, s2
	v_cmp_eq_u32_e32 vcc_lo, 0, v0
	v_mov_b32_e32 v1, s3
	s_mov_b32 s6, exec_lo
	s_waitcnt lgkmcnt(0)
	s_barrier
	buffer_gl0_inv
	v_cmpx_ne_u32_e32 0, v0
	s_cbranch_execz .LBB123_37
; %bb.36:
	v_add_nc_u32_e32 v1, -1, v0
	s_delay_alu instid0(VALU_DEP_1) | instskip(NEXT) | instid1(VALU_DEP_1)
	v_lshrrev_b32_e32 v2, 5, v1
	v_add_lshl_u32 v1, v2, v1, 2
	ds_load_b32 v1, v1
	s_waitcnt lgkmcnt(0)
	v_add_nc_u32_e32 v1, s3, v1
.LBB123_37:
	s_or_b32 exec_lo, exec_lo, s6
	s_delay_alu instid0(VALU_DEP_1) | instskip(NEXT) | instid1(VALU_DEP_1)
	v_add_nc_u32_e32 v2, v1, v29
	v_add_nc_u32_e32 v3, v2, v30
	s_delay_alu instid0(VALU_DEP_1) | instskip(NEXT) | instid1(VALU_DEP_1)
	v_add_nc_u32_e32 v4, v3, v31
	v_add_nc_u32_e32 v5, v4, v32
	;; [unrolled: 3-line block ×7, first 2 shown]
	s_delay_alu instid0(VALU_DEP_1)
	v_add_nc_u32_e32 v16, v15, v19
	s_and_saveexec_b32 s2, vcc_lo
	s_cbranch_execz .LBB123_39
; %bb.38:
	v_dual_mov_b32 v19, 0 :: v_dual_mov_b32 v18, 2
	ds_load_b32 v17, v19 offset:256
	s_waitcnt lgkmcnt(0)
	v_add_nc_u32_e32 v17, s3, v17
	global_store_b64 v19, v[17:18], s[4:5] offset:256
.LBB123_39:
	s_or_b32 exec_lo, exec_lo, s2
.LBB123_40:
	v_lshlrev_b32_e32 v18, 6, v0
	v_or_b32_e32 v17, s8, v0
	s_and_b32 vcc_lo, exec_lo, s9
	s_mov_b32 s2, -1
	s_waitcnt lgkmcnt(0)
	s_waitcnt_vscnt null, 0x0
	s_barrier
	buffer_gl0_inv
	s_cbranch_vccz .LBB123_44
; %bb.41:
	v_add_co_u32 v19, s2, s24, v17
	s_delay_alu instid0(VALU_DEP_1) | instskip(SKIP_1) | instid1(VALU_DEP_3)
	v_add_co_ci_u32_e64 v20, null, s25, 0, s2
	v_lshl_add_u32 v25, v34, 2, v18
	v_add_co_u32 v21, vcc_lo, v19, 64
	s_delay_alu instid0(VALU_DEP_3) | instskip(SKIP_2) | instid1(VALU_DEP_3)
	v_add_co_ci_u32_e32 v22, vcc_lo, 0, v20, vcc_lo
	v_add_co_u32 v23, vcc_lo, 0x80, v19
	v_add_co_ci_u32_e32 v24, vcc_lo, 0, v20, vcc_lo
	v_cmp_eq_u64_e64 s2, s[22:23], v[21:22]
	v_add_co_u32 v21, s4, 0xc0, v19
	v_cmp_eq_u64_e64 s3, s[22:23], v[19:20]
	v_add_co_ci_u32_e64 v22, s4, 0, v20, s4
	v_cmp_eq_u64_e32 vcc_lo, s[22:23], v[23:24]
	v_add_co_u32 v23, s4, 0x100, v19
	s_delay_alu instid0(VALU_DEP_1) | instskip(NEXT) | instid1(VALU_DEP_4)
	v_add_co_ci_u32_e64 v24, s4, 0, v20, s4
	v_cmp_eq_u64_e64 s4, s[22:23], v[21:22]
	v_add_co_u32 v21, s5, 0x140, v19
	s_or_b32 s3, s3, s2
	v_add_co_ci_u32_e64 v22, s5, 0, v20, s5
	s_or_b32 s6, vcc_lo, s3
	v_cmp_eq_u64_e64 s3, s[22:23], v[23:24]
	v_add_co_u32 v23, s5, 0x180, v19
	s_delay_alu instid0(VALU_DEP_1) | instskip(SKIP_3) | instid1(VALU_DEP_1)
	v_add_co_ci_u32_e64 v24, s5, 0, v20, s5
	s_or_b32 s5, s4, s6
	v_cmp_eq_u64_e64 s6, s[22:23], v[21:22]
	v_add_co_u32 v21, s7, 0x1c0, v19
	v_add_co_ci_u32_e64 v22, s7, 0, v20, s7
	s_or_b32 s8, s3, s5
	v_cmp_eq_u64_e64 s5, s[22:23], v[23:24]
	v_add_co_u32 v23, s7, 0x200, v19
	s_delay_alu instid0(VALU_DEP_1)
	v_add_co_ci_u32_e64 v24, s7, 0, v20, s7
	s_or_b32 s7, s6, s8
	v_cmp_eq_u64_e64 s8, s[22:23], v[21:22]
	v_add_co_u32 v21, s9, 0x240, v19
	s_or_b32 s10, s5, s7
	v_cmp_eq_u64_e64 s7, s[22:23], v[23:24]
	v_add_co_ci_u32_e64 v22, s9, 0, v20, s9
	s_delay_alu instid0(VALU_DEP_4)
	s_or_b32 s9, s8, s10
	ds_store_2addr_b32 v25, v1, v2 offset1:1
	ds_store_2addr_b32 v25, v3, v4 offset0:2 offset1:3
	ds_store_2addr_b32 v25, v5, v6 offset0:4 offset1:5
	;; [unrolled: 1-line block ×7, first 2 shown]
	s_or_b32 s11, s7, s9
	v_cmp_eq_u64_e64 s9, s[22:23], v[21:22]
	v_add_co_u32 v21, s10, 0x280, v19
	s_delay_alu instid0(VALU_DEP_1) | instskip(SKIP_1) | instid1(VALU_DEP_3)
	v_add_co_ci_u32_e64 v22, s10, 0, v20, s10
	s_waitcnt lgkmcnt(0)
	s_or_b32 s12, s9, s11
	s_barrier
	s_delay_alu instid0(VALU_DEP_1) | instskip(SKIP_1) | instid1(VALU_DEP_1)
	v_cmp_eq_u64_e64 s10, s[22:23], v[21:22]
	v_add_co_u32 v21, s11, 0x2c0, v19
	v_add_co_ci_u32_e64 v22, s11, 0, v20, s11
	v_add_co_u32 v23, s11, 0x300, v19
	s_delay_alu instid0(VALU_DEP_1) | instskip(NEXT) | instid1(VALU_DEP_3)
	v_add_co_ci_u32_e64 v24, s11, 0, v20, s11
	v_cmp_eq_u64_e64 s11, s[22:23], v[21:22]
	v_add_co_u32 v21, s13, 0x340, v19
	s_delay_alu instid0(VALU_DEP_1) | instskip(SKIP_3) | instid1(VALU_DEP_1)
	v_add_co_ci_u32_e64 v22, s13, 0, v20, s13
	s_or_b32 s14, s10, s12
	v_cmp_eq_u64_e64 s12, s[22:23], v[23:24]
	v_add_co_u32 v23, s13, 0x380, v19
	v_add_co_ci_u32_e64 v24, s13, 0, v20, s13
	v_add_co_u32 v19, s13, 0x3c0, v19
	s_delay_alu instid0(VALU_DEP_1)
	v_add_co_ci_u32_e64 v20, s13, 0, v20, s13
	v_cmp_eq_u64_e64 s13, s[22:23], v[21:22]
	s_or_b32 s15, s11, s14
	v_cmp_eq_u64_e64 s14, s[22:23], v[23:24]
	s_or_b32 s16, s12, s15
	v_cmp_eq_u64_e64 s15, s[22:23], v[19:20]
	v_mov_b32_e32 v19, 0
	s_or_b32 s16, s13, s16
	buffer_gl0_inv
	s_or_b32 s16, s14, s16
	s_delay_alu instid0(SALU_CYCLE_1) | instskip(NEXT) | instid1(SALU_CYCLE_1)
	s_or_b32 s17, s15, s16
	s_and_saveexec_b32 s16, s17
	s_cbranch_execz .LBB123_43
; %bb.42:
	v_or_b32_e32 v20, 64, v0
	v_or_b32_e32 v21, 0x80, v0
	;; [unrolled: 1-line block ×3, first 2 shown]
	v_add_lshl_u32 v23, v33, v0, 2
	v_or_b32_e32 v24, 0x100, v0
	v_lshrrev_b32_e32 v20, 5, v20
	v_lshrrev_b32_e32 v21, 5, v21
	;; [unrolled: 1-line block ×3, first 2 shown]
	v_or_b32_e32 v26, 0x180, v0
	v_lshrrev_b32_e32 v24, 5, v24
	v_add_lshl_u32 v20, v20, v0, 2
	v_add_lshl_u32 v21, v21, v0, 2
	;; [unrolled: 1-line block ×3, first 2 shown]
	v_lshrrev_b32_e32 v26, 5, v26
	v_or_b32_e32 v25, 0x140, v0
	ds_load_b32 v20, v20 offset:256
	ds_load_b32 v23, v23
	ds_load_b32 v21, v21 offset:512
	ds_load_b32 v22, v22 offset:768
	v_add_lshl_u32 v24, v24, v0, 2
	v_add_lshl_u32 v26, v26, v0, 2
	v_lshrrev_b32_e32 v25, 5, v25
	v_or_b32_e32 v27, 0x1c0, v0
	v_or_b32_e32 v28, 0x200, v0
	ds_load_b32 v24, v24 offset:1024
	ds_load_b32 v26, v26 offset:1536
	v_add_lshl_u32 v25, v25, v0, 2
	v_lshrrev_b32_e32 v27, 5, v27
	v_lshrrev_b32_e32 v28, 5, v28
	ds_load_b32 v25, v25 offset:1280
	v_add_lshl_u32 v28, v28, v0, 2
	s_waitcnt lgkmcnt(5)
	v_cndmask_b32_e64 v20, v23, v20, s2
	v_add_lshl_u32 v23, v27, v0, 2
	ds_load_b32 v28, v28 offset:2048
	v_or_b32_e32 v27, 0x240, v0
	s_waitcnt lgkmcnt(5)
	v_cndmask_b32_e32 v20, v20, v21, vcc_lo
	ds_load_b32 v21, v23 offset:1792
	s_waitcnt lgkmcnt(5)
	v_cndmask_b32_e64 v20, v20, v22, s4
	v_or_b32_e32 v22, 0x2c0, v0
	s_waitcnt lgkmcnt(4)
	s_delay_alu instid0(VALU_DEP_2) | instskip(NEXT) | instid1(VALU_DEP_2)
	v_cndmask_b32_e64 v20, v20, v24, s3
	v_lshrrev_b32_e32 v22, 5, v22
	v_or_b32_e32 v24, 0x300, v0
	s_waitcnt lgkmcnt(2)
	s_delay_alu instid0(VALU_DEP_3) | instskip(NEXT) | instid1(VALU_DEP_3)
	v_cndmask_b32_e64 v20, v20, v25, s6
	v_add_lshl_u32 v22, v22, v0, 2
	s_delay_alu instid0(VALU_DEP_3) | instskip(SKIP_1) | instid1(VALU_DEP_4)
	v_lshrrev_b32_e32 v24, 5, v24
	v_or_b32_e32 v25, 0x340, v0
	v_cndmask_b32_e64 v20, v20, v26, s5
	ds_load_b32 v22, v22 offset:2816
	v_lshrrev_b32_e32 v23, 5, v27
	v_or_b32_e32 v27, 0x280, v0
	v_add_lshl_u32 v24, v24, v0, 2
	v_lshrrev_b32_e32 v25, 5, v25
	v_or_b32_e32 v26, 0x380, v0
	v_add_lshl_u32 v23, v23, v0, 2
	v_lshrrev_b32_e32 v27, 5, v27
	s_waitcnt lgkmcnt(1)
	v_cndmask_b32_e64 v20, v20, v21, s8
	ds_load_b32 v21, v24 offset:3072
	v_add_lshl_u32 v24, v25, v0, 2
	ds_load_b32 v23, v23 offset:2304
	v_add_lshl_u32 v27, v27, v0, 2
	v_lshrrev_b32_e32 v25, 5, v26
	v_or_b32_e32 v26, 0x3c0, v0
	v_cndmask_b32_e64 v20, v20, v28, s7
	ds_load_b32 v24, v24 offset:3328
	ds_load_b32 v27, v27 offset:2560
	v_add_lshl_u32 v25, v25, v0, 2
	v_lshrrev_b32_e32 v26, 5, v26
	s_waitcnt lgkmcnt(2)
	v_cndmask_b32_e64 v20, v20, v23, s9
	ds_load_b32 v23, v25 offset:3584
	v_add_lshl_u32 v25, v26, v0, 2
	s_waitcnt lgkmcnt(1)
	v_cndmask_b32_e64 v20, v20, v27, s10
	ds_load_b32 v25, v25 offset:3840
	v_cndmask_b32_e64 v20, v20, v22, s11
	s_delay_alu instid0(VALU_DEP_1) | instskip(NEXT) | instid1(VALU_DEP_1)
	v_cndmask_b32_e64 v20, v20, v21, s12
	v_cndmask_b32_e64 v20, v20, v24, s13
	s_waitcnt lgkmcnt(1)
	s_delay_alu instid0(VALU_DEP_1) | instskip(SKIP_1) | instid1(VALU_DEP_1)
	v_cndmask_b32_e64 v20, v20, v23, s14
	s_waitcnt lgkmcnt(0)
	v_cndmask_b32_e64 v20, v20, v25, s15
	global_store_b32 v19, v20, s[20:21]
.LBB123_43:
	s_or_b32 exec_lo, exec_lo, s16
	s_mov_b32 s2, 0
.LBB123_44:
	s_delay_alu instid0(SALU_CYCLE_1)
	s_and_not1_b32 vcc_lo, exec_lo, s2
	s_cbranch_vccnz .LBB123_102
; %bb.45:
	v_lshl_add_u32 v18, v34, 2, v18
	v_add_nc_u32_e32 v20, 0x1c0, v0
	v_add_nc_u32_e32 v22, 0x240, v0
	;; [unrolled: 1-line block ×4, first 2 shown]
	ds_store_2addr_b32 v18, v1, v2 offset1:1
	ds_store_2addr_b32 v18, v3, v4 offset0:2 offset1:3
	ds_store_2addr_b32 v18, v5, v6 offset0:4 offset1:5
	;; [unrolled: 1-line block ×7, first 2 shown]
	v_add_nc_u32_e32 v1, 64, v0
	v_add_nc_u32_e32 v13, 0xc0, v0
	;; [unrolled: 1-line block ×5, first 2 shown]
	v_lshrrev_b32_e32 v3, 5, v1
	v_add_nc_u32_e32 v16, 0x180, v0
	v_lshrrev_b32_e32 v4, 5, v12
	v_lshrrev_b32_e32 v6, 5, v14
	;; [unrolled: 1-line block ×3, first 2 shown]
	v_add_lshl_u32 v5, v3, v0, 2
	v_lshrrev_b32_e32 v3, 5, v13
	v_lshrrev_b32_e32 v9, 5, v20
	v_add_lshl_u32 v2, v33, v0, 2
	v_lshrrev_b32_e32 v18, 5, v22
	v_add_lshl_u32 v4, v4, v0, 2
	v_add_lshl_u32 v8, v3, v0, 2
	v_lshrrev_b32_e32 v3, 5, v16
	v_add_nc_u32_e32 v21, 0x200, v0
	v_lshrrev_b32_e32 v19, 5, v23
	v_add_lshl_u32 v6, v6, v0, 2
	v_add_lshl_u32 v7, v7, v0, 2
	;; [unrolled: 1-line block ×4, first 2 shown]
	s_waitcnt lgkmcnt(0)
	s_waitcnt_vscnt null, 0x0
	s_barrier
	buffer_gl0_inv
	ds_load_b32 v3, v2
	ds_load_b32 v2, v5 offset:256
	ds_load_b32 v4, v4 offset:512
	ds_load_b32 v5, v8 offset:768
	ds_load_b32 v6, v6 offset:1024
	ds_load_b32 v7, v7 offset:1280
	ds_load_b32 v8, v10 offset:1536
	ds_load_b32 v9, v9 offset:1792
	v_add_lshl_u32 v26, v18, v0, 2
	v_lshrrev_b32_e32 v10, 5, v24
	v_add_co_u32 v18, s2, s24, v17
	v_lshrrev_b32_e32 v11, 5, v21
	v_add_lshl_u32 v27, v19, v0, 2
	v_add_co_ci_u32_e64 v19, null, s25, 0, s2
	v_add_lshl_u32 v17, v10, v0, 2
	v_add_co_u32 v10, vcc_lo, v18, 64
	v_add_lshl_u32 v25, v11, v0, 2
	s_delay_alu instid0(VALU_DEP_4) | instskip(SKIP_3) | instid1(VALU_DEP_4)
	v_add_co_ci_u32_e32 v11, vcc_lo, 0, v19, vcc_lo
	v_cmp_eq_u64_e64 s2, s[22:23], v[18:19]
	v_cmp_gt_u32_e32 vcc_lo, s19, v0
	v_cmp_gt_u32_e64 s3, s19, v1
	v_cmp_eq_u64_e64 s4, s[22:23], v[10:11]
	v_add_co_u32 v10, s5, 0x80, v18
	s_delay_alu instid0(VALU_DEP_1) | instskip(SKIP_1) | instid1(VALU_DEP_3)
	v_add_co_ci_u32_e64 v11, s5, 0, v19, s5
	s_and_b32 s5, vcc_lo, s2
	s_and_b32 vcc_lo, s3, s4
	v_cmp_gt_u32_e64 s2, s19, v12
	s_delay_alu instid0(VALU_DEP_2) | instskip(SKIP_1) | instid1(VALU_DEP_1)
	v_cmp_eq_u64_e64 s3, s[22:23], v[10:11]
	v_add_co_u32 v10, s4, 0xc0, v18
	v_add_co_ci_u32_e64 v11, s4, 0, v19, s4
	s_or_b32 s6, s5, vcc_lo
	s_delay_alu instid0(VALU_DEP_3) | instskip(SKIP_1) | instid1(VALU_DEP_2)
	s_and_b32 s2, s2, s3
	v_cmp_gt_u32_e64 s3, s19, v13
	v_cmp_eq_u64_e64 s4, s[22:23], v[10:11]
	v_add_co_u32 v10, s5, 0x100, v18
	s_delay_alu instid0(VALU_DEP_1) | instskip(SKIP_1) | instid1(VALU_DEP_3)
	v_add_co_ci_u32_e64 v11, s5, 0, v19, s5
	s_or_b32 s7, s2, s6
	s_and_b32 s3, s3, s4
	v_cmp_gt_u32_e64 s4, s19, v14
	s_delay_alu instid0(VALU_DEP_2) | instskip(SKIP_1) | instid1(VALU_DEP_1)
	v_cmp_eq_u64_e64 s5, s[22:23], v[10:11]
	v_add_co_u32 v10, s6, 0x140, v18
	v_add_co_ci_u32_e64 v11, s6, 0, v19, s6
	s_or_b32 s8, s3, s7
	s_delay_alu instid0(VALU_DEP_3) | instskip(SKIP_1) | instid1(VALU_DEP_2)
	s_and_b32 s4, s4, s5
	v_cmp_gt_u32_e64 s5, s19, v15
	v_cmp_eq_u64_e64 s6, s[22:23], v[10:11]
	v_add_co_u32 v10, s7, 0x180, v18
	s_delay_alu instid0(VALU_DEP_1) | instskip(SKIP_1) | instid1(VALU_DEP_3)
	v_add_co_ci_u32_e64 v11, s7, 0, v19, s7
	s_or_b32 s9, s4, s8
	s_and_b32 s5, s5, s6
	v_cmp_gt_u32_e64 s6, s19, v16
	s_delay_alu instid0(VALU_DEP_2) | instskip(SKIP_1) | instid1(VALU_DEP_1)
	v_cmp_eq_u64_e64 s7, s[22:23], v[10:11]
	v_add_co_u32 v10, s8, 0x1c0, v18
	v_add_co_ci_u32_e64 v11, s8, 0, v19, s8
	s_or_b32 s10, s5, s9
	;; [unrolled: 15-line block ×3, first 2 shown]
	v_add_nc_u32_e32 v29, 0x340, v0
	s_delay_alu instid0(VALU_DEP_4) | instskip(NEXT) | instid1(VALU_DEP_2)
	s_and_b32 s8, s8, s9
	v_cmp_eq_u64_e64 s10, s[22:23], v[10:11]
	v_add_co_u32 v10, s11, 0x280, v18
	s_delay_alu instid0(VALU_DEP_1)
	v_add_co_ci_u32_e64 v11, s11, 0, v19, s11
	v_lshrrev_b32_e32 v12, 5, v29
	v_add_nc_u32_e32 v30, 0x380, v0
	v_cmp_gt_u32_e64 s9, s19, v22
	s_or_b32 s13, s8, s12
	v_cmp_eq_u64_e64 s11, s[22:23], v[10:11]
	v_add_co_u32 v10, s12, 0x2c0, v18
	s_delay_alu instid0(VALU_DEP_1)
	v_add_co_ci_u32_e64 v11, s12, 0, v19, s12
	v_add_nc_u32_e32 v28, 0x300, v0
	v_add_lshl_u32 v15, v12, v0, 2
	v_lshrrev_b32_e32 v12, 5, v30
	v_add_nc_u32_e32 v22, 0x3c0, v0
	s_and_b32 s9, s9, s10
	v_cmp_gt_u32_e64 s10, s19, v23
	s_or_b32 s14, s9, s13
	v_cmp_eq_u64_e64 s12, s[22:23], v[10:11]
	v_add_co_u32 v10, s13, 0x300, v18
	v_lshrrev_b32_e32 v1, 5, v28
	v_add_lshl_u32 v16, v12, v0, 2
	v_lshrrev_b32_e32 v12, 5, v22
	v_add_co_ci_u32_e64 v11, s13, 0, v19, s13
	s_and_b32 s10, s10, s11
	v_add_lshl_u32 v1, v1, v0, 2
	v_cmp_gt_u32_e64 s11, s19, v24
	s_or_b32 s15, s10, s14
	v_add_co_u32 v20, s14, 0x340, v18
	v_add_lshl_u32 v23, v12, v0, 2
	v_cmp_eq_u64_e64 s13, s[22:23], v[10:11]
	ds_load_b32 v10, v25 offset:2048
	ds_load_b32 v11, v26 offset:2304
	;; [unrolled: 1-line block ×8, first 2 shown]
	v_mov_b32_e32 v1, 0
	v_add_co_ci_u32_e64 v21, s14, 0, v19, s14
	s_and_b32 s11, s11, s12
	v_cmp_gt_u32_e64 s12, s19, v28
	s_or_b32 s16, s11, s15
	s_delay_alu instid0(VALU_DEP_2) | instskip(SKIP_1) | instid1(VALU_DEP_1)
	v_cmp_eq_u64_e64 s14, s[22:23], v[20:21]
	v_add_co_u32 v20, s15, 0x380, v18
	v_add_co_ci_u32_e64 v21, s15, 0, v19, s15
	v_add_co_u32 v18, s15, 0x3c0, v18
	s_delay_alu instid0(VALU_DEP_1)
	v_add_co_ci_u32_e64 v19, s15, 0, v19, s15
	s_and_b32 s12, s12, s13
	v_cmp_gt_u32_e64 s13, s19, v29
	v_cmp_eq_u64_e64 s15, s[22:23], v[20:21]
	s_or_b32 s24, s12, s16
	v_cmp_gt_u32_e64 s16, s19, v30
	v_cmp_eq_u64_e64 s17, s[22:23], v[18:19]
	v_cmp_gt_u32_e64 s18, s19, v22
	s_and_b32 s13, s13, s14
	s_delay_alu instid0(SALU_CYCLE_1) | instskip(SKIP_1) | instid1(VALU_DEP_1)
	s_or_b32 s22, s13, s24
	s_and_b32 s14, s16, s15
	s_and_b32 s15, s18, s17
	s_or_b32 s16, s14, s22
	s_delay_alu instid0(SALU_CYCLE_1) | instskip(NEXT) | instid1(SALU_CYCLE_1)
	s_or_b32 s17, s15, s16
	s_and_saveexec_b32 s16, s17
	s_cbranch_execz .LBB123_47
; %bb.46:
	s_waitcnt lgkmcnt(14)
	v_cndmask_b32_e32 v18, v3, v2, vcc_lo
	s_waitcnt lgkmcnt(13)
	s_delay_alu instid0(VALU_DEP_1) | instskip(SKIP_1) | instid1(VALU_DEP_1)
	v_cndmask_b32_e64 v18, v18, v4, s2
	s_waitcnt lgkmcnt(12)
	v_cndmask_b32_e64 v18, v18, v5, s3
	s_waitcnt lgkmcnt(11)
	s_delay_alu instid0(VALU_DEP_1) | instskip(SKIP_1) | instid1(VALU_DEP_1)
	v_cndmask_b32_e64 v18, v18, v6, s4
	s_waitcnt lgkmcnt(10)
	v_cndmask_b32_e64 v18, v18, v7, s5
	;; [unrolled: 5-line block ×7, first 2 shown]
	global_store_b32 v1, v18, s[20:21]
.LBB123_47:
	s_or_b32 exec_lo, exec_lo, s16
	s_load_b32 s0, s[0:1], 0x50
	s_waitcnt lgkmcnt(0)
	s_bfe_u32 s0, s0, 0x10008
	s_delay_alu instid0(SALU_CYCLE_1)
	s_cmp_eq_u32 s0, 0
	s_cbranch_scc1 .LBB123_102
; %bb.48:
	v_mov_b32_e32 v1, 0
	s_add_u32 s0, s19, -1
	s_addc_u32 s1, s26, -1
	s_delay_alu instid0(SALU_CYCLE_1)
	s_lshr_b64 s[2:3], s[0:1], 4
	s_mov_b32 s1, exec_lo
	v_cmpx_eq_u64_e64 s[2:3], v[0:1]
	s_cbranch_execz .LBB123_102
; %bb.49:
	s_and_b32 s0, s0, 15
	s_mov_b32 s1, 0
	s_delay_alu instid0(SALU_CYCLE_1) | instskip(NEXT) | instid1(VALU_DEP_1)
	v_cmp_lt_i64_e64 s2, s[0:1], 8
	s_and_b32 vcc_lo, exec_lo, s2
	s_mov_b32 s2, -1
	s_cbranch_vccnz .LBB123_76
; %bb.50:
	v_cmp_lt_i64_e64 s2, s[0:1], 12
	s_delay_alu instid0(VALU_DEP_1)
	s_and_b32 vcc_lo, exec_lo, s2
	s_mov_b32 s2, -1
	s_cbranch_vccnz .LBB123_63
; %bb.51:
	v_cmp_lt_i64_e64 s2, s[0:1], 14
	s_delay_alu instid0(VALU_DEP_1)
	s_and_b32 vcc_lo, exec_lo, s2
	s_mov_b32 s2, -1
	s_cbranch_vccnz .LBB123_57
; %bb.52:
	v_cmp_gt_i64_e64 s2, s[0:1], 14
	s_delay_alu instid0(VALU_DEP_1)
	s_and_b32 vcc_lo, exec_lo, s2
	s_mov_b32 s2, -1
	s_cbranch_vccz .LBB123_54
; %bb.53:
	v_mov_b32_e32 v0, 0
	s_mov_b32 s2, 0
	global_store_b32 v0, v17, s[30:31]
.LBB123_54:
	s_and_not1_b32 vcc_lo, exec_lo, s2
	s_cbranch_vccnz .LBB123_56
; %bb.55:
	v_mov_b32_e32 v0, 0
	global_store_b32 v0, v16, s[30:31]
.LBB123_56:
	s_mov_b32 s2, 0
.LBB123_57:
	s_delay_alu instid0(SALU_CYCLE_1)
	s_and_not1_b32 vcc_lo, exec_lo, s2
	s_cbranch_vccnz .LBB123_62
; %bb.58:
	v_cmp_gt_i64_e64 s2, s[0:1], 12
	s_delay_alu instid0(VALU_DEP_1)
	s_and_b32 vcc_lo, exec_lo, s2
	s_mov_b32 s2, -1
	s_cbranch_vccz .LBB123_60
; %bb.59:
	v_mov_b32_e32 v0, 0
	s_mov_b32 s2, 0
	global_store_b32 v0, v15, s[30:31]
.LBB123_60:
	s_and_not1_b32 vcc_lo, exec_lo, s2
	s_cbranch_vccnz .LBB123_62
; %bb.61:
	v_mov_b32_e32 v0, 0
	global_store_b32 v0, v14, s[30:31]
.LBB123_62:
	s_mov_b32 s2, 0
.LBB123_63:
	s_delay_alu instid0(SALU_CYCLE_1)
	s_and_not1_b32 vcc_lo, exec_lo, s2
	s_cbranch_vccnz .LBB123_75
; %bb.64:
	v_cmp_lt_i64_e64 s2, s[0:1], 10
	s_delay_alu instid0(VALU_DEP_1)
	s_and_b32 vcc_lo, exec_lo, s2
	s_mov_b32 s2, -1
	s_cbranch_vccnz .LBB123_70
; %bb.65:
	v_cmp_gt_i64_e64 s2, s[0:1], 10
	s_delay_alu instid0(VALU_DEP_1)
	s_and_b32 vcc_lo, exec_lo, s2
	s_mov_b32 s2, -1
	s_cbranch_vccz .LBB123_67
; %bb.66:
	v_mov_b32_e32 v0, 0
	s_mov_b32 s2, 0
	global_store_b32 v0, v13, s[30:31]
.LBB123_67:
	s_and_not1_b32 vcc_lo, exec_lo, s2
	s_cbranch_vccnz .LBB123_69
; %bb.68:
	v_mov_b32_e32 v0, 0
	global_store_b32 v0, v12, s[30:31]
.LBB123_69:
	s_mov_b32 s2, 0
.LBB123_70:
	s_delay_alu instid0(SALU_CYCLE_1)
	s_and_not1_b32 vcc_lo, exec_lo, s2
	s_cbranch_vccnz .LBB123_75
; %bb.71:
	v_cmp_gt_i64_e64 s2, s[0:1], 8
	s_delay_alu instid0(VALU_DEP_1)
	s_and_b32 vcc_lo, exec_lo, s2
	s_mov_b32 s2, -1
	s_cbranch_vccz .LBB123_73
; %bb.72:
	v_mov_b32_e32 v0, 0
	s_mov_b32 s2, 0
	global_store_b32 v0, v11, s[30:31]
.LBB123_73:
	s_and_not1_b32 vcc_lo, exec_lo, s2
	s_cbranch_vccnz .LBB123_75
; %bb.74:
	v_mov_b32_e32 v0, 0
	global_store_b32 v0, v10, s[30:31]
.LBB123_75:
	s_mov_b32 s2, 0
.LBB123_76:
	s_delay_alu instid0(SALU_CYCLE_1)
	s_and_not1_b32 vcc_lo, exec_lo, s2
	s_cbranch_vccnz .LBB123_102
; %bb.77:
	v_cmp_lt_i64_e64 s2, s[0:1], 4
	s_delay_alu instid0(VALU_DEP_1)
	s_and_b32 vcc_lo, exec_lo, s2
	s_mov_b32 s2, -1
	s_cbranch_vccnz .LBB123_90
; %bb.78:
	v_cmp_lt_i64_e64 s2, s[0:1], 6
	s_delay_alu instid0(VALU_DEP_1)
	s_and_b32 vcc_lo, exec_lo, s2
	s_mov_b32 s2, -1
	s_cbranch_vccnz .LBB123_84
; %bb.79:
	v_cmp_gt_i64_e64 s2, s[0:1], 6
	s_delay_alu instid0(VALU_DEP_1)
	s_and_b32 vcc_lo, exec_lo, s2
	s_mov_b32 s2, -1
	s_cbranch_vccz .LBB123_81
; %bb.80:
	v_mov_b32_e32 v0, 0
	s_mov_b32 s2, 0
	global_store_b32 v0, v9, s[30:31]
.LBB123_81:
	s_and_not1_b32 vcc_lo, exec_lo, s2
	s_cbranch_vccnz .LBB123_83
; %bb.82:
	v_mov_b32_e32 v0, 0
	global_store_b32 v0, v8, s[30:31]
.LBB123_83:
	s_mov_b32 s2, 0
.LBB123_84:
	s_delay_alu instid0(SALU_CYCLE_1)
	s_and_not1_b32 vcc_lo, exec_lo, s2
	s_cbranch_vccnz .LBB123_89
; %bb.85:
	v_cmp_gt_i64_e64 s2, s[0:1], 4
	s_delay_alu instid0(VALU_DEP_1)
	s_and_b32 vcc_lo, exec_lo, s2
	s_mov_b32 s2, -1
	s_cbranch_vccz .LBB123_87
; %bb.86:
	v_mov_b32_e32 v0, 0
	s_mov_b32 s2, 0
	global_store_b32 v0, v7, s[30:31]
.LBB123_87:
	s_and_not1_b32 vcc_lo, exec_lo, s2
	s_cbranch_vccnz .LBB123_89
; %bb.88:
	v_mov_b32_e32 v0, 0
	global_store_b32 v0, v6, s[30:31]
.LBB123_89:
	s_mov_b32 s2, 0
.LBB123_90:
	s_delay_alu instid0(SALU_CYCLE_1)
	s_and_not1_b32 vcc_lo, exec_lo, s2
	s_cbranch_vccnz .LBB123_102
; %bb.91:
	v_cmp_lt_i64_e64 s2, s[0:1], 2
	s_delay_alu instid0(VALU_DEP_1)
	s_and_b32 vcc_lo, exec_lo, s2
	s_mov_b32 s2, -1
	s_cbranch_vccnz .LBB123_97
; %bb.92:
	v_cmp_gt_i64_e64 s2, s[0:1], 2
	s_delay_alu instid0(VALU_DEP_1)
	s_and_b32 vcc_lo, exec_lo, s2
	s_mov_b32 s2, -1
	s_cbranch_vccz .LBB123_94
; %bb.93:
	v_mov_b32_e32 v0, 0
	s_mov_b32 s2, 0
	global_store_b32 v0, v5, s[30:31]
.LBB123_94:
	s_and_not1_b32 vcc_lo, exec_lo, s2
	s_cbranch_vccnz .LBB123_96
; %bb.95:
	v_mov_b32_e32 v0, 0
	global_store_b32 v0, v4, s[30:31]
.LBB123_96:
	s_mov_b32 s2, 0
.LBB123_97:
	s_delay_alu instid0(SALU_CYCLE_1)
	s_and_not1_b32 vcc_lo, exec_lo, s2
	s_cbranch_vccnz .LBB123_102
; %bb.98:
	s_cmp_eq_u64 s[0:1], 1
	s_mov_b32 s0, -1
	s_cbranch_scc1 .LBB123_100
; %bb.99:
	v_mov_b32_e32 v0, 0
	s_mov_b32 s0, 0
	global_store_b32 v0, v3, s[30:31]
.LBB123_100:
	s_and_not1_b32 vcc_lo, exec_lo, s0
	s_cbranch_vccnz .LBB123_102
; %bb.101:
	v_mov_b32_e32 v0, 0
	global_store_b32 v0, v2, s[30:31]
.LBB123_102:
	s_nop 0
	s_sendmsg sendmsg(MSG_DEALLOC_VGPRS)
	s_endpgm
	.section	.rodata,"a",@progbits
	.p2align	6, 0x0
	.amdhsa_kernel _ZN7rocprim6detail20lookback_scan_kernelILNS0_25lookback_scan_determinismE0ELb1ENS0_19wrapped_scan_configINS_14default_configEjEEN6hipcub21CountingInputIteratorIjlEEN10test_utils21single_index_iteratorIjEENS6_3SumEjjNS0_19lookback_scan_stateIjLb0ELb1EEEEEvT2_T3_mT5_T4_T7_jPT6_SL_bb
		.amdhsa_group_segment_fixed_size 4224
		.amdhsa_private_segment_fixed_size 0
		.amdhsa_kernarg_size 84
		.amdhsa_user_sgpr_count 15
		.amdhsa_user_sgpr_dispatch_ptr 0
		.amdhsa_user_sgpr_queue_ptr 0
		.amdhsa_user_sgpr_kernarg_segment_ptr 1
		.amdhsa_user_sgpr_dispatch_id 0
		.amdhsa_user_sgpr_private_segment_size 0
		.amdhsa_wavefront_size32 1
		.amdhsa_uses_dynamic_stack 0
		.amdhsa_enable_private_segment 0
		.amdhsa_system_sgpr_workgroup_id_x 1
		.amdhsa_system_sgpr_workgroup_id_y 0
		.amdhsa_system_sgpr_workgroup_id_z 0
		.amdhsa_system_sgpr_workgroup_info 0
		.amdhsa_system_vgpr_workitem_id 0
		.amdhsa_next_free_vgpr 41
		.amdhsa_next_free_sgpr 32
		.amdhsa_reserve_vcc 1
		.amdhsa_float_round_mode_32 0
		.amdhsa_float_round_mode_16_64 0
		.amdhsa_float_denorm_mode_32 3
		.amdhsa_float_denorm_mode_16_64 3
		.amdhsa_dx10_clamp 1
		.amdhsa_ieee_mode 1
		.amdhsa_fp16_overflow 0
		.amdhsa_workgroup_processor_mode 1
		.amdhsa_memory_ordered 1
		.amdhsa_forward_progress 0
		.amdhsa_shared_vgpr_count 0
		.amdhsa_exception_fp_ieee_invalid_op 0
		.amdhsa_exception_fp_denorm_src 0
		.amdhsa_exception_fp_ieee_div_zero 0
		.amdhsa_exception_fp_ieee_overflow 0
		.amdhsa_exception_fp_ieee_underflow 0
		.amdhsa_exception_fp_ieee_inexact 0
		.amdhsa_exception_int_div_zero 0
	.end_amdhsa_kernel
	.section	.text._ZN7rocprim6detail20lookback_scan_kernelILNS0_25lookback_scan_determinismE0ELb1ENS0_19wrapped_scan_configINS_14default_configEjEEN6hipcub21CountingInputIteratorIjlEEN10test_utils21single_index_iteratorIjEENS6_3SumEjjNS0_19lookback_scan_stateIjLb0ELb1EEEEEvT2_T3_mT5_T4_T7_jPT6_SL_bb,"axG",@progbits,_ZN7rocprim6detail20lookback_scan_kernelILNS0_25lookback_scan_determinismE0ELb1ENS0_19wrapped_scan_configINS_14default_configEjEEN6hipcub21CountingInputIteratorIjlEEN10test_utils21single_index_iteratorIjEENS6_3SumEjjNS0_19lookback_scan_stateIjLb0ELb1EEEEEvT2_T3_mT5_T4_T7_jPT6_SL_bb,comdat
.Lfunc_end123:
	.size	_ZN7rocprim6detail20lookback_scan_kernelILNS0_25lookback_scan_determinismE0ELb1ENS0_19wrapped_scan_configINS_14default_configEjEEN6hipcub21CountingInputIteratorIjlEEN10test_utils21single_index_iteratorIjEENS6_3SumEjjNS0_19lookback_scan_stateIjLb0ELb1EEEEEvT2_T3_mT5_T4_T7_jPT6_SL_bb, .Lfunc_end123-_ZN7rocprim6detail20lookback_scan_kernelILNS0_25lookback_scan_determinismE0ELb1ENS0_19wrapped_scan_configINS_14default_configEjEEN6hipcub21CountingInputIteratorIjlEEN10test_utils21single_index_iteratorIjEENS6_3SumEjjNS0_19lookback_scan_stateIjLb0ELb1EEEEEvT2_T3_mT5_T4_T7_jPT6_SL_bb
                                        ; -- End function
	.section	.AMDGPU.csdata,"",@progbits
; Kernel info:
; codeLenInByte = 7320
; NumSgprs: 34
; NumVgprs: 41
; ScratchSize: 0
; MemoryBound: 0
; FloatMode: 240
; IeeeMode: 1
; LDSByteSize: 4224 bytes/workgroup (compile time only)
; SGPRBlocks: 4
; VGPRBlocks: 5
; NumSGPRsForWavesPerEU: 34
; NumVGPRsForWavesPerEU: 41
; Occupancy: 16
; WaveLimiterHint : 0
; COMPUTE_PGM_RSRC2:SCRATCH_EN: 0
; COMPUTE_PGM_RSRC2:USER_SGPR: 15
; COMPUTE_PGM_RSRC2:TRAP_HANDLER: 0
; COMPUTE_PGM_RSRC2:TGID_X_EN: 1
; COMPUTE_PGM_RSRC2:TGID_Y_EN: 0
; COMPUTE_PGM_RSRC2:TGID_Z_EN: 0
; COMPUTE_PGM_RSRC2:TIDIG_COMP_CNT: 0
	.section	.text._ZN7rocprim6detail18single_scan_kernelILb1ENS0_19wrapped_scan_configINS_14default_configEjEEN6hipcub21CountingInputIteratorIjlEEN10test_utils21single_index_iteratorIjEENS5_3SumEjjEEvT1_mT4_T2_T3_,"axG",@progbits,_ZN7rocprim6detail18single_scan_kernelILb1ENS0_19wrapped_scan_configINS_14default_configEjEEN6hipcub21CountingInputIteratorIjlEEN10test_utils21single_index_iteratorIjEENS5_3SumEjjEEvT1_mT4_T2_T3_,comdat
	.protected	_ZN7rocprim6detail18single_scan_kernelILb1ENS0_19wrapped_scan_configINS_14default_configEjEEN6hipcub21CountingInputIteratorIjlEEN10test_utils21single_index_iteratorIjEENS5_3SumEjjEEvT1_mT4_T2_T3_ ; -- Begin function _ZN7rocprim6detail18single_scan_kernelILb1ENS0_19wrapped_scan_configINS_14default_configEjEEN6hipcub21CountingInputIteratorIjlEEN10test_utils21single_index_iteratorIjEENS5_3SumEjjEEvT1_mT4_T2_T3_
	.globl	_ZN7rocprim6detail18single_scan_kernelILb1ENS0_19wrapped_scan_configINS_14default_configEjEEN6hipcub21CountingInputIteratorIjlEEN10test_utils21single_index_iteratorIjEENS5_3SumEjjEEvT1_mT4_T2_T3_
	.p2align	8
	.type	_ZN7rocprim6detail18single_scan_kernelILb1ENS0_19wrapped_scan_configINS_14default_configEjEEN6hipcub21CountingInputIteratorIjlEEN10test_utils21single_index_iteratorIjEENS5_3SumEjjEEvT1_mT4_T2_T3_,@function
_ZN7rocprim6detail18single_scan_kernelILb1ENS0_19wrapped_scan_configINS_14default_configEjEEN6hipcub21CountingInputIteratorIjlEEN10test_utils21single_index_iteratorIjEENS5_3SumEjjEEvT1_mT4_T2_T3_: ; @_ZN7rocprim6detail18single_scan_kernelILb1ENS0_19wrapped_scan_configINS_14default_configEjEEN6hipcub21CountingInputIteratorIjlEEN10test_utils21single_index_iteratorIjEENS5_3SumEjjEEvT1_mT4_T2_T3_
; %bb.0:
	s_clause 0x3
	s_load_b32 s17, s[0:1], 0x0
	s_load_b32 s4, s[0:1], 0x8
	s_load_b128 s[24:27], s[0:1], 0x18
	s_load_b64 s[18:19], s[0:1], 0x28
	v_or_b32_e32 v28, 0x300, v0
	v_or_b32_e32 v23, 0x200, v0
	v_or_b32_e32 v25, 0x280, v0
	v_or_b32_e32 v24, 0x240, v0
	v_or_b32_e32 v26, 0x2c0, v0
	v_or_b32_e32 v1, 64, v0
	v_or_b32_e32 v2, 0x80, v0
	v_or_b32_e32 v29, 0x340, v0
	v_or_b32_e32 v3, 0xc0, v0
	v_or_b32_e32 v4, 0x100, v0
	v_or_b32_e32 v6, 0x140, v0
	v_or_b32_e32 v30, 0x380, v0
	v_or_b32_e32 v7, 0x180, v0
	v_or_b32_e32 v8, 0x1c0, v0
	v_lshlrev_b32_e32 v33, 2, v0
	v_or_b32_e32 v31, 0x3c0, v0
	s_mov_b32 s20, exec_lo
	s_waitcnt lgkmcnt(0)
	v_cmp_gt_u32_e32 vcc_lo, s4, v28
	v_add_nc_u32_e32 v5, s17, v0
	v_cmp_gt_u32_e64 s8, s4, v23
	v_cmp_gt_u32_e64 s7, s4, v25
	;; [unrolled: 1-line block ×4, first 2 shown]
	v_add_nc_u32_e32 v17, 0x200, v5
	v_cmp_gt_u32_e64 s12, s4, v1
	v_cmp_gt_u32_e64 s15, s4, v2
	;; [unrolled: 1-line block ×3, first 2 shown]
	v_lshrrev_b32_e32 v1, 3, v1
	v_cndmask_b32_e64 v34, s17, v17, s8
	v_add_nc_u32_e32 v17, 0x280, v5
	v_lshrrev_b32_e32 v2, 3, v2
	v_cmp_gt_u32_e64 s13, s4, v3
	v_cmp_gt_u32_e64 s14, s4, v4
	v_cmp_gt_u32_e64 s10, s4, v6
	v_cndmask_b32_e64 v36, s17, v17, s7
	v_add_nc_u32_e32 v17, 0x300, v5
	v_cmp_gt_u32_e64 s3, s4, v30
	v_and_b32_e32 v1, 12, v1
	v_and_b32_e32 v2, 20, v2
	v_lshrrev_b32_e32 v3, 3, v3
	v_cndmask_b32_e32 v38, s17, v17, vcc_lo
	v_add_nc_u32_e32 v18, 0x240, v5
	v_add_nc_u32_e32 v17, 0x380, v5
	v_lshrrev_b32_e32 v4, 3, v4
	v_lshrrev_b32_e32 v6, 3, v6
	v_add_nc_u32_e32 v19, v1, v33
	v_cndmask_b32_e64 v35, s17, v18, s5
	v_add_nc_u32_e32 v18, 0x2c0, v5
	v_cndmask_b32_e64 v40, s17, v17, s3
	v_and_b32_e32 v1, 28, v3
	v_and_b32_e32 v3, 44, v6
	v_lshrrev_b32_e32 v6, 3, v8
	v_cndmask_b32_e64 v37, s17, v18, s6
	v_add_nc_u32_e32 v18, 0x340, v5
	v_add_nc_u32_e32 v20, v1, v33
	;; [unrolled: 1-line block ×3, first 2 shown]
	v_lshrrev_b32_e32 v3, 3, v23
	v_cmp_gt_u32_e64 s9, s4, v0
	v_cndmask_b32_e64 v39, s17, v18, s2
	v_lshrrev_b32_e32 v18, 3, v0
	v_cmp_gt_u32_e64 s11, s4, v7
	v_add_nc_u32_e32 v10, 64, v5
	v_add_nc_u32_e32 v11, 0x80, v5
	;; [unrolled: 1-line block ×3, first 2 shown]
	v_and_b32_e32 v17, 4, v18
	v_add_nc_u32_e32 v18, v2, v33
	v_and_b32_e32 v2, 36, v4
	v_lshrrev_b32_e32 v4, 3, v7
	v_lshrrev_b32_e32 v7, 1, v0
	v_add_nc_u32_e32 v13, 0x100, v5
	v_add_nc_u32_e32 v14, 0x140, v5
	;; [unrolled: 1-line block ×3, first 2 shown]
	v_and_b32_e32 v1, 52, v4
	v_and_b32_e32 v2, 60, v6
	v_lshrrev_b32_e32 v4, 3, v24
	v_lshrrev_b32_e32 v6, 3, v25
	v_add_nc_u32_e32 v15, 0x180, v5
	v_add_nc_u32_e32 v24, v1, v33
	;; [unrolled: 1-line block ×3, first 2 shown]
	v_and_b32_e32 v1, 0x44, v3
	v_and_b32_e32 v2, 0x4c, v4
	;; [unrolled: 1-line block ×3, first 2 shown]
	v_lshrrev_b32_e32 v4, 3, v26
	v_lshrrev_b32_e32 v6, 3, v31
	v_add_nc_u32_e32 v27, v1, v33
	v_add_nc_u32_e32 v26, v2, v33
	;; [unrolled: 1-line block ×3, first 2 shown]
	v_and_b32_e32 v1, 0x5c, v4
	v_lshrrev_b32_e32 v2, 3, v28
	v_lshrrev_b32_e32 v3, 3, v29
	;; [unrolled: 1-line block ×3, first 2 shown]
	v_add_nc_u32_e32 v16, 0x1c0, v5
	v_add_nc_u32_e32 v28, v1, v33
	v_and_b32_e32 v1, 0x64, v2
	v_and_b32_e32 v2, 0x6c, v3
	;; [unrolled: 1-line block ×4, first 2 shown]
	v_lshlrev_b32_e32 v6, 4, v0
	v_cmp_gt_u32_e64 s16, s4, v8
	v_cndmask_b32_e64 v9, s17, v5, s9
	v_add_nc_u32_e32 v5, 0x3c0, v5
	v_cmp_gt_u32_e64 s4, s4, v31
	v_add_nc_u32_e32 v17, v17, v33
	v_add_nc_u32_e32 v32, v1, v33
	;; [unrolled: 1-line block ×5, first 2 shown]
	v_add_lshl_u32 v33, v7, v6, 2
	v_cndmask_b32_e64 v10, s17, v10, s12
	v_cndmask_b32_e64 v11, s17, v11, s15
	;; [unrolled: 1-line block ×8, first 2 shown]
	ds_store_b32 v17, v9
	ds_store_b32 v19, v10 offset:256
	ds_store_b32 v18, v11 offset:512
	;; [unrolled: 1-line block ×15, first 2 shown]
	s_waitcnt lgkmcnt(0)
	s_barrier
	buffer_gl0_inv
	ds_load_2addr_b32 v[15:16], v33 offset1:1
	ds_load_2addr_b32 v[13:14], v33 offset0:2 offset1:3
	ds_load_2addr_b32 v[11:12], v33 offset0:4 offset1:5
	;; [unrolled: 1-line block ×5, first 2 shown]
	s_waitcnt lgkmcnt(5)
	v_add_nc_u32_e32 v1, v16, v15
	s_waitcnt lgkmcnt(4)
	s_delay_alu instid0(VALU_DEP_1) | instskip(SKIP_1) | instid1(VALU_DEP_1)
	v_add3_u32 v1, v1, v13, v14
	s_waitcnt lgkmcnt(3)
	v_add3_u32 v34, v1, v11, v12
	ds_load_2addr_b32 v[3:4], v33 offset0:12 offset1:13
	ds_load_2addr_b32 v[1:2], v33 offset0:14 offset1:15
	s_waitcnt lgkmcnt(0)
	s_barrier
	buffer_gl0_inv
	v_add3_u32 v34, v34, v9, v10
	s_delay_alu instid0(VALU_DEP_1) | instskip(NEXT) | instid1(VALU_DEP_1)
	v_add3_u32 v34, v34, v7, v8
	v_add3_u32 v34, v34, v5, v6
	s_delay_alu instid0(VALU_DEP_1) | instskip(NEXT) | instid1(VALU_DEP_1)
	v_add3_u32 v34, v34, v3, v4
	v_add3_u32 v2, v34, v1, v2
	ds_store_b32 v17, v2
	s_waitcnt lgkmcnt(0)
	s_barrier
	buffer_gl0_inv
	v_cmpx_gt_u32_e32 32, v0
	s_cbranch_execz .LBB124_2
; %bb.1:
	v_lshrrev_b32_e32 v34, 2, v0
	v_mbcnt_lo_u32_b32 v37, -1, 0
	s_delay_alu instid0(VALU_DEP_2) | instskip(NEXT) | instid1(VALU_DEP_2)
	v_and_b32_e32 v34, 12, v34
	v_and_b32_e32 v39, 15, v37
	v_add_nc_u32_e32 v41, -1, v37
	s_delay_alu instid0(VALU_DEP_3) | instskip(NEXT) | instid1(VALU_DEP_3)
	v_lshl_or_b32 v36, v0, 3, v34
	v_cmp_ne_u32_e64 s17, 0, v39
	ds_load_2addr_b32 v[34:35], v36 offset1:1
	s_waitcnt lgkmcnt(0)
	v_add_nc_u32_e32 v38, v35, v34
	s_delay_alu instid0(VALU_DEP_1) | instskip(NEXT) | instid1(VALU_DEP_1)
	v_mov_b32_dpp v40, v38 row_shr:1 row_mask:0xf bank_mask:0xf
	v_cndmask_b32_e64 v40, 0, v40, s17
	v_cmp_lt_u32_e64 s17, 1, v39
	s_delay_alu instid0(VALU_DEP_2) | instskip(NEXT) | instid1(VALU_DEP_1)
	v_add_nc_u32_e32 v38, v40, v38
	v_mov_b32_dpp v40, v38 row_shr:2 row_mask:0xf bank_mask:0xf
	s_delay_alu instid0(VALU_DEP_1) | instskip(SKIP_1) | instid1(VALU_DEP_2)
	v_cndmask_b32_e64 v40, 0, v40, s17
	v_cmp_lt_u32_e64 s17, 3, v39
	v_add_nc_u32_e32 v38, v38, v40
	s_delay_alu instid0(VALU_DEP_1) | instskip(NEXT) | instid1(VALU_DEP_1)
	v_mov_b32_dpp v40, v38 row_shr:4 row_mask:0xf bank_mask:0xf
	v_cndmask_b32_e64 v40, 0, v40, s17
	v_cmp_lt_u32_e64 s17, 7, v39
	s_delay_alu instid0(VALU_DEP_2) | instskip(NEXT) | instid1(VALU_DEP_1)
	v_add_nc_u32_e32 v38, v38, v40
	v_mov_b32_dpp v40, v38 row_shr:8 row_mask:0xf bank_mask:0xf
	s_delay_alu instid0(VALU_DEP_1) | instskip(SKIP_2) | instid1(VALU_DEP_3)
	v_cndmask_b32_e64 v39, 0, v40, s17
	v_bfe_i32 v40, v37, 4, 1
	v_cmp_gt_i32_e64 s17, 0, v41
	v_add_nc_u32_e32 v38, v38, v39
	s_delay_alu instid0(VALU_DEP_2)
	v_cndmask_b32_e64 v37, v41, v37, s17
	v_cmp_eq_u32_e64 s17, 0, v0
	ds_swizzle_b32 v39, v38 offset:swizzle(BROADCAST,32,15)
	v_lshlrev_b32_e32 v37, 2, v37
	s_waitcnt lgkmcnt(0)
	v_and_b32_e32 v39, v40, v39
	s_delay_alu instid0(VALU_DEP_1) | instskip(SKIP_3) | instid1(VALU_DEP_1)
	v_add_nc_u32_e32 v38, v38, v39
	ds_bpermute_b32 v37, v37, v38
	s_waitcnt lgkmcnt(0)
	v_add_nc_u32_e32 v34, v37, v34
	v_cndmask_b32_e64 v2, v34, v2, s17
	s_delay_alu instid0(VALU_DEP_1)
	v_add_nc_u32_e32 v34, v2, v35
	ds_store_2addr_b32 v36, v2, v34 offset1:1
.LBB124_2:
	s_or_b32 exec_lo, exec_lo, s20
	s_load_b32 s1, s[0:1], 0x10
	s_mov_b32 s17, exec_lo
	s_waitcnt lgkmcnt(0)
	s_barrier
	buffer_gl0_inv
	v_mov_b32_e32 v2, s1
	v_cmpx_ne_u32_e32 0, v0
	s_cbranch_execz .LBB124_4
; %bb.3:
	v_add_nc_u32_e32 v2, -1, v0
	s_delay_alu instid0(VALU_DEP_1) | instskip(NEXT) | instid1(VALU_DEP_1)
	v_lshrrev_b32_e32 v34, 5, v2
	v_add_lshl_u32 v2, v34, v2, 2
	ds_load_b32 v2, v2
	s_waitcnt lgkmcnt(0)
	v_add_nc_u32_e32 v2, s1, v2
.LBB124_4:
	s_or_b32 exec_lo, exec_lo, s17
	s_delay_alu instid0(VALU_DEP_1) | instskip(SKIP_1) | instid1(VALU_DEP_1)
	v_add_nc_u32_e32 v42, v2, v15
	v_add_co_u32 v34, s0, s18, v0
	v_add_co_ci_u32_e64 v35, null, s19, 0, s0
	s_delay_alu instid0(VALU_DEP_3) | instskip(NEXT) | instid1(VALU_DEP_3)
	v_add_nc_u32_e32 v43, v42, v16
	v_add_co_u32 v15, s1, v34, 64
	s_delay_alu instid0(VALU_DEP_1) | instskip(NEXT) | instid1(VALU_DEP_3)
	v_add_co_ci_u32_e64 v16, s1, 0, v35, s1
	v_add_nc_u32_e32 v44, v43, v13
	v_add_co_u32 v13, s1, 0x80, v34
	v_cmp_eq_u64_e64 s0, s[26:27], v[34:35]
	s_delay_alu instid0(VALU_DEP_3) | instskip(SKIP_2) | instid1(VALU_DEP_3)
	v_add_nc_u32_e32 v45, v44, v14
	v_add_co_ci_u32_e64 v14, s1, 0, v35, s1
	v_add_co_u32 v36, s1, 0xc0, v34
	v_add_nc_u32_e32 v46, v45, v11
	v_add_co_ci_u32_e64 v37, s1, 0, v35, s1
	v_add_co_u32 v11, s1, 0x100, v34
	s_delay_alu instid0(VALU_DEP_3) | instskip(SKIP_2) | instid1(VALU_DEP_3)
	v_add_nc_u32_e32 v47, v46, v12
	v_add_co_ci_u32_e64 v12, s1, 0, v35, s1
	v_add_co_u32 v38, s1, 0x140, v34
	v_add_nc_u32_e32 v48, v47, v9
	v_add_co_ci_u32_e64 v39, s1, 0, v35, s1
	v_add_co_u32 v9, s1, 0x180, v34
	;; [unrolled: 7-line block ×3, first 2 shown]
	s_delay_alu instid0(VALU_DEP_3) | instskip(SKIP_3) | instid1(VALU_DEP_4)
	v_add_nc_u32_e32 v51, v50, v8
	v_add_co_ci_u32_e64 v8, s1, 0, v35, s1
	v_cmp_eq_u64_e64 s1, s[26:27], v[15:16]
	v_cmp_eq_u64_e64 s17, s[26:27], v[13:14]
	v_add_nc_u32_e32 v5, v51, v5
	v_cmp_eq_u64_e64 s18, s[26:27], v[36:37]
	v_cmp_eq_u64_e64 s19, s[26:27], v[11:12]
	s_and_b32 s9, s9, s0
	s_and_b32 s1, s12, s1
	v_cmp_eq_u64_e64 s20, s[26:27], v[38:39]
	v_add_nc_u32_e32 v6, v5, v6
	s_and_b32 s0, s15, s17
	s_or_b32 s12, s9, s1
	v_cmp_eq_u64_e64 s21, s[26:27], v[9:10]
	s_and_b32 s9, s13, s18
	s_or_b32 s13, s0, s12
	v_cmp_eq_u64_e64 s22, s[26:27], v[40:41]
	s_and_b32 s12, s14, s19
	s_or_b32 s13, s9, s13
	v_add_nc_u32_e32 v9, v6, v3
	s_and_b32 s10, s10, s20
	s_or_b32 s13, s12, s13
	s_and_b32 s11, s11, s21
	s_or_b32 s13, s10, s13
	v_add_nc_u32_e32 v10, v9, v4
	s_or_b32 s14, s11, s13
	s_and_b32 s13, s16, s22
	v_add_co_u32 v0, s15, 0x240, v34
	s_or_b32 s16, s13, s14
	v_cmp_eq_u64_e64 s14, s[26:27], v[7:8]
	v_add_nc_u32_e32 v11, v10, v1
	v_add_co_ci_u32_e64 v1, s15, 0, v35, s15
	v_add_co_u32 v3, s15, 0x280, v34
	s_delay_alu instid0(VALU_DEP_4) | instskip(NEXT) | instid1(VALU_DEP_2)
	s_and_b32 s8, s8, s14
	v_cmp_eq_u64_e64 s14, s[26:27], v[0:1]
	s_or_b32 s17, s8, s16
	v_add_co_u32 v0, s16, 0x2c0, v34
	s_delay_alu instid0(VALU_DEP_1) | instskip(SKIP_1) | instid1(VALU_DEP_4)
	v_add_co_ci_u32_e64 v1, s16, 0, v35, s16
	v_add_co_ci_u32_e64 v4, s15, 0, v35, s15
	s_and_b32 s5, s5, s14
	s_delay_alu instid0(VALU_DEP_2) | instskip(SKIP_1) | instid1(VALU_DEP_2)
	v_cmp_eq_u64_e64 s14, s[26:27], v[0:1]
	s_barrier
	v_cmp_eq_u64_e64 s15, s[26:27], v[3:4]
	buffer_gl0_inv
	ds_store_2addr_b32 v33, v2, v42 offset1:1
	ds_store_2addr_b32 v33, v43, v44 offset0:2 offset1:3
	ds_store_2addr_b32 v33, v45, v46 offset0:4 offset1:5
	;; [unrolled: 1-line block ×3, first 2 shown]
	s_or_b32 s16, s5, s17
	s_and_b32 s6, s6, s14
	v_add_co_u32 v0, s14, 0x300, v34
	s_delay_alu instid0(VALU_DEP_1)
	v_add_co_ci_u32_e64 v1, s14, 0, v35, s14
	v_add_co_u32 v2, s14, 0x340, v34
	s_and_b32 s7, s7, s15
	v_add_co_ci_u32_e64 v3, s14, 0, v35, s14
	s_or_b32 s15, s7, s16
	v_cmp_eq_u64_e64 s14, s[26:27], v[0:1]
	v_add_co_u32 v0, s16, 0x380, v34
	s_delay_alu instid0(VALU_DEP_1) | instskip(SKIP_3) | instid1(VALU_DEP_1)
	v_add_co_ci_u32_e64 v1, s16, 0, v35, s16
	s_or_b32 s17, s6, s15
	v_cmp_eq_u64_e64 s15, s[26:27], v[2:3]
	v_add_co_u32 v2, s16, 0x3c0, v34
	v_add_co_ci_u32_e64 v3, s16, 0, v35, s16
	s_and_b32 vcc_lo, vcc_lo, s14
	v_cmp_eq_u64_e64 s14, s[26:27], v[0:1]
	v_mov_b32_e32 v0, 0
	s_and_b32 s2, s2, s15
	v_cmp_eq_u64_e64 s15, s[26:27], v[2:3]
	s_or_b32 s16, vcc_lo, s17
	ds_store_2addr_b32 v33, v49, v50 offset0:8 offset1:9
	ds_store_2addr_b32 v33, v51, v5 offset0:10 offset1:11
	;; [unrolled: 1-line block ×4, first 2 shown]
	s_or_b32 s16, s2, s16
	s_and_b32 s3, s3, s14
	s_waitcnt lgkmcnt(0)
	s_or_b32 s14, s3, s16
	s_and_b32 s4, s4, s15
	s_barrier
	s_or_b32 s14, s4, s14
	buffer_gl0_inv
	s_and_saveexec_b32 s15, s14
	s_cbranch_execz .LBB124_6
; %bb.5:
	ds_load_b32 v1, v19 offset:256
	ds_load_b32 v2, v17
	ds_load_b32 v3, v18 offset:512
	ds_load_b32 v4, v20 offset:768
	;; [unrolled: 1-line block ×4, first 2 shown]
	s_waitcnt lgkmcnt(4)
	v_cndmask_b32_e64 v1, v2, v1, s1
	ds_load_b32 v2, v24 offset:1536
	s_waitcnt lgkmcnt(4)
	v_cndmask_b32_e64 v1, v1, v3, s0
	s_waitcnt lgkmcnt(3)
	s_delay_alu instid0(VALU_DEP_1)
	v_cndmask_b32_e64 v1, v1, v4, s9
	ds_load_b32 v4, v27 offset:2048
	s_waitcnt lgkmcnt(3)
	v_cndmask_b32_e64 v1, v1, v5, s12
	ds_load_b32 v5, v26 offset:2304
	s_waitcnt lgkmcnt(3)
	v_cndmask_b32_e64 v1, v1, v6, s10
	ds_load_b32 v6, v25 offset:2560
	ds_load_b32 v3, v23 offset:1792
	s_waitcnt lgkmcnt(4)
	v_cndmask_b32_e64 v1, v1, v2, s11
	ds_load_b32 v2, v28 offset:2816
	s_waitcnt lgkmcnt(1)
	v_cndmask_b32_e64 v1, v1, v3, s13
	ds_load_b32 v3, v32 offset:3072
	v_cndmask_b32_e64 v1, v1, v4, s8
	ds_load_b32 v4, v31 offset:3328
	;; [unrolled: 2-line block ×4, first 2 shown]
	s_waitcnt lgkmcnt(4)
	v_cndmask_b32_e64 v1, v1, v2, s6
	s_waitcnt lgkmcnt(3)
	s_delay_alu instid0(VALU_DEP_1) | instskip(SKIP_1) | instid1(VALU_DEP_1)
	v_cndmask_b32_e32 v1, v1, v3, vcc_lo
	s_waitcnt lgkmcnt(2)
	v_cndmask_b32_e64 v1, v1, v4, s2
	s_waitcnt lgkmcnt(1)
	s_delay_alu instid0(VALU_DEP_1) | instskip(SKIP_1) | instid1(VALU_DEP_1)
	v_cndmask_b32_e64 v1, v1, v5, s3
	s_waitcnt lgkmcnt(0)
	v_cndmask_b32_e64 v1, v1, v6, s4
	global_store_b32 v0, v1, s[24:25]
.LBB124_6:
	s_nop 0
	s_sendmsg sendmsg(MSG_DEALLOC_VGPRS)
	s_endpgm
	.section	.rodata,"a",@progbits
	.p2align	6, 0x0
	.amdhsa_kernel _ZN7rocprim6detail18single_scan_kernelILb1ENS0_19wrapped_scan_configINS_14default_configEjEEN6hipcub21CountingInputIteratorIjlEEN10test_utils21single_index_iteratorIjEENS5_3SumEjjEEvT1_mT4_T2_T3_
		.amdhsa_group_segment_fixed_size 4224
		.amdhsa_private_segment_fixed_size 0
		.amdhsa_kernarg_size 52
		.amdhsa_user_sgpr_count 15
		.amdhsa_user_sgpr_dispatch_ptr 0
		.amdhsa_user_sgpr_queue_ptr 0
		.amdhsa_user_sgpr_kernarg_segment_ptr 1
		.amdhsa_user_sgpr_dispatch_id 0
		.amdhsa_user_sgpr_private_segment_size 0
		.amdhsa_wavefront_size32 1
		.amdhsa_uses_dynamic_stack 0
		.amdhsa_enable_private_segment 0
		.amdhsa_system_sgpr_workgroup_id_x 1
		.amdhsa_system_sgpr_workgroup_id_y 0
		.amdhsa_system_sgpr_workgroup_id_z 0
		.amdhsa_system_sgpr_workgroup_info 0
		.amdhsa_system_vgpr_workitem_id 0
		.amdhsa_next_free_vgpr 52
		.amdhsa_next_free_sgpr 28
		.amdhsa_reserve_vcc 1
		.amdhsa_float_round_mode_32 0
		.amdhsa_float_round_mode_16_64 0
		.amdhsa_float_denorm_mode_32 3
		.amdhsa_float_denorm_mode_16_64 3
		.amdhsa_dx10_clamp 1
		.amdhsa_ieee_mode 1
		.amdhsa_fp16_overflow 0
		.amdhsa_workgroup_processor_mode 1
		.amdhsa_memory_ordered 1
		.amdhsa_forward_progress 0
		.amdhsa_shared_vgpr_count 0
		.amdhsa_exception_fp_ieee_invalid_op 0
		.amdhsa_exception_fp_denorm_src 0
		.amdhsa_exception_fp_ieee_div_zero 0
		.amdhsa_exception_fp_ieee_overflow 0
		.amdhsa_exception_fp_ieee_underflow 0
		.amdhsa_exception_fp_ieee_inexact 0
		.amdhsa_exception_int_div_zero 0
	.end_amdhsa_kernel
	.section	.text._ZN7rocprim6detail18single_scan_kernelILb1ENS0_19wrapped_scan_configINS_14default_configEjEEN6hipcub21CountingInputIteratorIjlEEN10test_utils21single_index_iteratorIjEENS5_3SumEjjEEvT1_mT4_T2_T3_,"axG",@progbits,_ZN7rocprim6detail18single_scan_kernelILb1ENS0_19wrapped_scan_configINS_14default_configEjEEN6hipcub21CountingInputIteratorIjlEEN10test_utils21single_index_iteratorIjEENS5_3SumEjjEEvT1_mT4_T2_T3_,comdat
.Lfunc_end124:
	.size	_ZN7rocprim6detail18single_scan_kernelILb1ENS0_19wrapped_scan_configINS_14default_configEjEEN6hipcub21CountingInputIteratorIjlEEN10test_utils21single_index_iteratorIjEENS5_3SumEjjEEvT1_mT4_T2_T3_, .Lfunc_end124-_ZN7rocprim6detail18single_scan_kernelILb1ENS0_19wrapped_scan_configINS_14default_configEjEEN6hipcub21CountingInputIteratorIjlEEN10test_utils21single_index_iteratorIjEENS5_3SumEjjEEvT1_mT4_T2_T3_
                                        ; -- End function
	.section	.AMDGPU.csdata,"",@progbits
; Kernel info:
; codeLenInByte = 2592
; NumSgprs: 30
; NumVgprs: 52
; ScratchSize: 0
; MemoryBound: 0
; FloatMode: 240
; IeeeMode: 1
; LDSByteSize: 4224 bytes/workgroup (compile time only)
; SGPRBlocks: 3
; VGPRBlocks: 6
; NumSGPRsForWavesPerEU: 30
; NumVGPRsForWavesPerEU: 52
; Occupancy: 16
; WaveLimiterHint : 0
; COMPUTE_PGM_RSRC2:SCRATCH_EN: 0
; COMPUTE_PGM_RSRC2:USER_SGPR: 15
; COMPUTE_PGM_RSRC2:TRAP_HANDLER: 0
; COMPUTE_PGM_RSRC2:TGID_X_EN: 1
; COMPUTE_PGM_RSRC2:TGID_Y_EN: 0
; COMPUTE_PGM_RSRC2:TGID_Z_EN: 0
; COMPUTE_PGM_RSRC2:TIDIG_COMP_CNT: 0
	.section	.text._ZN7rocprim6detail31init_lookback_scan_state_kernelINS0_19lookback_scan_stateIlLb1ELb1EEEEEvT_jjPNS4_10value_typeE,"axG",@progbits,_ZN7rocprim6detail31init_lookback_scan_state_kernelINS0_19lookback_scan_stateIlLb1ELb1EEEEEvT_jjPNS4_10value_typeE,comdat
	.protected	_ZN7rocprim6detail31init_lookback_scan_state_kernelINS0_19lookback_scan_stateIlLb1ELb1EEEEEvT_jjPNS4_10value_typeE ; -- Begin function _ZN7rocprim6detail31init_lookback_scan_state_kernelINS0_19lookback_scan_stateIlLb1ELb1EEEEEvT_jjPNS4_10value_typeE
	.globl	_ZN7rocprim6detail31init_lookback_scan_state_kernelINS0_19lookback_scan_stateIlLb1ELb1EEEEEvT_jjPNS4_10value_typeE
	.p2align	8
	.type	_ZN7rocprim6detail31init_lookback_scan_state_kernelINS0_19lookback_scan_stateIlLb1ELb1EEEEEvT_jjPNS4_10value_typeE,@function
_ZN7rocprim6detail31init_lookback_scan_state_kernelINS0_19lookback_scan_stateIlLb1ELb1EEEEEvT_jjPNS4_10value_typeE: ; @_ZN7rocprim6detail31init_lookback_scan_state_kernelINS0_19lookback_scan_stateIlLb1ELb1EEEEEvT_jjPNS4_10value_typeE
; %bb.0:
	s_clause 0x2
	s_load_b32 s6, s[0:1], 0x24
	s_load_b64 s[4:5], s[0:1], 0x10
	s_load_b128 s[0:3], s[0:1], 0x0
	s_waitcnt lgkmcnt(0)
	s_and_b32 s6, s6, 0xffff
	s_cmp_eq_u64 s[4:5], 0
	v_mad_u64_u32 v[1:2], null, s15, s6, v[0:1]
	s_cbranch_scc1 .LBB125_10
; %bb.1:
	s_cmp_lt_u32 s3, s2
	s_mov_b32 s7, 0
	s_cselect_b32 s6, s3, 0
	s_mov_b32 s8, exec_lo
	s_delay_alu instid0(VALU_DEP_1)
	v_cmpx_eq_u32_e64 s6, v1
	s_cbranch_execz .LBB125_9
; %bb.2:
	s_add_i32 s6, s3, 32
	s_mov_b32 s3, exec_lo
	s_lshl_b64 s[6:7], s[6:7], 4
	v_mov_b32_e32 v6, 0
	s_add_u32 s6, s0, s6
	s_addc_u32 s7, s1, s7
	s_delay_alu instid0(SALU_CYCLE_1) | instskip(SKIP_2) | instid1(VALU_DEP_1)
	v_dual_mov_b32 v2, s6 :: v_dual_mov_b32 v3, s7
	;;#ASMSTART
	global_load_dwordx4 v[2:5], v[2:3] off glc	
s_waitcnt vmcnt(0)
	;;#ASMEND
	v_and_b32_e32 v5, 0xff, v4
	v_cmpx_eq_u64_e32 0, v[5:6]
	s_cbranch_execz .LBB125_8
; %bb.3:
	v_dual_mov_b32 v8, s7 :: v_dual_mov_b32 v7, s6
	s_mov_b32 s7, 1
	s_mov_b32 s6, 0
	.p2align	6
.LBB125_4:                              ; =>This Loop Header: Depth=1
                                        ;     Child Loop BB125_5 Depth 2
	s_max_u32 s9, s7, 1
.LBB125_5:                              ;   Parent Loop BB125_4 Depth=1
                                        ; =>  This Inner Loop Header: Depth=2
	s_delay_alu instid0(SALU_CYCLE_1)
	s_add_i32 s9, s9, -1
	s_sleep 1
	s_cmp_eq_u32 s9, 0
	s_cbranch_scc0 .LBB125_5
; %bb.6:                                ;   in Loop: Header=BB125_4 Depth=1
	;;#ASMSTART
	global_load_dwordx4 v[2:5], v[7:8] off glc	
s_waitcnt vmcnt(0)
	;;#ASMEND
	v_and_b32_e32 v5, 0xff, v4
	s_cmp_lt_u32 s7, 32
	s_cselect_b32 s9, -1, 0
	s_delay_alu instid0(SALU_CYCLE_1) | instskip(NEXT) | instid1(VALU_DEP_1)
	s_cmp_lg_u32 s9, 0
	v_cmp_ne_u64_e32 vcc_lo, 0, v[5:6]
	s_addc_u32 s7, s7, 0
	s_or_b32 s6, vcc_lo, s6
	s_delay_alu instid0(SALU_CYCLE_1)
	s_and_not1_b32 exec_lo, exec_lo, s6
	s_cbranch_execnz .LBB125_4
; %bb.7:
	s_or_b32 exec_lo, exec_lo, s6
.LBB125_8:
	s_delay_alu instid0(SALU_CYCLE_1)
	s_or_b32 exec_lo, exec_lo, s3
	v_mov_b32_e32 v0, 0
	global_store_b64 v0, v[2:3], s[4:5]
.LBB125_9:
	s_or_b32 exec_lo, exec_lo, s8
.LBB125_10:
	s_delay_alu instid0(VALU_DEP_1)
	v_cmp_gt_u32_e32 vcc_lo, s2, v1
	s_and_saveexec_b32 s2, vcc_lo
	s_cbranch_execz .LBB125_12
; %bb.11:
	v_dual_mov_b32 v3, 0 :: v_dual_add_nc_u32 v2, 32, v1
	s_delay_alu instid0(VALU_DEP_1) | instskip(SKIP_2) | instid1(VALU_DEP_3)
	v_lshlrev_b64 v[5:6], 4, v[2:3]
	v_mov_b32_e32 v2, v3
	v_mov_b32_e32 v4, v3
	v_add_co_u32 v7, vcc_lo, s0, v5
	s_delay_alu instid0(VALU_DEP_4)
	v_add_co_ci_u32_e32 v8, vcc_lo, s1, v6, vcc_lo
	v_mov_b32_e32 v5, v3
	global_store_b128 v[7:8], v[2:5], off
.LBB125_12:
	s_or_b32 exec_lo, exec_lo, s2
	s_delay_alu instid0(SALU_CYCLE_1)
	s_mov_b32 s2, exec_lo
	v_cmpx_gt_u32_e32 32, v1
	s_cbranch_execz .LBB125_14
; %bb.13:
	v_dual_mov_b32 v2, 0 :: v_dual_mov_b32 v3, 0xff
	s_delay_alu instid0(VALU_DEP_1) | instskip(SKIP_1) | instid1(VALU_DEP_2)
	v_lshlrev_b64 v[4:5], 4, v[1:2]
	v_mov_b32_e32 v1, v2
	v_add_co_u32 v6, vcc_lo, s0, v4
	s_delay_alu instid0(VALU_DEP_3)
	v_add_co_ci_u32_e32 v7, vcc_lo, s1, v5, vcc_lo
	v_mov_b32_e32 v4, v2
	global_store_b128 v[6:7], v[1:4], off
.LBB125_14:
	s_nop 0
	s_sendmsg sendmsg(MSG_DEALLOC_VGPRS)
	s_endpgm
	.section	.rodata,"a",@progbits
	.p2align	6, 0x0
	.amdhsa_kernel _ZN7rocprim6detail31init_lookback_scan_state_kernelINS0_19lookback_scan_stateIlLb1ELb1EEEEEvT_jjPNS4_10value_typeE
		.amdhsa_group_segment_fixed_size 0
		.amdhsa_private_segment_fixed_size 0
		.amdhsa_kernarg_size 280
		.amdhsa_user_sgpr_count 15
		.amdhsa_user_sgpr_dispatch_ptr 0
		.amdhsa_user_sgpr_queue_ptr 0
		.amdhsa_user_sgpr_kernarg_segment_ptr 1
		.amdhsa_user_sgpr_dispatch_id 0
		.amdhsa_user_sgpr_private_segment_size 0
		.amdhsa_wavefront_size32 1
		.amdhsa_uses_dynamic_stack 0
		.amdhsa_enable_private_segment 0
		.amdhsa_system_sgpr_workgroup_id_x 1
		.amdhsa_system_sgpr_workgroup_id_y 0
		.amdhsa_system_sgpr_workgroup_id_z 0
		.amdhsa_system_sgpr_workgroup_info 0
		.amdhsa_system_vgpr_workitem_id 0
		.amdhsa_next_free_vgpr 9
		.amdhsa_next_free_sgpr 16
		.amdhsa_reserve_vcc 1
		.amdhsa_float_round_mode_32 0
		.amdhsa_float_round_mode_16_64 0
		.amdhsa_float_denorm_mode_32 3
		.amdhsa_float_denorm_mode_16_64 3
		.amdhsa_dx10_clamp 1
		.amdhsa_ieee_mode 1
		.amdhsa_fp16_overflow 0
		.amdhsa_workgroup_processor_mode 1
		.amdhsa_memory_ordered 1
		.amdhsa_forward_progress 0
		.amdhsa_shared_vgpr_count 0
		.amdhsa_exception_fp_ieee_invalid_op 0
		.amdhsa_exception_fp_denorm_src 0
		.amdhsa_exception_fp_ieee_div_zero 0
		.amdhsa_exception_fp_ieee_overflow 0
		.amdhsa_exception_fp_ieee_underflow 0
		.amdhsa_exception_fp_ieee_inexact 0
		.amdhsa_exception_int_div_zero 0
	.end_amdhsa_kernel
	.section	.text._ZN7rocprim6detail31init_lookback_scan_state_kernelINS0_19lookback_scan_stateIlLb1ELb1EEEEEvT_jjPNS4_10value_typeE,"axG",@progbits,_ZN7rocprim6detail31init_lookback_scan_state_kernelINS0_19lookback_scan_stateIlLb1ELb1EEEEEvT_jjPNS4_10value_typeE,comdat
.Lfunc_end125:
	.size	_ZN7rocprim6detail31init_lookback_scan_state_kernelINS0_19lookback_scan_stateIlLb1ELb1EEEEEvT_jjPNS4_10value_typeE, .Lfunc_end125-_ZN7rocprim6detail31init_lookback_scan_state_kernelINS0_19lookback_scan_stateIlLb1ELb1EEEEEvT_jjPNS4_10value_typeE
                                        ; -- End function
	.section	.AMDGPU.csdata,"",@progbits
; Kernel info:
; codeLenInByte = 496
; NumSgprs: 18
; NumVgprs: 9
; ScratchSize: 0
; MemoryBound: 0
; FloatMode: 240
; IeeeMode: 1
; LDSByteSize: 0 bytes/workgroup (compile time only)
; SGPRBlocks: 2
; VGPRBlocks: 1
; NumSGPRsForWavesPerEU: 18
; NumVGPRsForWavesPerEU: 9
; Occupancy: 16
; WaveLimiterHint : 0
; COMPUTE_PGM_RSRC2:SCRATCH_EN: 0
; COMPUTE_PGM_RSRC2:USER_SGPR: 15
; COMPUTE_PGM_RSRC2:TRAP_HANDLER: 0
; COMPUTE_PGM_RSRC2:TGID_X_EN: 1
; COMPUTE_PGM_RSRC2:TGID_Y_EN: 0
; COMPUTE_PGM_RSRC2:TGID_Z_EN: 0
; COMPUTE_PGM_RSRC2:TIDIG_COMP_CNT: 0
	.section	.text._ZN7rocprim6detail31init_lookback_scan_state_kernelINS0_19lookback_scan_stateIlLb0ELb1EEEEEvT_jjPNS4_10value_typeE,"axG",@progbits,_ZN7rocprim6detail31init_lookback_scan_state_kernelINS0_19lookback_scan_stateIlLb0ELb1EEEEEvT_jjPNS4_10value_typeE,comdat
	.protected	_ZN7rocprim6detail31init_lookback_scan_state_kernelINS0_19lookback_scan_stateIlLb0ELb1EEEEEvT_jjPNS4_10value_typeE ; -- Begin function _ZN7rocprim6detail31init_lookback_scan_state_kernelINS0_19lookback_scan_stateIlLb0ELb1EEEEEvT_jjPNS4_10value_typeE
	.globl	_ZN7rocprim6detail31init_lookback_scan_state_kernelINS0_19lookback_scan_stateIlLb0ELb1EEEEEvT_jjPNS4_10value_typeE
	.p2align	8
	.type	_ZN7rocprim6detail31init_lookback_scan_state_kernelINS0_19lookback_scan_stateIlLb0ELb1EEEEEvT_jjPNS4_10value_typeE,@function
_ZN7rocprim6detail31init_lookback_scan_state_kernelINS0_19lookback_scan_stateIlLb0ELb1EEEEEvT_jjPNS4_10value_typeE: ; @_ZN7rocprim6detail31init_lookback_scan_state_kernelINS0_19lookback_scan_stateIlLb0ELb1EEEEEvT_jjPNS4_10value_typeE
; %bb.0:
	s_clause 0x2
	s_load_b32 s6, s[0:1], 0x24
	s_load_b64 s[4:5], s[0:1], 0x10
	s_load_b128 s[0:3], s[0:1], 0x0
	s_waitcnt lgkmcnt(0)
	s_and_b32 s6, s6, 0xffff
	s_cmp_eq_u64 s[4:5], 0
	v_mad_u64_u32 v[1:2], null, s15, s6, v[0:1]
	s_cbranch_scc1 .LBB126_8
; %bb.1:
	s_cmp_lt_u32 s3, s2
	s_mov_b32 s7, 0
	s_cselect_b32 s6, s3, 0
	s_mov_b32 s8, exec_lo
	s_delay_alu instid0(VALU_DEP_1)
	v_cmpx_eq_u32_e64 s6, v1
	s_cbranch_execz .LBB126_7
; %bb.2:
	s_add_i32 s6, s3, 32
	s_mov_b32 s3, exec_lo
	s_lshl_b64 s[6:7], s[6:7], 4
	v_mov_b32_e32 v6, 0
	s_add_u32 s6, s0, s6
	s_addc_u32 s7, s1, s7
	s_delay_alu instid0(SALU_CYCLE_1) | instskip(SKIP_2) | instid1(VALU_DEP_1)
	v_dual_mov_b32 v2, s6 :: v_dual_mov_b32 v3, s7
	;;#ASMSTART
	global_load_dwordx4 v[2:5], v[2:3] off glc	
s_waitcnt vmcnt(0)
	;;#ASMEND
	v_and_b32_e32 v5, 0xff, v4
	v_cmpx_eq_u64_e32 0, v[5:6]
	s_cbranch_execz .LBB126_6
; %bb.3:
	v_dual_mov_b32 v8, s7 :: v_dual_mov_b32 v7, s6
	s_mov_b32 s6, 0
.LBB126_4:                              ; =>This Inner Loop Header: Depth=1
	;;#ASMSTART
	global_load_dwordx4 v[2:5], v[7:8] off glc	
s_waitcnt vmcnt(0)
	;;#ASMEND
	v_and_b32_e32 v5, 0xff, v4
	s_delay_alu instid0(VALU_DEP_1) | instskip(SKIP_1) | instid1(SALU_CYCLE_1)
	v_cmp_ne_u64_e32 vcc_lo, 0, v[5:6]
	s_or_b32 s6, vcc_lo, s6
	s_and_not1_b32 exec_lo, exec_lo, s6
	s_cbranch_execnz .LBB126_4
; %bb.5:
	s_or_b32 exec_lo, exec_lo, s6
.LBB126_6:
	s_delay_alu instid0(SALU_CYCLE_1)
	s_or_b32 exec_lo, exec_lo, s3
	v_mov_b32_e32 v0, 0
	global_store_b64 v0, v[2:3], s[4:5]
.LBB126_7:
	s_or_b32 exec_lo, exec_lo, s8
.LBB126_8:
	s_delay_alu instid0(VALU_DEP_1)
	v_cmp_gt_u32_e32 vcc_lo, s2, v1
	s_and_saveexec_b32 s2, vcc_lo
	s_cbranch_execz .LBB126_10
; %bb.9:
	v_dual_mov_b32 v3, 0 :: v_dual_add_nc_u32 v2, 32, v1
	s_delay_alu instid0(VALU_DEP_1) | instskip(SKIP_2) | instid1(VALU_DEP_3)
	v_lshlrev_b64 v[5:6], 4, v[2:3]
	v_mov_b32_e32 v2, v3
	v_mov_b32_e32 v4, v3
	v_add_co_u32 v7, vcc_lo, s0, v5
	s_delay_alu instid0(VALU_DEP_4)
	v_add_co_ci_u32_e32 v8, vcc_lo, s1, v6, vcc_lo
	v_mov_b32_e32 v5, v3
	global_store_b128 v[7:8], v[2:5], off
.LBB126_10:
	s_or_b32 exec_lo, exec_lo, s2
	s_delay_alu instid0(SALU_CYCLE_1)
	s_mov_b32 s2, exec_lo
	v_cmpx_gt_u32_e32 32, v1
	s_cbranch_execz .LBB126_12
; %bb.11:
	v_dual_mov_b32 v2, 0 :: v_dual_mov_b32 v3, 0xff
	s_delay_alu instid0(VALU_DEP_1) | instskip(SKIP_1) | instid1(VALU_DEP_2)
	v_lshlrev_b64 v[4:5], 4, v[1:2]
	v_mov_b32_e32 v1, v2
	v_add_co_u32 v6, vcc_lo, s0, v4
	s_delay_alu instid0(VALU_DEP_3)
	v_add_co_ci_u32_e32 v7, vcc_lo, s1, v5, vcc_lo
	v_mov_b32_e32 v4, v2
	global_store_b128 v[6:7], v[1:4], off
.LBB126_12:
	s_nop 0
	s_sendmsg sendmsg(MSG_DEALLOC_VGPRS)
	s_endpgm
	.section	.rodata,"a",@progbits
	.p2align	6, 0x0
	.amdhsa_kernel _ZN7rocprim6detail31init_lookback_scan_state_kernelINS0_19lookback_scan_stateIlLb0ELb1EEEEEvT_jjPNS4_10value_typeE
		.amdhsa_group_segment_fixed_size 0
		.amdhsa_private_segment_fixed_size 0
		.amdhsa_kernarg_size 280
		.amdhsa_user_sgpr_count 15
		.amdhsa_user_sgpr_dispatch_ptr 0
		.amdhsa_user_sgpr_queue_ptr 0
		.amdhsa_user_sgpr_kernarg_segment_ptr 1
		.amdhsa_user_sgpr_dispatch_id 0
		.amdhsa_user_sgpr_private_segment_size 0
		.amdhsa_wavefront_size32 1
		.amdhsa_uses_dynamic_stack 0
		.amdhsa_enable_private_segment 0
		.amdhsa_system_sgpr_workgroup_id_x 1
		.amdhsa_system_sgpr_workgroup_id_y 0
		.amdhsa_system_sgpr_workgroup_id_z 0
		.amdhsa_system_sgpr_workgroup_info 0
		.amdhsa_system_vgpr_workitem_id 0
		.amdhsa_next_free_vgpr 9
		.amdhsa_next_free_sgpr 16
		.amdhsa_reserve_vcc 1
		.amdhsa_float_round_mode_32 0
		.amdhsa_float_round_mode_16_64 0
		.amdhsa_float_denorm_mode_32 3
		.amdhsa_float_denorm_mode_16_64 3
		.amdhsa_dx10_clamp 1
		.amdhsa_ieee_mode 1
		.amdhsa_fp16_overflow 0
		.amdhsa_workgroup_processor_mode 1
		.amdhsa_memory_ordered 1
		.amdhsa_forward_progress 0
		.amdhsa_shared_vgpr_count 0
		.amdhsa_exception_fp_ieee_invalid_op 0
		.amdhsa_exception_fp_denorm_src 0
		.amdhsa_exception_fp_ieee_div_zero 0
		.amdhsa_exception_fp_ieee_overflow 0
		.amdhsa_exception_fp_ieee_underflow 0
		.amdhsa_exception_fp_ieee_inexact 0
		.amdhsa_exception_int_div_zero 0
	.end_amdhsa_kernel
	.section	.text._ZN7rocprim6detail31init_lookback_scan_state_kernelINS0_19lookback_scan_stateIlLb0ELb1EEEEEvT_jjPNS4_10value_typeE,"axG",@progbits,_ZN7rocprim6detail31init_lookback_scan_state_kernelINS0_19lookback_scan_stateIlLb0ELb1EEEEEvT_jjPNS4_10value_typeE,comdat
.Lfunc_end126:
	.size	_ZN7rocprim6detail31init_lookback_scan_state_kernelINS0_19lookback_scan_stateIlLb0ELb1EEEEEvT_jjPNS4_10value_typeE, .Lfunc_end126-_ZN7rocprim6detail31init_lookback_scan_state_kernelINS0_19lookback_scan_stateIlLb0ELb1EEEEEvT_jjPNS4_10value_typeE
                                        ; -- End function
	.section	.AMDGPU.csdata,"",@progbits
; Kernel info:
; codeLenInByte = 448
; NumSgprs: 18
; NumVgprs: 9
; ScratchSize: 0
; MemoryBound: 0
; FloatMode: 240
; IeeeMode: 1
; LDSByteSize: 0 bytes/workgroup (compile time only)
; SGPRBlocks: 2
; VGPRBlocks: 1
; NumSGPRsForWavesPerEU: 18
; NumVGPRsForWavesPerEU: 9
; Occupancy: 16
; WaveLimiterHint : 0
; COMPUTE_PGM_RSRC2:SCRATCH_EN: 0
; COMPUTE_PGM_RSRC2:USER_SGPR: 15
; COMPUTE_PGM_RSRC2:TRAP_HANDLER: 0
; COMPUTE_PGM_RSRC2:TGID_X_EN: 1
; COMPUTE_PGM_RSRC2:TGID_Y_EN: 0
; COMPUTE_PGM_RSRC2:TGID_Z_EN: 0
; COMPUTE_PGM_RSRC2:TIDIG_COMP_CNT: 0
	.section	.text._ZN7rocprim6detail20lookback_scan_kernelILNS0_25lookback_scan_determinismE0ELb1ENS0_19wrapped_scan_configINS_14default_configElEEN6hipcub22TransformInputIteratorIiNS6_6CastOpIiEEPilEEPlNS6_3SumENS_12future_valueIlSC_EElNS0_19lookback_scan_stateIlLb1ELb1EEEEEvT2_T3_mT5_T4_T7_jPT6_SO_bb,"axG",@progbits,_ZN7rocprim6detail20lookback_scan_kernelILNS0_25lookback_scan_determinismE0ELb1ENS0_19wrapped_scan_configINS_14default_configElEEN6hipcub22TransformInputIteratorIiNS6_6CastOpIiEEPilEEPlNS6_3SumENS_12future_valueIlSC_EElNS0_19lookback_scan_stateIlLb1ELb1EEEEEvT2_T3_mT5_T4_T7_jPT6_SO_bb,comdat
	.protected	_ZN7rocprim6detail20lookback_scan_kernelILNS0_25lookback_scan_determinismE0ELb1ENS0_19wrapped_scan_configINS_14default_configElEEN6hipcub22TransformInputIteratorIiNS6_6CastOpIiEEPilEEPlNS6_3SumENS_12future_valueIlSC_EElNS0_19lookback_scan_stateIlLb1ELb1EEEEEvT2_T3_mT5_T4_T7_jPT6_SO_bb ; -- Begin function _ZN7rocprim6detail20lookback_scan_kernelILNS0_25lookback_scan_determinismE0ELb1ENS0_19wrapped_scan_configINS_14default_configElEEN6hipcub22TransformInputIteratorIiNS6_6CastOpIiEEPilEEPlNS6_3SumENS_12future_valueIlSC_EElNS0_19lookback_scan_stateIlLb1ELb1EEEEEvT2_T3_mT5_T4_T7_jPT6_SO_bb
	.globl	_ZN7rocprim6detail20lookback_scan_kernelILNS0_25lookback_scan_determinismE0ELb1ENS0_19wrapped_scan_configINS_14default_configElEEN6hipcub22TransformInputIteratorIiNS6_6CastOpIiEEPilEEPlNS6_3SumENS_12future_valueIlSC_EElNS0_19lookback_scan_stateIlLb1ELb1EEEEEvT2_T3_mT5_T4_T7_jPT6_SO_bb
	.p2align	8
	.type	_ZN7rocprim6detail20lookback_scan_kernelILNS0_25lookback_scan_determinismE0ELb1ENS0_19wrapped_scan_configINS_14default_configElEEN6hipcub22TransformInputIteratorIiNS6_6CastOpIiEEPilEEPlNS6_3SumENS_12future_valueIlSC_EElNS0_19lookback_scan_stateIlLb1ELb1EEEEEvT2_T3_mT5_T4_T7_jPT6_SO_bb,@function
_ZN7rocprim6detail20lookback_scan_kernelILNS0_25lookback_scan_determinismE0ELb1ENS0_19wrapped_scan_configINS_14default_configElEEN6hipcub22TransformInputIteratorIiNS6_6CastOpIiEEPilEEPlNS6_3SumENS_12future_valueIlSC_EElNS0_19lookback_scan_stateIlLb1ELb1EEEEEvT2_T3_mT5_T4_T7_jPT6_SO_bb: ; @_ZN7rocprim6detail20lookback_scan_kernelILNS0_25lookback_scan_determinismE0ELb1ENS0_19wrapped_scan_configINS_14default_configElEEN6hipcub22TransformInputIteratorIiNS6_6CastOpIiEEPilEEPlNS6_3SumENS_12future_valueIlSC_EElNS0_19lookback_scan_stateIlLb1ELb1EEEEEvT2_T3_mT5_T4_T7_jPT6_SO_bb
; %bb.0:
	s_endpgm
	.section	.rodata,"a",@progbits
	.p2align	6, 0x0
	.amdhsa_kernel _ZN7rocprim6detail20lookback_scan_kernelILNS0_25lookback_scan_determinismE0ELb1ENS0_19wrapped_scan_configINS_14default_configElEEN6hipcub22TransformInputIteratorIiNS6_6CastOpIiEEPilEEPlNS6_3SumENS_12future_valueIlSC_EElNS0_19lookback_scan_stateIlLb1ELb1EEEEEvT2_T3_mT5_T4_T7_jPT6_SO_bb
		.amdhsa_group_segment_fixed_size 0
		.amdhsa_private_segment_fixed_size 0
		.amdhsa_kernarg_size 84
		.amdhsa_user_sgpr_count 15
		.amdhsa_user_sgpr_dispatch_ptr 0
		.amdhsa_user_sgpr_queue_ptr 0
		.amdhsa_user_sgpr_kernarg_segment_ptr 1
		.amdhsa_user_sgpr_dispatch_id 0
		.amdhsa_user_sgpr_private_segment_size 0
		.amdhsa_wavefront_size32 1
		.amdhsa_uses_dynamic_stack 0
		.amdhsa_enable_private_segment 0
		.amdhsa_system_sgpr_workgroup_id_x 1
		.amdhsa_system_sgpr_workgroup_id_y 0
		.amdhsa_system_sgpr_workgroup_id_z 0
		.amdhsa_system_sgpr_workgroup_info 0
		.amdhsa_system_vgpr_workitem_id 0
		.amdhsa_next_free_vgpr 1
		.amdhsa_next_free_sgpr 1
		.amdhsa_reserve_vcc 0
		.amdhsa_float_round_mode_32 0
		.amdhsa_float_round_mode_16_64 0
		.amdhsa_float_denorm_mode_32 3
		.amdhsa_float_denorm_mode_16_64 3
		.amdhsa_dx10_clamp 1
		.amdhsa_ieee_mode 1
		.amdhsa_fp16_overflow 0
		.amdhsa_workgroup_processor_mode 1
		.amdhsa_memory_ordered 1
		.amdhsa_forward_progress 0
		.amdhsa_shared_vgpr_count 0
		.amdhsa_exception_fp_ieee_invalid_op 0
		.amdhsa_exception_fp_denorm_src 0
		.amdhsa_exception_fp_ieee_div_zero 0
		.amdhsa_exception_fp_ieee_overflow 0
		.amdhsa_exception_fp_ieee_underflow 0
		.amdhsa_exception_fp_ieee_inexact 0
		.amdhsa_exception_int_div_zero 0
	.end_amdhsa_kernel
	.section	.text._ZN7rocprim6detail20lookback_scan_kernelILNS0_25lookback_scan_determinismE0ELb1ENS0_19wrapped_scan_configINS_14default_configElEEN6hipcub22TransformInputIteratorIiNS6_6CastOpIiEEPilEEPlNS6_3SumENS_12future_valueIlSC_EElNS0_19lookback_scan_stateIlLb1ELb1EEEEEvT2_T3_mT5_T4_T7_jPT6_SO_bb,"axG",@progbits,_ZN7rocprim6detail20lookback_scan_kernelILNS0_25lookback_scan_determinismE0ELb1ENS0_19wrapped_scan_configINS_14default_configElEEN6hipcub22TransformInputIteratorIiNS6_6CastOpIiEEPilEEPlNS6_3SumENS_12future_valueIlSC_EElNS0_19lookback_scan_stateIlLb1ELb1EEEEEvT2_T3_mT5_T4_T7_jPT6_SO_bb,comdat
.Lfunc_end127:
	.size	_ZN7rocprim6detail20lookback_scan_kernelILNS0_25lookback_scan_determinismE0ELb1ENS0_19wrapped_scan_configINS_14default_configElEEN6hipcub22TransformInputIteratorIiNS6_6CastOpIiEEPilEEPlNS6_3SumENS_12future_valueIlSC_EElNS0_19lookback_scan_stateIlLb1ELb1EEEEEvT2_T3_mT5_T4_T7_jPT6_SO_bb, .Lfunc_end127-_ZN7rocprim6detail20lookback_scan_kernelILNS0_25lookback_scan_determinismE0ELb1ENS0_19wrapped_scan_configINS_14default_configElEEN6hipcub22TransformInputIteratorIiNS6_6CastOpIiEEPilEEPlNS6_3SumENS_12future_valueIlSC_EElNS0_19lookback_scan_stateIlLb1ELb1EEEEEvT2_T3_mT5_T4_T7_jPT6_SO_bb
                                        ; -- End function
	.section	.AMDGPU.csdata,"",@progbits
; Kernel info:
; codeLenInByte = 4
; NumSgprs: 0
; NumVgprs: 0
; ScratchSize: 0
; MemoryBound: 0
; FloatMode: 240
; IeeeMode: 1
; LDSByteSize: 0 bytes/workgroup (compile time only)
; SGPRBlocks: 0
; VGPRBlocks: 0
; NumSGPRsForWavesPerEU: 1
; NumVGPRsForWavesPerEU: 1
; Occupancy: 16
; WaveLimiterHint : 0
; COMPUTE_PGM_RSRC2:SCRATCH_EN: 0
; COMPUTE_PGM_RSRC2:USER_SGPR: 15
; COMPUTE_PGM_RSRC2:TRAP_HANDLER: 0
; COMPUTE_PGM_RSRC2:TGID_X_EN: 1
; COMPUTE_PGM_RSRC2:TGID_Y_EN: 0
; COMPUTE_PGM_RSRC2:TGID_Z_EN: 0
; COMPUTE_PGM_RSRC2:TIDIG_COMP_CNT: 0
	.section	.text._ZN7rocprim6detail20lookback_scan_kernelILNS0_25lookback_scan_determinismE0ELb1ENS0_19wrapped_scan_configINS_14default_configElEEN6hipcub22TransformInputIteratorIiNS6_6CastOpIiEEPilEEPlNS6_3SumENS_12future_valueIlSC_EElNS0_19lookback_scan_stateIlLb0ELb1EEEEEvT2_T3_mT5_T4_T7_jPT6_SO_bb,"axG",@progbits,_ZN7rocprim6detail20lookback_scan_kernelILNS0_25lookback_scan_determinismE0ELb1ENS0_19wrapped_scan_configINS_14default_configElEEN6hipcub22TransformInputIteratorIiNS6_6CastOpIiEEPilEEPlNS6_3SumENS_12future_valueIlSC_EElNS0_19lookback_scan_stateIlLb0ELb1EEEEEvT2_T3_mT5_T4_T7_jPT6_SO_bb,comdat
	.protected	_ZN7rocprim6detail20lookback_scan_kernelILNS0_25lookback_scan_determinismE0ELb1ENS0_19wrapped_scan_configINS_14default_configElEEN6hipcub22TransformInputIteratorIiNS6_6CastOpIiEEPilEEPlNS6_3SumENS_12future_valueIlSC_EElNS0_19lookback_scan_stateIlLb0ELb1EEEEEvT2_T3_mT5_T4_T7_jPT6_SO_bb ; -- Begin function _ZN7rocprim6detail20lookback_scan_kernelILNS0_25lookback_scan_determinismE0ELb1ENS0_19wrapped_scan_configINS_14default_configElEEN6hipcub22TransformInputIteratorIiNS6_6CastOpIiEEPilEEPlNS6_3SumENS_12future_valueIlSC_EElNS0_19lookback_scan_stateIlLb0ELb1EEEEEvT2_T3_mT5_T4_T7_jPT6_SO_bb
	.globl	_ZN7rocprim6detail20lookback_scan_kernelILNS0_25lookback_scan_determinismE0ELb1ENS0_19wrapped_scan_configINS_14default_configElEEN6hipcub22TransformInputIteratorIiNS6_6CastOpIiEEPilEEPlNS6_3SumENS_12future_valueIlSC_EElNS0_19lookback_scan_stateIlLb0ELb1EEEEEvT2_T3_mT5_T4_T7_jPT6_SO_bb
	.p2align	8
	.type	_ZN7rocprim6detail20lookback_scan_kernelILNS0_25lookback_scan_determinismE0ELb1ENS0_19wrapped_scan_configINS_14default_configElEEN6hipcub22TransformInputIteratorIiNS6_6CastOpIiEEPilEEPlNS6_3SumENS_12future_valueIlSC_EElNS0_19lookback_scan_stateIlLb0ELb1EEEEEvT2_T3_mT5_T4_T7_jPT6_SO_bb,@function
_ZN7rocprim6detail20lookback_scan_kernelILNS0_25lookback_scan_determinismE0ELb1ENS0_19wrapped_scan_configINS_14default_configElEEN6hipcub22TransformInputIteratorIiNS6_6CastOpIiEEPilEEPlNS6_3SumENS_12future_valueIlSC_EElNS0_19lookback_scan_stateIlLb0ELb1EEEEEvT2_T3_mT5_T4_T7_jPT6_SO_bb: ; @_ZN7rocprim6detail20lookback_scan_kernelILNS0_25lookback_scan_determinismE0ELb1ENS0_19wrapped_scan_configINS_14default_configElEEN6hipcub22TransformInputIteratorIiNS6_6CastOpIiEEPilEEPlNS6_3SumENS_12future_valueIlSC_EElNS0_19lookback_scan_stateIlLb0ELb1EEEEEvT2_T3_mT5_T4_T7_jPT6_SO_bb
; %bb.0:
	s_clause 0x3
	s_load_b32 s8, s[0:1], 0x38
	s_load_b64 s[2:3], s[0:1], 0x20
	s_load_b128 s[4:7], s[0:1], 0x10
	s_load_b64 s[16:17], s[0:1], 0x0
	s_lshl_b32 s12, s15, 12
	s_mov_b32 s13, 0
	v_lshlrev_b32_e32 v1, 2, v0
	v_lshrrev_b32_e32 v37, 2, v0
	v_lshlrev_b32_e32 v82, 3, v0
	v_or_b32_e32 v81, 0x100, v0
	v_or_b32_e32 v80, 0x200, v0
	;; [unrolled: 1-line block ×11, first 2 shown]
	s_waitcnt lgkmcnt(0)
	s_add_i32 s8, s8, -1
	s_load_b64 s[18:19], s[2:3], 0x0
	s_lshl_b32 s9, s8, 12
	v_or_b32_e32 v70, 0xc00, v0
	s_sub_u32 s14, s6, s9
	s_subb_u32 s20, s7, 0
	s_cmp_lg_u32 s15, s8
	v_or_b32_e32 v69, 0xd00, v0
	s_cselect_b32 s21, -1, 0
	s_lshl_b64 s[2:3], s[12:13], 2
	v_or_b32_e32 v68, 0xe00, v0
	v_or_b32_e32 v67, 0xf00, v0
	s_add_u32 s6, s16, s2
	s_addc_u32 s7, s17, s3
	s_and_b32 vcc_lo, exec_lo, s21
	s_mov_b32 s3, -1
	s_cbranch_vccz .LBB128_2
; %bb.1:
	v_add_co_u32 v7, s2, s6, v1
	s_delay_alu instid0(VALU_DEP_1) | instskip(SKIP_1) | instid1(VALU_DEP_3)
	v_add_co_ci_u32_e64 v9, null, s7, 0, s2
	v_lshrrev_b32_e32 v11, 2, v78
	v_add_co_u32 v2, vcc_lo, 0x1000, v7
	s_delay_alu instid0(VALU_DEP_3)
	v_add_co_ci_u32_e32 v3, vcc_lo, 0, v9, vcc_lo
	v_add_co_u32 v4, vcc_lo, v7, 0x2000
	v_add_co_ci_u32_e32 v5, vcc_lo, 0, v9, vcc_lo
	v_add_co_u32 v19, vcc_lo, 0x2000, v7
	;; [unrolled: 2-line block ×3, first 2 shown]
	s_clause 0x7
	global_load_b32 v6, v1, s[6:7]
	global_load_b32 v8, v1, s[6:7] offset:1024
	global_load_b32 v10, v1, s[6:7] offset:2048
	;; [unrolled: 1-line block ×3, first 2 shown]
	global_load_b32 v14, v[4:5], off offset:-4096
	global_load_b32 v16, v[2:3], off offset:1024
	global_load_b32 v18, v[2:3], off offset:2048
	;; [unrolled: 1-line block ×3, first 2 shown]
	v_add_co_ci_u32_e32 v22, vcc_lo, 0, v9, vcc_lo
	s_clause 0x7
	global_load_b32 v4, v[4:5], off
	global_load_b32 v23, v[19:20], off offset:1024
	global_load_b32 v25, v[19:20], off offset:2048
	;; [unrolled: 1-line block ×3, first 2 shown]
	global_load_b32 v27, v[21:22], off
	global_load_b32 v29, v[21:22], off offset:1024
	global_load_b32 v31, v[21:22], off offset:2048
	;; [unrolled: 1-line block ×3, first 2 shown]
	v_lshrrev_b32_e32 v7, 2, v80
	v_lshrrev_b32_e32 v5, 2, v81
	;; [unrolled: 1-line block ×7, first 2 shown]
	v_and_b32_e32 v3, 56, v37
	v_and_b32_e32 v7, 0xb8, v7
	;; [unrolled: 1-line block ×4, first 2 shown]
	v_lshrrev_b32_e32 v21, 2, v73
	v_lshrrev_b32_e32 v22, 2, v72
	;; [unrolled: 1-line block ×7, first 2 shown]
	v_and_b32_e32 v11, 0x138, v11
	v_and_b32_e32 v15, 0x1b8, v15
	;; [unrolled: 1-line block ×5, first 2 shown]
	v_add_nc_u32_e32 v3, v3, v82
	v_add_nc_u32_e32 v34, v7, v82
	;; [unrolled: 1-line block ×4, first 2 shown]
	v_and_b32_e32 v21, 0x278, v21
	v_and_b32_e32 v22, 0x2b8, v22
	v_and_b32_e32 v24, 0x2f8, v24
	v_and_b32_e32 v26, 0x338, v26
	v_and_b32_e32 v28, 0x378, v28
	v_and_b32_e32 v30, 0x3b8, v30
	v_and_b32_e32 v32, 0x3f8, v32
	v_add_nc_u32_e32 v36, v11, v82
	v_add_nc_u32_e32 v39, v15, v82
	;; [unrolled: 1-line block ×5, first 2 shown]
	s_mov_b32 s3, s13
	v_add_nc_u32_e32 v42, v21, v82
	v_add_nc_u32_e32 v22, v22, v82
	;; [unrolled: 1-line block ×7, first 2 shown]
	s_waitcnt vmcnt(15)
	v_ashrrev_i32_e32 v7, 31, v6
	s_waitcnt vmcnt(14)
	v_ashrrev_i32_e32 v9, 31, v8
	;; [unrolled: 2-line block ×7, first 2 shown]
	ds_store_b64 v3, v[6:7]
	ds_store_b64 v5, v[8:9] offset:2048
	ds_store_b64 v34, v[10:11] offset:4096
	;; [unrolled: 1-line block ×3, first 2 shown]
	s_waitcnt vmcnt(8)
	v_ashrrev_i32_e32 v3, 31, v2
	s_waitcnt vmcnt(7)
	v_ashrrev_i32_e32 v5, 31, v4
	;; [unrolled: 2-line block ×9, first 2 shown]
	ds_store_b64 v36, v[14:15] offset:8192
	ds_store_b64 v38, v[16:17] offset:10240
	;; [unrolled: 1-line block ×12, first 2 shown]
	s_waitcnt lgkmcnt(0)
	s_barrier
.LBB128_2:
	v_cmp_gt_u32_e64 s2, s14, v0
	s_and_not1_b32 vcc_lo, exec_lo, s3
	s_cbranch_vccnz .LBB128_21
; %bb.3:
	s_load_b32 s36, s[6:7], 0x0
	v_add_co_u32 v35, s3, s6, v1
	s_delay_alu instid0(VALU_DEP_1)
	v_add_co_ci_u32_e64 v36, null, s7, 0, s3
	s_waitcnt lgkmcnt(0)
	s_ashr_i32 s37, s36, 31
	s_mov_b32 s38, s36
	s_mov_b32 s40, s36
	;; [unrolled: 1-line block ×30, first 2 shown]
	v_dual_mov_b32 v1, s36 :: v_dual_mov_b32 v2, s37
	v_dual_mov_b32 v3, s38 :: v_dual_mov_b32 v4, s39
	;; [unrolled: 1-line block ×17, first 2 shown]
	s_and_saveexec_b32 s3, s2
	s_cbranch_execnz .LBB128_168
; %bb.4:
	s_or_b32 exec_lo, exec_lo, s3
	s_delay_alu instid0(SALU_CYCLE_1)
	s_mov_b32 s2, exec_lo
	v_cmpx_gt_u32_e64 s14, v81
	s_cbranch_execnz .LBB128_169
.LBB128_5:
	s_or_b32 exec_lo, exec_lo, s2
	s_delay_alu instid0(SALU_CYCLE_1)
	s_mov_b32 s2, exec_lo
	v_cmpx_gt_u32_e64 s14, v80
	s_cbranch_execnz .LBB128_170
.LBB128_6:
	s_or_b32 exec_lo, exec_lo, s2
	s_delay_alu instid0(SALU_CYCLE_1)
	s_mov_b32 s2, exec_lo
	v_cmpx_gt_u32_e64 s14, v79
	s_cbranch_execnz .LBB128_171
.LBB128_7:
	s_or_b32 exec_lo, exec_lo, s2
	s_delay_alu instid0(SALU_CYCLE_1)
	s_mov_b32 s2, exec_lo
	v_cmpx_gt_u32_e64 s14, v78
	s_cbranch_execnz .LBB128_172
.LBB128_8:
	s_or_b32 exec_lo, exec_lo, s2
	s_delay_alu instid0(SALU_CYCLE_1)
	s_mov_b32 s2, exec_lo
	v_cmpx_gt_u32_e64 s14, v77
	s_cbranch_execnz .LBB128_173
.LBB128_9:
	s_or_b32 exec_lo, exec_lo, s2
	s_delay_alu instid0(SALU_CYCLE_1)
	s_mov_b32 s2, exec_lo
	v_cmpx_gt_u32_e64 s14, v76
	s_cbranch_execnz .LBB128_174
.LBB128_10:
	s_or_b32 exec_lo, exec_lo, s2
	s_delay_alu instid0(SALU_CYCLE_1)
	s_mov_b32 s2, exec_lo
	v_cmpx_gt_u32_e64 s14, v75
	s_cbranch_execnz .LBB128_175
.LBB128_11:
	s_or_b32 exec_lo, exec_lo, s2
	s_delay_alu instid0(SALU_CYCLE_1)
	s_mov_b32 s2, exec_lo
	v_cmpx_gt_u32_e64 s14, v74
	s_cbranch_execnz .LBB128_176
.LBB128_12:
	s_or_b32 exec_lo, exec_lo, s2
	s_delay_alu instid0(SALU_CYCLE_1)
	s_mov_b32 s2, exec_lo
	v_cmpx_gt_u32_e64 s14, v73
	s_cbranch_execnz .LBB128_177
.LBB128_13:
	s_or_b32 exec_lo, exec_lo, s2
	s_delay_alu instid0(SALU_CYCLE_1)
	s_mov_b32 s2, exec_lo
	v_cmpx_gt_u32_e64 s14, v72
	s_cbranch_execnz .LBB128_178
.LBB128_14:
	s_or_b32 exec_lo, exec_lo, s2
	s_delay_alu instid0(SALU_CYCLE_1)
	s_mov_b32 s2, exec_lo
	v_cmpx_gt_u32_e64 s14, v71
	s_cbranch_execnz .LBB128_179
.LBB128_15:
	s_or_b32 exec_lo, exec_lo, s2
	s_delay_alu instid0(SALU_CYCLE_1)
	s_mov_b32 s2, exec_lo
	v_cmpx_gt_u32_e64 s14, v70
	s_cbranch_execnz .LBB128_180
.LBB128_16:
	s_or_b32 exec_lo, exec_lo, s2
	s_delay_alu instid0(SALU_CYCLE_1)
	s_mov_b32 s2, exec_lo
	v_cmpx_gt_u32_e64 s14, v69
	s_cbranch_execnz .LBB128_181
.LBB128_17:
	s_or_b32 exec_lo, exec_lo, s2
	s_delay_alu instid0(SALU_CYCLE_1)
	s_mov_b32 s2, exec_lo
	v_cmpx_gt_u32_e64 s14, v68
	s_cbranch_execnz .LBB128_182
.LBB128_18:
	s_or_b32 exec_lo, exec_lo, s2
	s_delay_alu instid0(SALU_CYCLE_1)
	s_mov_b32 s2, exec_lo
	v_cmpx_gt_u32_e64 s14, v67
	s_cbranch_execz .LBB128_20
.LBB128_19:
	v_add_co_u32 v1, vcc_lo, 0x3000, v35
	v_add_co_ci_u32_e32 v2, vcc_lo, 0, v36, vcc_lo
	global_load_b32 v31, v[1:2], off offset:3072
	s_waitcnt vmcnt(0)
	v_ashrrev_i32_e32 v32, 31, v31
.LBB128_20:
	s_or_b32 exec_lo, exec_lo, s2
	v_lshrrev_b32_e32 v1, 2, v81
	v_lshrrev_b32_e32 v2, 2, v80
	v_lshrrev_b32_e32 v35, 2, v79
	v_and_b32_e32 v36, 56, v37
	v_lshrrev_b32_e32 v37, 2, v78
	v_and_b32_e32 v1, 0x78, v1
	v_and_b32_e32 v2, 0xf8, v2
	;; [unrolled: 1-line block ×3, first 2 shown]
	v_lshrrev_b32_e32 v38, 2, v77
	v_add_nc_u32_e32 v36, v36, v82
	v_add_nc_u32_e32 v1, v1, v82
	v_lshrrev_b32_e32 v39, 2, v76
	v_add_nc_u32_e32 v2, v2, v82
	v_lshrrev_b32_e32 v40, 2, v75
	v_add_nc_u32_e32 v35, v35, v82
	v_and_b32_e32 v37, 0x1f8, v37
	v_and_b32_e32 v38, 0x1f8, v38
	ds_store_b64 v36, v[33:34]
	ds_store_b64 v1, v[3:4] offset:2048
	ds_store_b64 v2, v[5:6] offset:4096
	;; [unrolled: 1-line block ×3, first 2 shown]
	v_lshrrev_b32_e32 v5, 2, v74
	v_and_b32_e32 v3, 0x1f8, v39
	v_lshrrev_b32_e32 v6, 2, v73
	v_lshrrev_b32_e32 v7, 2, v72
	v_and_b32_e32 v4, 0x1f8, v40
	v_add_nc_u32_e32 v1, v37, v82
	v_add_nc_u32_e32 v2, v38, v82
	v_and_b32_e32 v5, 0x3f8, v5
	v_add_nc_u32_e32 v3, v3, v82
	v_and_b32_e32 v6, 0x3f8, v6
	v_and_b32_e32 v7, 0x3f8, v7
	v_add_nc_u32_e32 v4, v4, v82
	ds_store_b64 v1, v[9:10] offset:8192
	ds_store_b64 v2, v[11:12] offset:10240
	;; [unrolled: 1-line block ×4, first 2 shown]
	v_lshrrev_b32_e32 v4, 2, v71
	v_add_nc_u32_e32 v1, v5, v82
	v_lshrrev_b32_e32 v5, 2, v70
	v_add_nc_u32_e32 v2, v6, v82
	v_add_nc_u32_e32 v3, v7, v82
	v_lshrrev_b32_e32 v6, 2, v69
	v_lshrrev_b32_e32 v7, 2, v68
	;; [unrolled: 1-line block ×3, first 2 shown]
	v_and_b32_e32 v4, 0x3f8, v4
	v_and_b32_e32 v5, 0x3f8, v5
	;; [unrolled: 1-line block ×5, first 2 shown]
	v_add_nc_u32_e32 v4, v4, v82
	v_add_nc_u32_e32 v5, v5, v82
	;; [unrolled: 1-line block ×5, first 2 shown]
	ds_store_b64 v1, v[17:18] offset:16384
	ds_store_b64 v2, v[19:20] offset:18432
	;; [unrolled: 1-line block ×8, first 2 shown]
	s_waitcnt lgkmcnt(0)
	s_barrier
.LBB128_21:
	v_lshlrev_b32_e32 v1, 4, v0
	v_lshrrev_b32_e32 v84, 1, v0
	s_waitcnt lgkmcnt(0)
	buffer_gl0_inv
	s_load_b64 s[6:7], s[0:1], 0x30
	v_lshrrev_b32_e32 v83, 5, v0
	v_cmp_gt_u32_e32 vcc_lo, 32, v0
	v_add_lshl_u32 v1, v84, v1, 3
	s_cmp_lg_u32 s15, 0
	ds_load_2addr_b64 v[61:64], v1 offset1:1
	ds_load_2addr_b64 v[57:60], v1 offset0:2 offset1:3
	ds_load_2addr_b64 v[53:56], v1 offset0:4 offset1:5
	;; [unrolled: 1-line block ×7, first 2 shown]
	s_waitcnt lgkmcnt(0)
	s_barrier
	buffer_gl0_inv
	s_cbranch_scc0 .LBB128_74
; %bb.22:
	v_add_co_u32 v1, s2, v63, v61
	s_delay_alu instid0(VALU_DEP_1) | instskip(SKIP_1) | instid1(VALU_DEP_3)
	v_add_co_ci_u32_e64 v2, s2, v64, v62, s2
	v_add_lshl_u32 v3, v83, v0, 3
	v_add_co_u32 v1, s2, v1, v57
	s_delay_alu instid0(VALU_DEP_1) | instskip(NEXT) | instid1(VALU_DEP_2)
	v_add_co_ci_u32_e64 v2, s2, v2, v58, s2
	v_add_co_u32 v1, s2, v1, v59
	s_delay_alu instid0(VALU_DEP_1) | instskip(NEXT) | instid1(VALU_DEP_2)
	v_add_co_ci_u32_e64 v2, s2, v2, v60, s2
	;; [unrolled: 3-line block ×13, first 2 shown]
	v_add_co_u32 v17, s2, v1, v35
	s_delay_alu instid0(VALU_DEP_1)
	v_add_co_ci_u32_e64 v18, s2, v2, v36, s2
	ds_store_b64 v3, v[17:18]
	s_waitcnt lgkmcnt(0)
	s_barrier
	buffer_gl0_inv
	s_and_saveexec_b32 s3, vcc_lo
	s_cbranch_execz .LBB128_32
; %bb.23:
	v_lshlrev_b32_e32 v1, 1, v0
	v_mbcnt_lo_u32_b32 v24, -1, 0
	s_mov_b32 s8, exec_lo
	s_delay_alu instid0(VALU_DEP_2) | instskip(NEXT) | instid1(VALU_DEP_2)
	v_and_b32_e32 v1, 0x1f8, v1
	v_and_b32_e32 v25, 15, v24
	s_delay_alu instid0(VALU_DEP_2)
	v_lshl_or_b32 v23, v0, 6, v1
	ds_load_2addr_b64 v[1:4], v23 offset1:1
	ds_load_2addr_b64 v[5:8], v23 offset0:2 offset1:3
	ds_load_2addr_b64 v[9:12], v23 offset0:4 offset1:5
	;; [unrolled: 1-line block ×3, first 2 shown]
	s_waitcnt lgkmcnt(3)
	v_add_co_u32 v19, s2, v3, v1
	s_delay_alu instid0(VALU_DEP_1) | instskip(SKIP_1) | instid1(VALU_DEP_2)
	v_add_co_ci_u32_e64 v20, s2, v4, v2, s2
	s_waitcnt lgkmcnt(2)
	v_add_co_u32 v19, s2, v19, v5
	s_delay_alu instid0(VALU_DEP_1) | instskip(NEXT) | instid1(VALU_DEP_2)
	v_add_co_ci_u32_e64 v20, s2, v20, v6, s2
	v_add_co_u32 v19, s2, v19, v7
	s_delay_alu instid0(VALU_DEP_1) | instskip(SKIP_1) | instid1(VALU_DEP_2)
	v_add_co_ci_u32_e64 v20, s2, v20, v8, s2
	s_waitcnt lgkmcnt(1)
	v_add_co_u32 v19, s2, v19, v9
	s_delay_alu instid0(VALU_DEP_1) | instskip(NEXT) | instid1(VALU_DEP_2)
	v_add_co_ci_u32_e64 v20, s2, v20, v10, s2
	;; [unrolled: 7-line block ×3, first 2 shown]
	v_add_co_u32 v19, s2, v19, v15
	s_delay_alu instid0(VALU_DEP_1) | instskip(NEXT) | instid1(VALU_DEP_2)
	v_add_co_ci_u32_e64 v20, s2, v20, v16, s2
	v_mov_b32_dpp v27, v19 row_shr:1 row_mask:0xf bank_mask:0xf
	s_delay_alu instid0(VALU_DEP_2)
	v_mov_b32_e32 v22, v20
	v_mov_b32_dpp v26, v20 row_shr:1 row_mask:0xf bank_mask:0xf
	v_mov_b32_e32 v21, v19
	v_cmpx_ne_u32_e32 0, v25
; %bb.24:
	v_add_co_u32 v19, s2, v19, v27
	s_delay_alu instid0(VALU_DEP_1) | instskip(NEXT) | instid1(VALU_DEP_2)
	v_add_co_ci_u32_e64 v20, s2, 0, v20, s2
	v_add_co_u32 v21, s2, 0, v19
	s_delay_alu instid0(VALU_DEP_1) | instskip(NEXT) | instid1(VALU_DEP_1)
	v_add_co_ci_u32_e64 v22, s2, v26, v20, s2
	v_mov_b32_e32 v20, v22
; %bb.25:
	s_or_b32 exec_lo, exec_lo, s8
	v_mov_b32_dpp v27, v19 row_shr:2 row_mask:0xf bank_mask:0xf
	s_delay_alu instid0(VALU_DEP_2)
	v_mov_b32_dpp v26, v20 row_shr:2 row_mask:0xf bank_mask:0xf
	s_mov_b32 s8, exec_lo
	v_cmpx_lt_u32_e32 1, v25
; %bb.26:
	s_delay_alu instid0(VALU_DEP_3) | instskip(NEXT) | instid1(VALU_DEP_1)
	v_add_co_u32 v19, s2, v21, v27
	v_add_co_ci_u32_e64 v20, s2, 0, v22, s2
	s_delay_alu instid0(VALU_DEP_2) | instskip(NEXT) | instid1(VALU_DEP_1)
	v_add_co_u32 v21, s2, 0, v19
	v_add_co_ci_u32_e64 v22, s2, v26, v20, s2
	s_delay_alu instid0(VALU_DEP_1)
	v_mov_b32_e32 v20, v22
; %bb.27:
	s_or_b32 exec_lo, exec_lo, s8
	v_mov_b32_dpp v27, v19 row_shr:4 row_mask:0xf bank_mask:0xf
	s_delay_alu instid0(VALU_DEP_2)
	v_mov_b32_dpp v26, v20 row_shr:4 row_mask:0xf bank_mask:0xf
	s_mov_b32 s8, exec_lo
	v_cmpx_lt_u32_e32 3, v25
; %bb.28:
	s_delay_alu instid0(VALU_DEP_3) | instskip(NEXT) | instid1(VALU_DEP_1)
	v_add_co_u32 v19, s2, v21, v27
	v_add_co_ci_u32_e64 v20, s2, 0, v22, s2
	s_delay_alu instid0(VALU_DEP_2) | instskip(NEXT) | instid1(VALU_DEP_1)
	v_add_co_u32 v21, s2, 0, v19
	v_add_co_ci_u32_e64 v22, s2, v26, v20, s2
	s_delay_alu instid0(VALU_DEP_1)
	;; [unrolled: 16-line block ×3, first 2 shown]
	v_mov_b32_e32 v20, v22
; %bb.31:
	s_or_b32 exec_lo, exec_lo, s8
	ds_swizzle_b32 v25, v19 offset:swizzle(BROADCAST,32,15)
	ds_swizzle_b32 v26, v20 offset:swizzle(BROADCAST,32,15)
	v_add_nc_u32_e32 v27, -1, v24
	v_and_b32_e32 v28, 16, v24
	s_delay_alu instid0(VALU_DEP_2) | instskip(NEXT) | instid1(VALU_DEP_1)
	v_cmp_gt_i32_e64 s2, 0, v27
	v_cndmask_b32_e64 v24, v27, v24, s2
	s_delay_alu instid0(VALU_DEP_1) | instskip(SKIP_2) | instid1(VALU_DEP_1)
	v_lshlrev_b32_e32 v24, 2, v24
	s_waitcnt lgkmcnt(1)
	v_add_co_u32 v21, s2, v21, v25
	v_add_co_ci_u32_e64 v22, s2, 0, v22, s2
	v_cmp_eq_u32_e64 s2, 0, v28
	s_delay_alu instid0(VALU_DEP_1) | instskip(SKIP_1) | instid1(VALU_DEP_3)
	v_cndmask_b32_e64 v19, v21, v19, s2
	s_waitcnt lgkmcnt(0)
	v_add_nc_u32_e32 v21, v26, v22
	ds_bpermute_b32 v19, v24, v19
	v_cndmask_b32_e64 v20, v21, v20, s2
	ds_bpermute_b32 v20, v24, v20
	s_waitcnt lgkmcnt(1)
	v_add_co_u32 v1, s2, v1, v19
	s_delay_alu instid0(VALU_DEP_1) | instskip(NEXT) | instid1(VALU_DEP_2)
	v_add_co_ci_u32_e64 v2, s2, 0, v2, s2
	v_add_co_u32 v1, s2, v1, 0
	s_waitcnt lgkmcnt(0)
	s_delay_alu instid0(VALU_DEP_2) | instskip(SKIP_1) | instid1(VALU_DEP_1)
	v_add_co_ci_u32_e64 v2, s2, v2, v20, s2
	v_cmp_eq_u32_e64 s2, 0, v0
	v_cndmask_b32_e64 v1, v1, v17, s2
	s_delay_alu instid0(VALU_DEP_3) | instskip(NEXT) | instid1(VALU_DEP_2)
	v_cndmask_b32_e64 v2, v2, v18, s2
	v_add_co_u32 v3, s2, v1, v3
	s_delay_alu instid0(VALU_DEP_1) | instskip(NEXT) | instid1(VALU_DEP_2)
	v_add_co_ci_u32_e64 v4, s2, v2, v4, s2
	v_add_co_u32 v5, s2, v3, v5
	s_delay_alu instid0(VALU_DEP_1) | instskip(NEXT) | instid1(VALU_DEP_2)
	v_add_co_ci_u32_e64 v6, s2, v4, v6, s2
	;; [unrolled: 3-line block ×6, first 2 shown]
	v_add_co_u32 v15, s2, v13, v15
	s_delay_alu instid0(VALU_DEP_1)
	v_add_co_ci_u32_e64 v16, s2, v14, v16, s2
	ds_store_2addr_b64 v23, v[1:2], v[3:4] offset1:1
	ds_store_2addr_b64 v23, v[5:6], v[7:8] offset0:2 offset1:3
	ds_store_2addr_b64 v23, v[9:10], v[11:12] offset0:4 offset1:5
	;; [unrolled: 1-line block ×3, first 2 shown]
.LBB128_32:
	s_or_b32 exec_lo, exec_lo, s3
	v_mov_b32_e32 v7, 0
	v_cmp_eq_u32_e64 s2, 0, v0
	v_mov_b32_e32 v8, 0
	s_mov_b32 s8, exec_lo
	s_waitcnt lgkmcnt(0)
	s_barrier
	buffer_gl0_inv
	v_cmpx_ne_u32_e32 0, v0
	s_cbranch_execz .LBB128_34
; %bb.33:
	v_add_nc_u32_e32 v1, -1, v0
	s_delay_alu instid0(VALU_DEP_1) | instskip(NEXT) | instid1(VALU_DEP_1)
	v_lshrrev_b32_e32 v2, 5, v1
	v_add_lshl_u32 v1, v2, v1, 3
	ds_load_b64 v[7:8], v1
.LBB128_34:
	s_or_b32 exec_lo, exec_lo, s8
	s_and_saveexec_b32 s10, vcc_lo
	s_cbranch_execz .LBB128_73
; %bb.35:
	v_mov_b32_e32 v4, 0
	v_mbcnt_lo_u32_b32 v12, -1, 0
	s_mov_b32 s9, 0
	ds_load_b64 v[1:2], v4 offset:2096
	v_cmp_eq_u32_e64 s3, 0, v12
	s_delay_alu instid0(VALU_DEP_1)
	s_and_saveexec_b32 s11, s3
	s_cbranch_execz .LBB128_37
; %bb.36:
	s_add_i32 s8, s15, 32
	s_delay_alu instid0(SALU_CYCLE_1) | instskip(NEXT) | instid1(SALU_CYCLE_1)
	s_lshl_b64 s[8:9], s[8:9], 4
	s_add_u32 s8, s6, s8
	s_addc_u32 s9, s7, s9
	v_mov_b32_e32 v5, s8
	v_dual_mov_b32 v3, 1 :: v_dual_mov_b32 v6, s9
	s_waitcnt lgkmcnt(0)
	;;#ASMSTART
	global_store_dwordx4 v[5:6], v[1:4] off	
s_waitcnt vmcnt(0)
	;;#ASMEND
.LBB128_37:
	s_or_b32 exec_lo, exec_lo, s11
	v_xad_u32 v9, v12, -1, s15
	s_mov_b32 s8, exec_lo
	s_delay_alu instid0(VALU_DEP_1) | instskip(NEXT) | instid1(VALU_DEP_1)
	v_add_nc_u32_e32 v3, 32, v9
	v_lshlrev_b64 v[3:4], 4, v[3:4]
	s_delay_alu instid0(VALU_DEP_1) | instskip(NEXT) | instid1(VALU_DEP_2)
	v_add_co_u32 v10, vcc_lo, s6, v3
	v_add_co_ci_u32_e32 v11, vcc_lo, s7, v4, vcc_lo
	;;#ASMSTART
	global_load_dwordx4 v[3:6], v[10:11] off glc	
s_waitcnt vmcnt(0)
	;;#ASMEND
	v_and_b32_e32 v6, 0xff, v5
	s_delay_alu instid0(VALU_DEP_1)
	v_cmpx_eq_u16_e32 0, v6
	s_cbranch_execz .LBB128_41
; %bb.38:
	s_mov_b32 s9, 0
.LBB128_39:                             ; =>This Inner Loop Header: Depth=1
	;;#ASMSTART
	global_load_dwordx4 v[3:6], v[10:11] off glc	
s_waitcnt vmcnt(0)
	;;#ASMEND
	v_and_b32_e32 v6, 0xff, v5
	s_delay_alu instid0(VALU_DEP_1) | instskip(SKIP_1) | instid1(SALU_CYCLE_1)
	v_cmp_ne_u16_e32 vcc_lo, 0, v6
	s_or_b32 s9, vcc_lo, s9
	s_and_not1_b32 exec_lo, exec_lo, s9
	s_cbranch_execnz .LBB128_39
; %bb.40:
	s_or_b32 exec_lo, exec_lo, s9
.LBB128_41:
	s_delay_alu instid0(SALU_CYCLE_1)
	s_or_b32 exec_lo, exec_lo, s8
	v_cmp_ne_u32_e32 vcc_lo, 31, v12
	v_and_b32_e32 v10, 0xff, v5
	v_lshlrev_b32_e64 v16, v12, -1
	v_add_nc_u32_e32 v17, 1, v12
	s_mov_b32 s8, exec_lo
	v_add_co_ci_u32_e32 v6, vcc_lo, 0, v12, vcc_lo
	v_cmp_eq_u16_e32 vcc_lo, 2, v10
	s_delay_alu instid0(VALU_DEP_2) | instskip(SKIP_4) | instid1(VALU_DEP_1)
	v_dual_mov_b32 v10, v3 :: v_dual_lshlrev_b32 v15, 2, v6
	v_and_or_b32 v6, vcc_lo, v16, 0x80000000
	ds_bpermute_b32 v13, v15, v3
	ds_bpermute_b32 v11, v15, v4
	v_ctz_i32_b32_e32 v6, v6
	v_cmpx_le_u32_e64 v17, v6
	s_cbranch_execz .LBB128_43
; %bb.42:
	s_waitcnt lgkmcnt(1)
	v_add_co_u32 v10, vcc_lo, v3, v13
	v_add_co_ci_u32_e32 v4, vcc_lo, 0, v4, vcc_lo
	s_delay_alu instid0(VALU_DEP_2) | instskip(SKIP_1) | instid1(VALU_DEP_2)
	v_add_co_u32 v3, vcc_lo, 0, v10
	s_waitcnt lgkmcnt(0)
	v_add_co_ci_u32_e32 v4, vcc_lo, v11, v4, vcc_lo
.LBB128_43:
	s_or_b32 exec_lo, exec_lo, s8
	v_cmp_gt_u32_e32 vcc_lo, 30, v12
	v_add_nc_u32_e32 v19, 2, v12
	s_mov_b32 s8, exec_lo
	s_waitcnt lgkmcnt(0)
	v_cndmask_b32_e64 v11, 0, 1, vcc_lo
	s_delay_alu instid0(VALU_DEP_1) | instskip(NEXT) | instid1(VALU_DEP_1)
	v_lshlrev_b32_e32 v11, 1, v11
	v_add_lshl_u32 v18, v11, v12, 2
	ds_bpermute_b32 v13, v18, v10
	ds_bpermute_b32 v11, v18, v4
	v_cmpx_le_u32_e64 v19, v6
	s_cbranch_execz .LBB128_45
; %bb.44:
	s_waitcnt lgkmcnt(1)
	v_add_co_u32 v10, vcc_lo, v3, v13
	v_add_co_ci_u32_e32 v4, vcc_lo, 0, v4, vcc_lo
	s_delay_alu instid0(VALU_DEP_2) | instskip(SKIP_1) | instid1(VALU_DEP_2)
	v_add_co_u32 v3, vcc_lo, 0, v10
	s_waitcnt lgkmcnt(0)
	v_add_co_ci_u32_e32 v4, vcc_lo, v11, v4, vcc_lo
.LBB128_45:
	s_or_b32 exec_lo, exec_lo, s8
	v_cmp_gt_u32_e32 vcc_lo, 28, v12
	v_add_nc_u32_e32 v21, 4, v12
	s_mov_b32 s8, exec_lo
	s_waitcnt lgkmcnt(0)
	v_cndmask_b32_e64 v11, 0, 1, vcc_lo
	s_delay_alu instid0(VALU_DEP_1) | instskip(NEXT) | instid1(VALU_DEP_1)
	v_lshlrev_b32_e32 v11, 2, v11
	v_add_lshl_u32 v20, v11, v12, 2
	ds_bpermute_b32 v13, v20, v10
	ds_bpermute_b32 v11, v20, v4
	;; [unrolled: 22-line block ×4, first 2 shown]
	v_cmpx_le_u32_e64 v25, v6
	s_cbranch_execz .LBB128_51
; %bb.50:
	s_waitcnt lgkmcnt(1)
	v_add_co_u32 v3, vcc_lo, v3, v11
	v_add_co_ci_u32_e32 v4, vcc_lo, 0, v4, vcc_lo
	s_delay_alu instid0(VALU_DEP_2) | instskip(SKIP_1) | instid1(VALU_DEP_2)
	v_add_co_u32 v3, vcc_lo, v3, 0
	s_waitcnt lgkmcnt(0)
	v_add_co_ci_u32_e32 v4, vcc_lo, v4, v10, vcc_lo
.LBB128_51:
	s_or_b32 exec_lo, exec_lo, s8
	s_waitcnt lgkmcnt(0)
	v_mov_b32_e32 v10, 0
	s_branch .LBB128_53
.LBB128_52:                             ;   in Loop: Header=BB128_53 Depth=1
	s_or_b32 exec_lo, exec_lo, s8
	v_add_co_u32 v3, vcc_lo, v3, v11
	v_subrev_nc_u32_e32 v9, 32, v9
	v_add_co_ci_u32_e32 v4, vcc_lo, v4, v12, vcc_lo
.LBB128_53:                             ; =>This Loop Header: Depth=1
                                        ;     Child Loop BB128_56 Depth 2
	s_delay_alu instid0(VALU_DEP_1) | instskip(NEXT) | instid1(VALU_DEP_4)
	v_dual_mov_b32 v12, v4 :: v_dual_and_b32 v5, 0xff, v5
	v_mov_b32_e32 v11, v3
	s_delay_alu instid0(VALU_DEP_2) | instskip(SKIP_2) | instid1(VALU_DEP_1)
	v_cmp_ne_u16_e32 vcc_lo, 2, v5
	v_cndmask_b32_e64 v5, 0, 1, vcc_lo
	;;#ASMSTART
	;;#ASMEND
	v_cmp_ne_u32_e32 vcc_lo, 0, v5
	s_cmp_lg_u32 vcc_lo, exec_lo
	s_cbranch_scc1 .LBB128_68
; %bb.54:                               ;   in Loop: Header=BB128_53 Depth=1
	v_lshlrev_b64 v[3:4], 4, v[9:10]
	s_mov_b32 s8, exec_lo
	s_waitcnt lgkmcnt(0)
	s_delay_alu instid0(VALU_DEP_1) | instskip(NEXT) | instid1(VALU_DEP_2)
	v_add_co_u32 v13, vcc_lo, s6, v3
	v_add_co_ci_u32_e32 v14, vcc_lo, s7, v4, vcc_lo
	;;#ASMSTART
	global_load_dwordx4 v[3:6], v[13:14] off glc	
s_waitcnt vmcnt(0)
	;;#ASMEND
	v_and_b32_e32 v6, 0xff, v5
	s_delay_alu instid0(VALU_DEP_1)
	v_cmpx_eq_u16_e32 0, v6
	s_cbranch_execz .LBB128_58
; %bb.55:                               ;   in Loop: Header=BB128_53 Depth=1
	s_mov_b32 s9, 0
.LBB128_56:                             ;   Parent Loop BB128_53 Depth=1
                                        ; =>  This Inner Loop Header: Depth=2
	;;#ASMSTART
	global_load_dwordx4 v[3:6], v[13:14] off glc	
s_waitcnt vmcnt(0)
	;;#ASMEND
	v_and_b32_e32 v6, 0xff, v5
	s_delay_alu instid0(VALU_DEP_1) | instskip(SKIP_1) | instid1(SALU_CYCLE_1)
	v_cmp_ne_u16_e32 vcc_lo, 0, v6
	s_or_b32 s9, vcc_lo, s9
	s_and_not1_b32 exec_lo, exec_lo, s9
	s_cbranch_execnz .LBB128_56
; %bb.57:                               ;   in Loop: Header=BB128_53 Depth=1
	s_or_b32 exec_lo, exec_lo, s9
.LBB128_58:                             ;   in Loop: Header=BB128_53 Depth=1
	s_delay_alu instid0(SALU_CYCLE_1)
	s_or_b32 exec_lo, exec_lo, s8
	v_dual_mov_b32 v13, v3 :: v_dual_and_b32 v6, 0xff, v5
	ds_bpermute_b32 v26, v15, v3
	ds_bpermute_b32 v14, v15, v4
	s_mov_b32 s8, exec_lo
	v_cmp_eq_u16_e32 vcc_lo, 2, v6
	v_and_or_b32 v6, vcc_lo, v16, 0x80000000
	s_delay_alu instid0(VALU_DEP_1) | instskip(NEXT) | instid1(VALU_DEP_1)
	v_ctz_i32_b32_e32 v6, v6
	v_cmpx_le_u32_e64 v17, v6
	s_cbranch_execz .LBB128_60
; %bb.59:                               ;   in Loop: Header=BB128_53 Depth=1
	s_waitcnt lgkmcnt(1)
	v_add_co_u32 v13, vcc_lo, v3, v26
	v_add_co_ci_u32_e32 v4, vcc_lo, 0, v4, vcc_lo
	s_delay_alu instid0(VALU_DEP_2) | instskip(SKIP_1) | instid1(VALU_DEP_2)
	v_add_co_u32 v3, vcc_lo, 0, v13
	s_waitcnt lgkmcnt(0)
	v_add_co_ci_u32_e32 v4, vcc_lo, v14, v4, vcc_lo
.LBB128_60:                             ;   in Loop: Header=BB128_53 Depth=1
	s_or_b32 exec_lo, exec_lo, s8
	s_waitcnt lgkmcnt(1)
	ds_bpermute_b32 v26, v18, v13
	s_waitcnt lgkmcnt(1)
	ds_bpermute_b32 v14, v18, v4
	s_mov_b32 s8, exec_lo
	v_cmpx_le_u32_e64 v19, v6
	s_cbranch_execz .LBB128_62
; %bb.61:                               ;   in Loop: Header=BB128_53 Depth=1
	s_waitcnt lgkmcnt(1)
	v_add_co_u32 v13, vcc_lo, v3, v26
	v_add_co_ci_u32_e32 v4, vcc_lo, 0, v4, vcc_lo
	s_delay_alu instid0(VALU_DEP_2) | instskip(SKIP_1) | instid1(VALU_DEP_2)
	v_add_co_u32 v3, vcc_lo, 0, v13
	s_waitcnt lgkmcnt(0)
	v_add_co_ci_u32_e32 v4, vcc_lo, v14, v4, vcc_lo
.LBB128_62:                             ;   in Loop: Header=BB128_53 Depth=1
	s_or_b32 exec_lo, exec_lo, s8
	s_waitcnt lgkmcnt(1)
	ds_bpermute_b32 v26, v20, v13
	s_waitcnt lgkmcnt(1)
	ds_bpermute_b32 v14, v20, v4
	s_mov_b32 s8, exec_lo
	;; [unrolled: 17-line block ×3, first 2 shown]
	v_cmpx_le_u32_e64 v23, v6
	s_cbranch_execz .LBB128_66
; %bb.65:                               ;   in Loop: Header=BB128_53 Depth=1
	s_waitcnt lgkmcnt(1)
	v_add_co_u32 v13, vcc_lo, v3, v26
	v_add_co_ci_u32_e32 v4, vcc_lo, 0, v4, vcc_lo
	s_delay_alu instid0(VALU_DEP_2) | instskip(SKIP_1) | instid1(VALU_DEP_2)
	v_add_co_u32 v3, vcc_lo, 0, v13
	s_waitcnt lgkmcnt(0)
	v_add_co_ci_u32_e32 v4, vcc_lo, v14, v4, vcc_lo
.LBB128_66:                             ;   in Loop: Header=BB128_53 Depth=1
	s_or_b32 exec_lo, exec_lo, s8
	s_waitcnt lgkmcnt(0)
	ds_bpermute_b32 v14, v24, v13
	ds_bpermute_b32 v13, v24, v4
	s_mov_b32 s8, exec_lo
	v_cmpx_le_u32_e64 v25, v6
	s_cbranch_execz .LBB128_52
; %bb.67:                               ;   in Loop: Header=BB128_53 Depth=1
	s_waitcnt lgkmcnt(1)
	v_add_co_u32 v3, vcc_lo, v3, v14
	v_add_co_ci_u32_e32 v4, vcc_lo, 0, v4, vcc_lo
	s_delay_alu instid0(VALU_DEP_2) | instskip(SKIP_1) | instid1(VALU_DEP_2)
	v_add_co_u32 v3, vcc_lo, v3, 0
	s_waitcnt lgkmcnt(0)
	v_add_co_ci_u32_e32 v4, vcc_lo, v4, v13, vcc_lo
	s_branch .LBB128_52
.LBB128_68:                             ;   in Loop: Header=BB128_53 Depth=1
                                        ; implicit-def: $vgpr3_vgpr4
	s_cbranch_execz .LBB128_53
; %bb.69:
	s_and_saveexec_b32 s8, s3
	s_cbranch_execz .LBB128_71
; %bb.70:
	s_add_i32 s22, s15, 32
	s_mov_b32 s23, 0
	v_add_co_u32 v1, vcc_lo, v11, v1
	s_lshl_b64 s[22:23], s[22:23], 4
	v_add_co_ci_u32_e32 v2, vcc_lo, v12, v2, vcc_lo
	s_add_u32 s22, s6, s22
	s_addc_u32 s23, s7, s23
	v_dual_mov_b32 v3, 2 :: v_dual_mov_b32 v4, 0
	v_dual_mov_b32 v5, s22 :: v_dual_mov_b32 v6, s23
	;;#ASMSTART
	global_store_dwordx4 v[5:6], v[1:4] off	
s_waitcnt vmcnt(0)
	;;#ASMEND
.LBB128_71:
	s_or_b32 exec_lo, exec_lo, s8
	s_delay_alu instid0(SALU_CYCLE_1)
	s_and_b32 exec_lo, exec_lo, s2
	s_cbranch_execz .LBB128_73
; %bb.72:
	v_mov_b32_e32 v1, 0
	ds_store_b64 v1, v[11:12]
.LBB128_73:
	s_or_b32 exec_lo, exec_lo, s10
	v_mov_b32_e32 v1, 0
	s_waitcnt lgkmcnt(0)
	s_barrier
	buffer_gl0_inv
	ds_load_b64 v[1:2], v1
	s_waitcnt lgkmcnt(0)
	v_add_co_u32 v1, vcc_lo, v1, v7
	v_add_co_ci_u32_e32 v2, vcc_lo, v2, v8, vcc_lo
	s_delay_alu instid0(VALU_DEP_2) | instskip(NEXT) | instid1(VALU_DEP_2)
	v_add_co_u32 v3, vcc_lo, v1, v61
	v_add_co_ci_u32_e32 v4, vcc_lo, v2, v62, vcc_lo
	s_delay_alu instid0(VALU_DEP_2) | instskip(NEXT) | instid1(VALU_DEP_2)
	;; [unrolled: 3-line block ×15, first 2 shown]
	v_add_co_u32 v31, vcc_lo, v29, v33
	v_add_co_ci_u32_e32 v32, vcc_lo, v30, v34, vcc_lo
	s_load_b128 s[8:11], s[0:1], 0x40
	s_branch .LBB128_92
.LBB128_74:
                                        ; implicit-def: $vgpr1_vgpr2_vgpr3_vgpr4_vgpr5_vgpr6_vgpr7_vgpr8_vgpr9_vgpr10_vgpr11_vgpr12_vgpr13_vgpr14_vgpr15_vgpr16_vgpr17_vgpr18_vgpr19_vgpr20_vgpr21_vgpr22_vgpr23_vgpr24_vgpr25_vgpr26_vgpr27_vgpr28_vgpr29_vgpr30_vgpr31_vgpr32
	s_load_b128 s[8:11], s[0:1], 0x40
	s_cbranch_execz .LBB128_92
; %bb.75:
	s_load_b32 s2, s[0:1], 0x50
	v_dual_mov_b32 v66, s19 :: v_dual_mov_b32 v65, s18
	s_waitcnt lgkmcnt(0)
	s_bitcmp0_b32 s2, 0
	s_cbranch_scc1 .LBB128_77
; %bb.76:
	v_mov_b32_e32 v1, 0
	s_load_b64 s[2:3], s[8:9], 0x0
	global_load_b32 v1, v1, s[16:17] offset:-4
	s_waitcnt vmcnt(0)
	v_ashrrev_i32_e32 v2, 31, v1
	s_waitcnt lgkmcnt(0)
	v_add_co_u32 v65, vcc_lo, s2, v1
	s_delay_alu instid0(VALU_DEP_2)
	v_add_co_ci_u32_e32 v66, vcc_lo, s3, v2, vcc_lo
.LBB128_77:
	v_add_co_u32 v1, vcc_lo, v63, v61
	v_add_co_ci_u32_e32 v2, vcc_lo, v64, v62, vcc_lo
	v_add_lshl_u32 v3, v83, v0, 3
	s_delay_alu instid0(VALU_DEP_3) | instskip(NEXT) | instid1(VALU_DEP_3)
	v_add_co_u32 v1, vcc_lo, v1, v57
	v_add_co_ci_u32_e32 v2, vcc_lo, v2, v58, vcc_lo
	s_mov_b32 s2, exec_lo
	s_delay_alu instid0(VALU_DEP_2) | instskip(NEXT) | instid1(VALU_DEP_2)
	v_add_co_u32 v1, vcc_lo, v1, v59
	v_add_co_ci_u32_e32 v2, vcc_lo, v2, v60, vcc_lo
	s_delay_alu instid0(VALU_DEP_2) | instskip(NEXT) | instid1(VALU_DEP_2)
	v_add_co_u32 v1, vcc_lo, v1, v53
	v_add_co_ci_u32_e32 v2, vcc_lo, v2, v54, vcc_lo
	;; [unrolled: 3-line block ×13, first 2 shown]
	ds_store_b64 v3, v[17:18]
	s_waitcnt lgkmcnt(0)
	s_barrier
	buffer_gl0_inv
	v_cmpx_gt_u32_e32 32, v0
	s_cbranch_execz .LBB128_87
; %bb.78:
	v_lshlrev_b32_e32 v1, 1, v0
	v_mbcnt_lo_u32_b32 v24, -1, 0
	s_mov_b32 s3, exec_lo
	s_delay_alu instid0(VALU_DEP_2) | instskip(NEXT) | instid1(VALU_DEP_2)
	v_and_b32_e32 v1, 0x1f8, v1
	v_and_b32_e32 v25, 15, v24
	s_delay_alu instid0(VALU_DEP_2)
	v_lshl_or_b32 v23, v0, 6, v1
	ds_load_2addr_b64 v[1:4], v23 offset1:1
	ds_load_2addr_b64 v[5:8], v23 offset0:2 offset1:3
	ds_load_2addr_b64 v[9:12], v23 offset0:4 offset1:5
	;; [unrolled: 1-line block ×3, first 2 shown]
	s_waitcnt lgkmcnt(3)
	v_add_co_u32 v19, vcc_lo, v3, v1
	v_add_co_ci_u32_e32 v20, vcc_lo, v4, v2, vcc_lo
	s_waitcnt lgkmcnt(2)
	s_delay_alu instid0(VALU_DEP_2) | instskip(NEXT) | instid1(VALU_DEP_2)
	v_add_co_u32 v19, vcc_lo, v19, v5
	v_add_co_ci_u32_e32 v20, vcc_lo, v20, v6, vcc_lo
	s_delay_alu instid0(VALU_DEP_2) | instskip(NEXT) | instid1(VALU_DEP_2)
	v_add_co_u32 v19, vcc_lo, v19, v7
	v_add_co_ci_u32_e32 v20, vcc_lo, v20, v8, vcc_lo
	s_waitcnt lgkmcnt(1)
	s_delay_alu instid0(VALU_DEP_2) | instskip(NEXT) | instid1(VALU_DEP_2)
	v_add_co_u32 v19, vcc_lo, v19, v9
	v_add_co_ci_u32_e32 v20, vcc_lo, v20, v10, vcc_lo
	s_delay_alu instid0(VALU_DEP_2) | instskip(NEXT) | instid1(VALU_DEP_2)
	;; [unrolled: 7-line block ×3, first 2 shown]
	v_add_co_u32 v19, vcc_lo, v19, v15
	v_add_co_ci_u32_e32 v20, vcc_lo, v20, v16, vcc_lo
	s_delay_alu instid0(VALU_DEP_2) | instskip(NEXT) | instid1(VALU_DEP_2)
	v_mov_b32_dpp v27, v19 row_shr:1 row_mask:0xf bank_mask:0xf
	v_mov_b32_e32 v22, v20
	v_mov_b32_dpp v26, v20 row_shr:1 row_mask:0xf bank_mask:0xf
	v_mov_b32_e32 v21, v19
	v_cmpx_ne_u32_e32 0, v25
; %bb.79:
	v_add_co_u32 v19, vcc_lo, v19, v27
	v_add_co_ci_u32_e32 v20, vcc_lo, 0, v20, vcc_lo
	s_delay_alu instid0(VALU_DEP_2) | instskip(NEXT) | instid1(VALU_DEP_2)
	v_add_co_u32 v21, vcc_lo, 0, v19
	v_add_co_ci_u32_e32 v22, vcc_lo, v26, v20, vcc_lo
	s_delay_alu instid0(VALU_DEP_1)
	v_mov_b32_e32 v20, v22
; %bb.80:
	s_or_b32 exec_lo, exec_lo, s3
	v_mov_b32_dpp v27, v19 row_shr:2 row_mask:0xf bank_mask:0xf
	s_delay_alu instid0(VALU_DEP_2)
	v_mov_b32_dpp v26, v20 row_shr:2 row_mask:0xf bank_mask:0xf
	s_mov_b32 s3, exec_lo
	v_cmpx_lt_u32_e32 1, v25
; %bb.81:
	s_delay_alu instid0(VALU_DEP_3) | instskip(SKIP_1) | instid1(VALU_DEP_2)
	v_add_co_u32 v19, vcc_lo, v21, v27
	v_add_co_ci_u32_e32 v20, vcc_lo, 0, v22, vcc_lo
	v_add_co_u32 v21, vcc_lo, 0, v19
	s_delay_alu instid0(VALU_DEP_2) | instskip(NEXT) | instid1(VALU_DEP_1)
	v_add_co_ci_u32_e32 v22, vcc_lo, v26, v20, vcc_lo
	v_mov_b32_e32 v20, v22
; %bb.82:
	s_or_b32 exec_lo, exec_lo, s3
	v_mov_b32_dpp v27, v19 row_shr:4 row_mask:0xf bank_mask:0xf
	s_delay_alu instid0(VALU_DEP_2)
	v_mov_b32_dpp v26, v20 row_shr:4 row_mask:0xf bank_mask:0xf
	s_mov_b32 s3, exec_lo
	v_cmpx_lt_u32_e32 3, v25
; %bb.83:
	s_delay_alu instid0(VALU_DEP_3) | instskip(SKIP_1) | instid1(VALU_DEP_2)
	v_add_co_u32 v19, vcc_lo, v21, v27
	v_add_co_ci_u32_e32 v20, vcc_lo, 0, v22, vcc_lo
	v_add_co_u32 v21, vcc_lo, 0, v19
	s_delay_alu instid0(VALU_DEP_2) | instskip(NEXT) | instid1(VALU_DEP_1)
	v_add_co_ci_u32_e32 v22, vcc_lo, v26, v20, vcc_lo
	;; [unrolled: 15-line block ×3, first 2 shown]
	v_mov_b32_e32 v20, v22
; %bb.86:
	s_or_b32 exec_lo, exec_lo, s3
	ds_swizzle_b32 v25, v19 offset:swizzle(BROADCAST,32,15)
	ds_swizzle_b32 v26, v20 offset:swizzle(BROADCAST,32,15)
	v_add_nc_u32_e32 v27, -1, v24
	v_and_b32_e32 v28, 16, v24
	s_delay_alu instid0(VALU_DEP_2)
	v_cmp_gt_i32_e32 vcc_lo, 0, v27
	v_cndmask_b32_e32 v24, v27, v24, vcc_lo
	s_waitcnt lgkmcnt(1)
	v_add_co_u32 v21, vcc_lo, v21, v25
	v_add_co_ci_u32_e32 v22, vcc_lo, 0, v22, vcc_lo
	v_cmp_eq_u32_e32 vcc_lo, 0, v28
	s_delay_alu instid0(VALU_DEP_3) | instskip(SKIP_1) | instid1(VALU_DEP_3)
	v_cndmask_b32_e32 v19, v21, v19, vcc_lo
	s_waitcnt lgkmcnt(0)
	v_add_nc_u32_e32 v21, v26, v22
	v_lshlrev_b32_e32 v24, 2, v24
	s_delay_alu instid0(VALU_DEP_2)
	v_cndmask_b32_e32 v20, v21, v20, vcc_lo
	ds_bpermute_b32 v19, v24, v19
	ds_bpermute_b32 v20, v24, v20
	s_waitcnt lgkmcnt(1)
	v_add_co_u32 v1, vcc_lo, v1, v19
	v_add_co_ci_u32_e32 v2, vcc_lo, 0, v2, vcc_lo
	s_delay_alu instid0(VALU_DEP_2) | instskip(SKIP_1) | instid1(VALU_DEP_2)
	v_add_co_u32 v1, vcc_lo, v1, 0
	s_waitcnt lgkmcnt(0)
	v_add_co_ci_u32_e32 v2, vcc_lo, v2, v20, vcc_lo
	v_cmp_eq_u32_e32 vcc_lo, 0, v0
	s_delay_alu instid0(VALU_DEP_2) | instskip(NEXT) | instid1(VALU_DEP_1)
	v_dual_cndmask_b32 v1, v1, v17 :: v_dual_cndmask_b32 v2, v2, v18
	v_add_co_u32 v3, vcc_lo, v1, v3
	s_delay_alu instid0(VALU_DEP_2) | instskip(NEXT) | instid1(VALU_DEP_2)
	v_add_co_ci_u32_e32 v4, vcc_lo, v2, v4, vcc_lo
	v_add_co_u32 v5, vcc_lo, v3, v5
	s_delay_alu instid0(VALU_DEP_2) | instskip(NEXT) | instid1(VALU_DEP_2)
	v_add_co_ci_u32_e32 v6, vcc_lo, v4, v6, vcc_lo
	;; [unrolled: 3-line block ×6, first 2 shown]
	v_add_co_u32 v15, vcc_lo, v13, v15
	s_delay_alu instid0(VALU_DEP_2)
	v_add_co_ci_u32_e32 v16, vcc_lo, v14, v16, vcc_lo
	ds_store_2addr_b64 v23, v[1:2], v[3:4] offset1:1
	ds_store_2addr_b64 v23, v[5:6], v[7:8] offset0:2 offset1:3
	ds_store_2addr_b64 v23, v[9:10], v[11:12] offset0:4 offset1:5
	;; [unrolled: 1-line block ×3, first 2 shown]
.LBB128_87:
	s_or_b32 exec_lo, exec_lo, s2
	v_cmp_eq_u32_e32 vcc_lo, 0, v0
	v_dual_mov_b32 v1, v65 :: v_dual_mov_b32 v2, v66
	s_mov_b32 s3, exec_lo
	s_waitcnt lgkmcnt(0)
	s_barrier
	buffer_gl0_inv
	v_cmpx_ne_u32_e32 0, v0
	s_cbranch_execz .LBB128_89
; %bb.88:
	v_add_nc_u32_e32 v1, -1, v0
	s_delay_alu instid0(VALU_DEP_1) | instskip(NEXT) | instid1(VALU_DEP_1)
	v_lshrrev_b32_e32 v2, 5, v1
	v_add_lshl_u32 v1, v2, v1, 3
	ds_load_b64 v[1:2], v1
	s_waitcnt lgkmcnt(0)
	v_add_co_u32 v1, s2, v1, v65
	s_delay_alu instid0(VALU_DEP_1)
	v_add_co_ci_u32_e64 v2, s2, v2, v66, s2
.LBB128_89:
	s_or_b32 exec_lo, exec_lo, s3
	s_delay_alu instid0(VALU_DEP_2) | instskip(NEXT) | instid1(VALU_DEP_1)
	v_add_co_u32 v3, s2, v1, v61
	v_add_co_ci_u32_e64 v4, s2, v2, v62, s2
	s_delay_alu instid0(VALU_DEP_2) | instskip(NEXT) | instid1(VALU_DEP_1)
	v_add_co_u32 v5, s2, v3, v63
	v_add_co_ci_u32_e64 v6, s2, v4, v64, s2
	;; [unrolled: 3-line block ×15, first 2 shown]
	s_and_saveexec_b32 s2, vcc_lo
	s_cbranch_execz .LBB128_91
; %bb.90:
	v_dual_mov_b32 v36, 0 :: v_dual_mov_b32 v35, 2
	s_add_u32 s6, s6, 0x200
	s_addc_u32 s7, s7, 0
	s_delay_alu instid0(SALU_CYCLE_1)
	v_dual_mov_b32 v38, s7 :: v_dual_mov_b32 v37, s6
	ds_load_b64 v[33:34], v36 offset:2096
	s_waitcnt lgkmcnt(0)
	v_add_co_u32 v33, vcc_lo, v33, v65
	v_add_co_ci_u32_e32 v34, vcc_lo, v34, v66, vcc_lo
	;;#ASMSTART
	global_store_dwordx4 v[37:38], v[33:36] off	
s_waitcnt vmcnt(0)
	;;#ASMEND
.LBB128_91:
	s_or_b32 exec_lo, exec_lo, s2
.LBB128_92:
	s_lshl_b64 s[2:3], s[12:13], 3
	v_lshlrev_b32_e32 v33, 7, v0
	s_add_u32 s2, s4, s2
	s_addc_u32 s3, s5, s3
	s_and_b32 vcc_lo, exec_lo, s21
	s_mov_b32 s4, -1
	s_waitcnt lgkmcnt(0)
	s_barrier
	buffer_gl0_inv
	s_cbranch_vccz .LBB128_94
; %bb.93:
	v_lshl_add_u32 v34, v84, 3, v33
	v_lshrrev_b32_e32 v35, 5, v80
	v_lshrrev_b32_e32 v36, 5, v79
	v_add_lshl_u32 v37, v83, v0, 3
	v_lshrrev_b32_e32 v42, 5, v78
	ds_store_2addr_b64 v34, v[1:2], v[3:4] offset1:1
	ds_store_2addr_b64 v34, v[5:6], v[7:8] offset0:2 offset1:3
	ds_store_2addr_b64 v34, v[9:10], v[11:12] offset0:4 offset1:5
	;; [unrolled: 1-line block ×7, first 2 shown]
	v_lshrrev_b32_e32 v34, 5, v81
	v_add_lshl_u32 v39, v35, v0, 3
	v_add_lshl_u32 v40, v36, v0, 3
	s_waitcnt lgkmcnt(0)
	s_barrier
	v_add_lshl_u32 v38, v34, v0, 3
	buffer_gl0_inv
	v_lshrrev_b32_e32 v51, 5, v73
	ds_load_b64 v[34:35], v37
	ds_load_b64 v[36:37], v38 offset:2048
	ds_load_b64 v[38:39], v39 offset:4096
	;; [unrolled: 1-line block ×3, first 2 shown]
	v_lshrrev_b32_e32 v43, 5, v77
	v_lshrrev_b32_e32 v52, 5, v72
	v_lshrrev_b32_e32 v44, 5, v76
	v_lshrrev_b32_e32 v50, 5, v74
	v_lshrrev_b32_e32 v45, 5, v75
	v_add_lshl_u32 v42, v42, v0, 3
	v_add_lshl_u32 v53, v51, v0, 3
	v_lshrrev_b32_e32 v51, 5, v71
	v_add_lshl_u32 v46, v43, v0, 3
	v_add_lshl_u32 v54, v52, v0, 3
	v_lshrrev_b32_e32 v52, 5, v70
	v_lshrrev_b32_e32 v55, 5, v69
	;; [unrolled: 1-line block ×4, first 2 shown]
	v_add_lshl_u32 v47, v44, v0, 3
	v_add_lshl_u32 v50, v50, v0, 3
	v_add_co_u32 v66, s5, s2, v82
	v_add_lshl_u32 v48, v45, v0, 3
	v_add_co_ci_u32_e64 v95, null, s3, 0, s5
	ds_load_b64 v[42:43], v42 offset:8192
	ds_load_b64 v[44:45], v46 offset:10240
	;; [unrolled: 1-line block ×4, first 2 shown]
	v_add_lshl_u32 v58, v51, v0, 3
	v_add_lshl_u32 v59, v52, v0, 3
	;; [unrolled: 1-line block ×5, first 2 shown]
	ds_load_b64 v[50:51], v50 offset:16384
	ds_load_b64 v[52:53], v53 offset:18432
	;; [unrolled: 1-line block ×8, first 2 shown]
	s_waitcnt lgkmcnt(14)
	global_store_b64 v82, v[36:37], s[2:3] offset:2048
	v_add_co_u32 v36, vcc_lo, 0x1000, v66
	v_add_co_ci_u32_e32 v37, vcc_lo, 0, v95, vcc_lo
	v_add_co_u32 v85, vcc_lo, v66, 0x2000
	v_add_co_ci_u32_e32 v86, vcc_lo, 0, v95, vcc_lo
	;; [unrolled: 2-line block ×6, first 2 shown]
	s_waitcnt lgkmcnt(13)
	global_store_b64 v[85:86], v[38:39], off offset:-4096
	s_waitcnt lgkmcnt(11)
	global_store_b64 v[85:86], v[42:43], off
	s_waitcnt lgkmcnt(9)
	global_store_b64 v[91:92], v[46:47], off offset:-4096
	s_waitcnt lgkmcnt(7)
	s_clause 0x3
	global_store_b64 v[91:92], v[50:51], off
	global_store_b64 v[36:37], v[40:41], off offset:2048
	global_store_b64 v[87:88], v[44:45], off offset:2048
	;; [unrolled: 1-line block ×3, first 2 shown]
	s_waitcnt lgkmcnt(6)
	global_store_b64 v[93:94], v[52:53], off offset:2048
	v_add_co_u32 v36, vcc_lo, v66, 0x6000
	v_add_co_ci_u32_e32 v37, vcc_lo, 0, v95, vcc_lo
	v_add_co_u32 v38, vcc_lo, 0x5000, v66
	v_add_co_ci_u32_e32 v39, vcc_lo, 0, v95, vcc_lo
	;; [unrolled: 2-line block ×4, first 2 shown]
	s_mov_b32 s4, 0
	s_waitcnt lgkmcnt(5)
	s_clause 0x1
	global_store_b64 v[36:37], v[54:55], off offset:-4096
	global_store_b64 v82, v[34:35], s[2:3]
	s_waitcnt lgkmcnt(3)
	s_clause 0x1
	global_store_b64 v[36:37], v[58:59], off
	global_store_b64 v[38:39], v[56:57], off offset:2048
	s_waitcnt lgkmcnt(2)
	global_store_b64 v[40:41], v[60:61], off offset:2048
	s_waitcnt lgkmcnt(1)
	global_store_b64 v[42:43], v[62:63], off
	s_waitcnt lgkmcnt(0)
	global_store_b64 v[42:43], v[64:65], off offset:2048
.LBB128_94:
	s_and_not1_b32 vcc_lo, exec_lo, s4
	s_cbranch_vccnz .LBB128_167
; %bb.95:
	v_lshl_add_u32 v33, v84, 3, v33
	v_add_co_u32 v34, s2, s2, v82
	s_delay_alu instid0(VALU_DEP_1)
	v_add_co_ci_u32_e64 v35, null, s3, 0, s2
	ds_store_2addr_b64 v33, v[1:2], v[3:4] offset1:1
	ds_store_2addr_b64 v33, v[5:6], v[7:8] offset0:2 offset1:3
	ds_store_2addr_b64 v33, v[9:10], v[11:12] offset0:4 offset1:5
	;; [unrolled: 1-line block ×7, first 2 shown]
	v_lshrrev_b32_e32 v1, 5, v81
	v_lshrrev_b32_e32 v2, 5, v80
	;; [unrolled: 1-line block ×3, first 2 shown]
	v_add_lshl_u32 v4, v83, v0, 3
	v_lshrrev_b32_e32 v10, 5, v78
	v_add_lshl_u32 v1, v1, v0, 3
	v_lshrrev_b32_e32 v11, 5, v77
	;; [unrolled: 2-line block ×4, first 2 shown]
	s_waitcnt lgkmcnt(0)
	s_waitcnt_vscnt null, 0x0
	s_barrier
	buffer_gl0_inv
	ds_load_b64 v[4:5], v4
	ds_load_b64 v[2:3], v1 offset:2048
	ds_load_b64 v[6:7], v6 offset:4096
	;; [unrolled: 1-line block ×3, first 2 shown]
	v_add_lshl_u32 v1, v10, v0, 3
	v_lshrrev_b32_e32 v18, 5, v74
	v_add_lshl_u32 v14, v11, v0, 3
	v_lshrrev_b32_e32 v19, 5, v73
	v_lshrrev_b32_e32 v20, 5, v72
	v_add_lshl_u32 v15, v12, v0, 3
	v_add_lshl_u32 v16, v13, v0, 3
	ds_load_b64 v[10:11], v1 offset:8192
	ds_load_b64 v[12:13], v14 offset:10240
	;; [unrolled: 1-line block ×4, first 2 shown]
	v_add_lshl_u32 v1, v18, v0, 3
	v_lshrrev_b32_e32 v18, 5, v71
	v_add_lshl_u32 v21, v19, v0, 3
	v_add_lshl_u32 v22, v20, v0, 3
	v_lshrrev_b32_e32 v19, 5, v70
	v_lshrrev_b32_e32 v20, 5, v69
	;; [unrolled: 1-line block ×4, first 2 shown]
	v_add_lshl_u32 v25, v18, v0, 3
	v_add_lshl_u32 v26, v19, v0, 3
	;; [unrolled: 1-line block ×5, first 2 shown]
	ds_load_b64 v[18:19], v1 offset:16384
	ds_load_b64 v[20:21], v21 offset:18432
	;; [unrolled: 1-line block ×8, first 2 shown]
	v_mov_b32_e32 v1, 0
	s_mov_b32 s2, exec_lo
	v_cmpx_gt_u32_e64 s14, v0
	s_cbranch_execnz .LBB128_183
; %bb.96:
	s_or_b32 exec_lo, exec_lo, s2
	s_delay_alu instid0(SALU_CYCLE_1)
	s_mov_b32 s2, exec_lo
	v_cmpx_gt_u32_e64 s14, v81
	s_cbranch_execnz .LBB128_184
.LBB128_97:
	s_or_b32 exec_lo, exec_lo, s2
	s_delay_alu instid0(SALU_CYCLE_1)
	s_mov_b32 s2, exec_lo
	v_cmpx_gt_u32_e64 s14, v80
	s_cbranch_execnz .LBB128_185
.LBB128_98:
	s_or_b32 exec_lo, exec_lo, s2
	s_delay_alu instid0(SALU_CYCLE_1)
	s_mov_b32 s2, exec_lo
	v_cmpx_gt_u32_e64 s14, v79
	s_cbranch_execnz .LBB128_186
.LBB128_99:
	s_or_b32 exec_lo, exec_lo, s2
	s_delay_alu instid0(SALU_CYCLE_1)
	s_mov_b32 s2, exec_lo
	v_cmpx_gt_u32_e64 s14, v78
	s_cbranch_execnz .LBB128_187
.LBB128_100:
	s_or_b32 exec_lo, exec_lo, s2
	s_delay_alu instid0(SALU_CYCLE_1)
	s_mov_b32 s2, exec_lo
	v_cmpx_gt_u32_e64 s14, v77
	s_cbranch_execnz .LBB128_188
.LBB128_101:
	s_or_b32 exec_lo, exec_lo, s2
	s_delay_alu instid0(SALU_CYCLE_1)
	s_mov_b32 s2, exec_lo
	v_cmpx_gt_u32_e64 s14, v76
	s_cbranch_execnz .LBB128_189
.LBB128_102:
	s_or_b32 exec_lo, exec_lo, s2
	s_delay_alu instid0(SALU_CYCLE_1)
	s_mov_b32 s2, exec_lo
	v_cmpx_gt_u32_e64 s14, v75
	s_cbranch_execnz .LBB128_190
.LBB128_103:
	s_or_b32 exec_lo, exec_lo, s2
	s_delay_alu instid0(SALU_CYCLE_1)
	s_mov_b32 s2, exec_lo
	v_cmpx_gt_u32_e64 s14, v74
	s_cbranch_execnz .LBB128_191
.LBB128_104:
	s_or_b32 exec_lo, exec_lo, s2
	s_delay_alu instid0(SALU_CYCLE_1)
	s_mov_b32 s2, exec_lo
	v_cmpx_gt_u32_e64 s14, v73
	s_cbranch_execnz .LBB128_192
.LBB128_105:
	s_or_b32 exec_lo, exec_lo, s2
	s_delay_alu instid0(SALU_CYCLE_1)
	s_mov_b32 s2, exec_lo
	v_cmpx_gt_u32_e64 s14, v72
	s_cbranch_execnz .LBB128_193
.LBB128_106:
	s_or_b32 exec_lo, exec_lo, s2
	s_delay_alu instid0(SALU_CYCLE_1)
	s_mov_b32 s2, exec_lo
	v_cmpx_gt_u32_e64 s14, v71
	s_cbranch_execnz .LBB128_194
.LBB128_107:
	s_or_b32 exec_lo, exec_lo, s2
	s_delay_alu instid0(SALU_CYCLE_1)
	s_mov_b32 s2, exec_lo
	v_cmpx_gt_u32_e64 s14, v70
	s_cbranch_execnz .LBB128_195
.LBB128_108:
	s_or_b32 exec_lo, exec_lo, s2
	s_delay_alu instid0(SALU_CYCLE_1)
	s_mov_b32 s2, exec_lo
	v_cmpx_gt_u32_e64 s14, v69
	s_cbranch_execnz .LBB128_196
.LBB128_109:
	s_or_b32 exec_lo, exec_lo, s2
	s_delay_alu instid0(SALU_CYCLE_1)
	s_mov_b32 s2, exec_lo
	v_cmpx_gt_u32_e64 s14, v68
	s_cbranch_execnz .LBB128_197
.LBB128_110:
	s_or_b32 exec_lo, exec_lo, s2
	s_delay_alu instid0(SALU_CYCLE_1)
	s_mov_b32 s2, exec_lo
	v_cmpx_gt_u32_e64 s14, v67
	s_cbranch_execz .LBB128_112
.LBB128_111:
	v_add_co_u32 v34, vcc_lo, 0x7000, v34
	v_add_co_ci_u32_e32 v35, vcc_lo, 0, v35, vcc_lo
	s_waitcnt lgkmcnt(0)
	global_store_b64 v[34:35], v[32:33], off offset:2048
.LBB128_112:
	s_or_b32 exec_lo, exec_lo, s2
	s_load_b32 s0, s[0:1], 0x50
	s_waitcnt lgkmcnt(0)
	s_bfe_u32 s0, s0, 0x10008
	s_delay_alu instid0(SALU_CYCLE_1)
	s_cmp_eq_u32 s0, 0
	s_cbranch_scc1 .LBB128_167
; %bb.113:
	s_add_u32 s0, s14, -1
	s_addc_u32 s1, s20, -1
	s_delay_alu instid0(SALU_CYCLE_1)
	s_lshr_b64 s[2:3], s[0:1], 4
	s_mov_b32 s1, exec_lo
	v_cmpx_eq_u64_e64 s[2:3], v[0:1]
	s_cbranch_execz .LBB128_167
; %bb.114:
	s_and_b32 s0, s0, 15
	s_mov_b32 s1, 0
	s_delay_alu instid0(SALU_CYCLE_1) | instskip(NEXT) | instid1(VALU_DEP_1)
	v_cmp_lt_i64_e64 s2, s[0:1], 8
	s_and_b32 vcc_lo, exec_lo, s2
	s_mov_b32 s2, -1
	s_cbranch_vccnz .LBB128_141
; %bb.115:
	v_cmp_lt_i64_e64 s2, s[0:1], 12
	s_delay_alu instid0(VALU_DEP_1)
	s_and_b32 vcc_lo, exec_lo, s2
	s_mov_b32 s2, -1
	s_cbranch_vccnz .LBB128_128
; %bb.116:
	v_cmp_lt_i64_e64 s2, s[0:1], 14
	s_delay_alu instid0(VALU_DEP_1)
	s_and_b32 vcc_lo, exec_lo, s2
	s_mov_b32 s2, -1
	s_cbranch_vccnz .LBB128_122
; %bb.117:
	v_cmp_gt_i64_e64 s2, s[0:1], 14
	s_delay_alu instid0(VALU_DEP_1)
	s_and_b32 vcc_lo, exec_lo, s2
	s_mov_b32 s2, -1
	s_cbranch_vccz .LBB128_119
; %bb.118:
	v_mov_b32_e32 v0, 0
	s_mov_b32 s2, 0
	global_store_b64 v0, v[32:33], s[10:11]
.LBB128_119:
	s_and_not1_b32 vcc_lo, exec_lo, s2
	s_cbranch_vccnz .LBB128_121
; %bb.120:
	v_mov_b32_e32 v0, 0
	global_store_b64 v0, v[30:31], s[10:11]
.LBB128_121:
	s_mov_b32 s2, 0
.LBB128_122:
	s_delay_alu instid0(SALU_CYCLE_1)
	s_and_not1_b32 vcc_lo, exec_lo, s2
	s_cbranch_vccnz .LBB128_127
; %bb.123:
	v_cmp_gt_i64_e64 s2, s[0:1], 12
	s_delay_alu instid0(VALU_DEP_1)
	s_and_b32 vcc_lo, exec_lo, s2
	s_mov_b32 s2, -1
	s_cbranch_vccz .LBB128_125
; %bb.124:
	v_mov_b32_e32 v0, 0
	s_mov_b32 s2, 0
	global_store_b64 v0, v[28:29], s[10:11]
.LBB128_125:
	s_and_not1_b32 vcc_lo, exec_lo, s2
	s_cbranch_vccnz .LBB128_127
; %bb.126:
	v_mov_b32_e32 v0, 0
	global_store_b64 v0, v[26:27], s[10:11]
.LBB128_127:
	s_mov_b32 s2, 0
.LBB128_128:
	s_delay_alu instid0(SALU_CYCLE_1)
	s_and_not1_b32 vcc_lo, exec_lo, s2
	s_cbranch_vccnz .LBB128_140
; %bb.129:
	v_cmp_lt_i64_e64 s2, s[0:1], 10
	s_delay_alu instid0(VALU_DEP_1)
	s_and_b32 vcc_lo, exec_lo, s2
	s_mov_b32 s2, -1
	s_cbranch_vccnz .LBB128_135
; %bb.130:
	v_cmp_gt_i64_e64 s2, s[0:1], 10
	s_delay_alu instid0(VALU_DEP_1)
	s_and_b32 vcc_lo, exec_lo, s2
	s_mov_b32 s2, -1
	s_cbranch_vccz .LBB128_132
; %bb.131:
	v_mov_b32_e32 v0, 0
	s_mov_b32 s2, 0
	global_store_b64 v0, v[24:25], s[10:11]
.LBB128_132:
	s_and_not1_b32 vcc_lo, exec_lo, s2
	s_cbranch_vccnz .LBB128_134
; %bb.133:
	v_mov_b32_e32 v0, 0
	global_store_b64 v0, v[22:23], s[10:11]
.LBB128_134:
	s_mov_b32 s2, 0
.LBB128_135:
	s_delay_alu instid0(SALU_CYCLE_1)
	s_and_not1_b32 vcc_lo, exec_lo, s2
	s_cbranch_vccnz .LBB128_140
; %bb.136:
	v_cmp_gt_i64_e64 s2, s[0:1], 8
	s_delay_alu instid0(VALU_DEP_1)
	s_and_b32 vcc_lo, exec_lo, s2
	s_mov_b32 s2, -1
	s_cbranch_vccz .LBB128_138
; %bb.137:
	v_mov_b32_e32 v0, 0
	s_mov_b32 s2, 0
	global_store_b64 v0, v[20:21], s[10:11]
.LBB128_138:
	s_and_not1_b32 vcc_lo, exec_lo, s2
	s_cbranch_vccnz .LBB128_140
; %bb.139:
	v_mov_b32_e32 v0, 0
	global_store_b64 v0, v[18:19], s[10:11]
.LBB128_140:
	s_mov_b32 s2, 0
.LBB128_141:
	s_delay_alu instid0(SALU_CYCLE_1)
	s_and_not1_b32 vcc_lo, exec_lo, s2
	s_cbranch_vccnz .LBB128_167
; %bb.142:
	v_cmp_lt_i64_e64 s2, s[0:1], 4
	s_delay_alu instid0(VALU_DEP_1)
	s_and_b32 vcc_lo, exec_lo, s2
	s_mov_b32 s2, -1
	s_cbranch_vccnz .LBB128_155
; %bb.143:
	v_cmp_lt_i64_e64 s2, s[0:1], 6
	s_delay_alu instid0(VALU_DEP_1)
	s_and_b32 vcc_lo, exec_lo, s2
	s_mov_b32 s2, -1
	s_cbranch_vccnz .LBB128_149
; %bb.144:
	v_cmp_gt_i64_e64 s2, s[0:1], 6
	s_delay_alu instid0(VALU_DEP_1)
	s_and_b32 vcc_lo, exec_lo, s2
	s_mov_b32 s2, -1
	s_cbranch_vccz .LBB128_146
; %bb.145:
	v_mov_b32_e32 v0, 0
	s_mov_b32 s2, 0
	global_store_b64 v0, v[16:17], s[10:11]
.LBB128_146:
	s_and_not1_b32 vcc_lo, exec_lo, s2
	s_cbranch_vccnz .LBB128_148
; %bb.147:
	v_mov_b32_e32 v0, 0
	global_store_b64 v0, v[14:15], s[10:11]
.LBB128_148:
	s_mov_b32 s2, 0
.LBB128_149:
	s_delay_alu instid0(SALU_CYCLE_1)
	s_and_not1_b32 vcc_lo, exec_lo, s2
	s_cbranch_vccnz .LBB128_154
; %bb.150:
	v_cmp_gt_i64_e64 s2, s[0:1], 4
	s_delay_alu instid0(VALU_DEP_1)
	s_and_b32 vcc_lo, exec_lo, s2
	s_mov_b32 s2, -1
	s_cbranch_vccz .LBB128_152
; %bb.151:
	v_mov_b32_e32 v0, 0
	s_mov_b32 s2, 0
	global_store_b64 v0, v[12:13], s[10:11]
.LBB128_152:
	s_and_not1_b32 vcc_lo, exec_lo, s2
	s_cbranch_vccnz .LBB128_154
; %bb.153:
	v_mov_b32_e32 v0, 0
	global_store_b64 v0, v[10:11], s[10:11]
.LBB128_154:
	s_mov_b32 s2, 0
.LBB128_155:
	s_delay_alu instid0(SALU_CYCLE_1)
	s_and_not1_b32 vcc_lo, exec_lo, s2
	s_cbranch_vccnz .LBB128_167
; %bb.156:
	v_cmp_lt_i64_e64 s2, s[0:1], 2
	s_delay_alu instid0(VALU_DEP_1)
	s_and_b32 vcc_lo, exec_lo, s2
	s_mov_b32 s2, -1
	s_cbranch_vccnz .LBB128_162
; %bb.157:
	v_cmp_gt_i64_e64 s2, s[0:1], 2
	s_delay_alu instid0(VALU_DEP_1)
	s_and_b32 vcc_lo, exec_lo, s2
	s_mov_b32 s2, -1
	s_cbranch_vccz .LBB128_159
; %bb.158:
	v_mov_b32_e32 v0, 0
	s_mov_b32 s2, 0
	global_store_b64 v0, v[8:9], s[10:11]
.LBB128_159:
	s_and_not1_b32 vcc_lo, exec_lo, s2
	s_cbranch_vccnz .LBB128_161
; %bb.160:
	v_mov_b32_e32 v0, 0
	global_store_b64 v0, v[6:7], s[10:11]
.LBB128_161:
	s_mov_b32 s2, 0
.LBB128_162:
	s_delay_alu instid0(SALU_CYCLE_1)
	s_and_not1_b32 vcc_lo, exec_lo, s2
	s_cbranch_vccnz .LBB128_167
; %bb.163:
	s_cmp_eq_u64 s[0:1], 1
	s_mov_b32 s0, -1
	s_cbranch_scc1 .LBB128_165
; %bb.164:
	v_mov_b32_e32 v0, 0
	s_mov_b32 s0, 0
	global_store_b64 v0, v[4:5], s[10:11]
.LBB128_165:
	s_and_not1_b32 vcc_lo, exec_lo, s0
	s_cbranch_vccnz .LBB128_167
; %bb.166:
	v_mov_b32_e32 v0, 0
	global_store_b64 v0, v[2:3], s[10:11]
.LBB128_167:
	s_nop 0
	s_sendmsg sendmsg(MSG_DEALLOC_VGPRS)
	s_endpgm
.LBB128_168:
	global_load_b32 v33, v[35:36], off
	v_dual_mov_b32 v1, s36 :: v_dual_mov_b32 v2, s37
	v_dual_mov_b32 v3, s38 :: v_dual_mov_b32 v4, s39
	;; [unrolled: 1-line block ×16, first 2 shown]
	s_waitcnt vmcnt(0)
	v_ashrrev_i32_e32 v34, 31, v33
	s_or_b32 exec_lo, exec_lo, s3
	s_delay_alu instid0(SALU_CYCLE_1)
	s_mov_b32 s2, exec_lo
	v_cmpx_gt_u32_e64 s14, v81
	s_cbranch_execz .LBB128_5
.LBB128_169:
	global_load_b32 v3, v[35:36], off offset:1024
	s_waitcnt vmcnt(0)
	v_ashrrev_i32_e32 v4, 31, v3
	s_or_b32 exec_lo, exec_lo, s2
	s_delay_alu instid0(SALU_CYCLE_1)
	s_mov_b32 s2, exec_lo
	v_cmpx_gt_u32_e64 s14, v80
	s_cbranch_execz .LBB128_6
.LBB128_170:
	global_load_b32 v5, v[35:36], off offset:2048
	s_waitcnt vmcnt(0)
	v_ashrrev_i32_e32 v6, 31, v5
	s_or_b32 exec_lo, exec_lo, s2
	s_delay_alu instid0(SALU_CYCLE_1)
	s_mov_b32 s2, exec_lo
	v_cmpx_gt_u32_e64 s14, v79
	s_cbranch_execz .LBB128_7
.LBB128_171:
	global_load_b32 v7, v[35:36], off offset:3072
	s_waitcnt vmcnt(0)
	v_ashrrev_i32_e32 v8, 31, v7
	s_or_b32 exec_lo, exec_lo, s2
	s_delay_alu instid0(SALU_CYCLE_1)
	s_mov_b32 s2, exec_lo
	v_cmpx_gt_u32_e64 s14, v78
	s_cbranch_execz .LBB128_8
.LBB128_172:
	v_add_co_u32 v1, vcc_lo, 0x1000, v35
	v_add_co_ci_u32_e32 v2, vcc_lo, 0, v36, vcc_lo
	global_load_b32 v9, v[1:2], off
	s_waitcnt vmcnt(0)
	v_ashrrev_i32_e32 v10, 31, v9
	s_or_b32 exec_lo, exec_lo, s2
	s_delay_alu instid0(SALU_CYCLE_1)
	s_mov_b32 s2, exec_lo
	v_cmpx_gt_u32_e64 s14, v77
	s_cbranch_execz .LBB128_9
.LBB128_173:
	v_add_co_u32 v1, vcc_lo, 0x1000, v35
	v_add_co_ci_u32_e32 v2, vcc_lo, 0, v36, vcc_lo
	global_load_b32 v11, v[1:2], off offset:1024
	s_waitcnt vmcnt(0)
	v_ashrrev_i32_e32 v12, 31, v11
	s_or_b32 exec_lo, exec_lo, s2
	s_delay_alu instid0(SALU_CYCLE_1)
	s_mov_b32 s2, exec_lo
	v_cmpx_gt_u32_e64 s14, v76
	s_cbranch_execz .LBB128_10
.LBB128_174:
	v_add_co_u32 v1, vcc_lo, 0x1000, v35
	v_add_co_ci_u32_e32 v2, vcc_lo, 0, v36, vcc_lo
	global_load_b32 v13, v[1:2], off offset:2048
	s_waitcnt vmcnt(0)
	v_ashrrev_i32_e32 v14, 31, v13
	s_or_b32 exec_lo, exec_lo, s2
	s_delay_alu instid0(SALU_CYCLE_1)
	s_mov_b32 s2, exec_lo
	v_cmpx_gt_u32_e64 s14, v75
	s_cbranch_execz .LBB128_11
.LBB128_175:
	v_add_co_u32 v1, vcc_lo, 0x1000, v35
	v_add_co_ci_u32_e32 v2, vcc_lo, 0, v36, vcc_lo
	global_load_b32 v15, v[1:2], off offset:3072
	s_waitcnt vmcnt(0)
	v_ashrrev_i32_e32 v16, 31, v15
	s_or_b32 exec_lo, exec_lo, s2
	s_delay_alu instid0(SALU_CYCLE_1)
	s_mov_b32 s2, exec_lo
	v_cmpx_gt_u32_e64 s14, v74
	s_cbranch_execz .LBB128_12
.LBB128_176:
	v_add_co_u32 v1, vcc_lo, 0x2000, v35
	v_add_co_ci_u32_e32 v2, vcc_lo, 0, v36, vcc_lo
	global_load_b32 v17, v[1:2], off
	s_waitcnt vmcnt(0)
	v_ashrrev_i32_e32 v18, 31, v17
	s_or_b32 exec_lo, exec_lo, s2
	s_delay_alu instid0(SALU_CYCLE_1)
	s_mov_b32 s2, exec_lo
	v_cmpx_gt_u32_e64 s14, v73
	s_cbranch_execz .LBB128_13
.LBB128_177:
	v_add_co_u32 v1, vcc_lo, 0x2000, v35
	v_add_co_ci_u32_e32 v2, vcc_lo, 0, v36, vcc_lo
	global_load_b32 v19, v[1:2], off offset:1024
	s_waitcnt vmcnt(0)
	v_ashrrev_i32_e32 v20, 31, v19
	s_or_b32 exec_lo, exec_lo, s2
	s_delay_alu instid0(SALU_CYCLE_1)
	s_mov_b32 s2, exec_lo
	v_cmpx_gt_u32_e64 s14, v72
	s_cbranch_execz .LBB128_14
.LBB128_178:
	v_add_co_u32 v1, vcc_lo, 0x2000, v35
	v_add_co_ci_u32_e32 v2, vcc_lo, 0, v36, vcc_lo
	global_load_b32 v21, v[1:2], off offset:2048
	s_waitcnt vmcnt(0)
	v_ashrrev_i32_e32 v22, 31, v21
	s_or_b32 exec_lo, exec_lo, s2
	s_delay_alu instid0(SALU_CYCLE_1)
	s_mov_b32 s2, exec_lo
	v_cmpx_gt_u32_e64 s14, v71
	s_cbranch_execz .LBB128_15
.LBB128_179:
	v_add_co_u32 v1, vcc_lo, 0x2000, v35
	v_add_co_ci_u32_e32 v2, vcc_lo, 0, v36, vcc_lo
	global_load_b32 v23, v[1:2], off offset:3072
	s_waitcnt vmcnt(0)
	v_ashrrev_i32_e32 v24, 31, v23
	s_or_b32 exec_lo, exec_lo, s2
	s_delay_alu instid0(SALU_CYCLE_1)
	s_mov_b32 s2, exec_lo
	v_cmpx_gt_u32_e64 s14, v70
	s_cbranch_execz .LBB128_16
.LBB128_180:
	v_add_co_u32 v1, vcc_lo, 0x3000, v35
	v_add_co_ci_u32_e32 v2, vcc_lo, 0, v36, vcc_lo
	global_load_b32 v25, v[1:2], off
	s_waitcnt vmcnt(0)
	v_ashrrev_i32_e32 v26, 31, v25
	s_or_b32 exec_lo, exec_lo, s2
	s_delay_alu instid0(SALU_CYCLE_1)
	s_mov_b32 s2, exec_lo
	v_cmpx_gt_u32_e64 s14, v69
	s_cbranch_execz .LBB128_17
.LBB128_181:
	v_add_co_u32 v1, vcc_lo, 0x3000, v35
	v_add_co_ci_u32_e32 v2, vcc_lo, 0, v36, vcc_lo
	global_load_b32 v27, v[1:2], off offset:1024
	s_waitcnt vmcnt(0)
	v_ashrrev_i32_e32 v28, 31, v27
	s_or_b32 exec_lo, exec_lo, s2
	s_delay_alu instid0(SALU_CYCLE_1)
	s_mov_b32 s2, exec_lo
	v_cmpx_gt_u32_e64 s14, v68
	s_cbranch_execz .LBB128_18
.LBB128_182:
	v_add_co_u32 v1, vcc_lo, 0x3000, v35
	v_add_co_ci_u32_e32 v2, vcc_lo, 0, v36, vcc_lo
	global_load_b32 v29, v[1:2], off offset:2048
	s_waitcnt vmcnt(0)
	v_ashrrev_i32_e32 v30, 31, v29
	s_or_b32 exec_lo, exec_lo, s2
	s_delay_alu instid0(SALU_CYCLE_1)
	s_mov_b32 s2, exec_lo
	v_cmpx_gt_u32_e64 s14, v67
	s_cbranch_execnz .LBB128_19
	s_branch .LBB128_20
.LBB128_183:
	s_waitcnt lgkmcnt(15)
	global_store_b64 v[34:35], v[4:5], off
	s_or_b32 exec_lo, exec_lo, s2
	s_delay_alu instid0(SALU_CYCLE_1)
	s_mov_b32 s2, exec_lo
	v_cmpx_gt_u32_e64 s14, v81
	s_cbranch_execz .LBB128_97
.LBB128_184:
	s_waitcnt lgkmcnt(14)
	global_store_b64 v[34:35], v[2:3], off offset:2048
	s_or_b32 exec_lo, exec_lo, s2
	s_delay_alu instid0(SALU_CYCLE_1)
	s_mov_b32 s2, exec_lo
	v_cmpx_gt_u32_e64 s14, v80
	s_cbranch_execz .LBB128_98
.LBB128_185:
	v_add_co_u32 v36, vcc_lo, 0x1000, v34
	v_add_co_ci_u32_e32 v37, vcc_lo, 0, v35, vcc_lo
	s_waitcnt lgkmcnt(13)
	global_store_b64 v[36:37], v[6:7], off
	s_or_b32 exec_lo, exec_lo, s2
	s_delay_alu instid0(SALU_CYCLE_1)
	s_mov_b32 s2, exec_lo
	v_cmpx_gt_u32_e64 s14, v79
	s_cbranch_execz .LBB128_99
.LBB128_186:
	v_add_co_u32 v36, vcc_lo, 0x1000, v34
	v_add_co_ci_u32_e32 v37, vcc_lo, 0, v35, vcc_lo
	s_waitcnt lgkmcnt(12)
	global_store_b64 v[36:37], v[8:9], off offset:2048
	s_or_b32 exec_lo, exec_lo, s2
	s_delay_alu instid0(SALU_CYCLE_1)
	s_mov_b32 s2, exec_lo
	v_cmpx_gt_u32_e64 s14, v78
	s_cbranch_execz .LBB128_100
.LBB128_187:
	v_add_co_u32 v36, vcc_lo, 0x2000, v34
	v_add_co_ci_u32_e32 v37, vcc_lo, 0, v35, vcc_lo
	s_waitcnt lgkmcnt(11)
	global_store_b64 v[36:37], v[10:11], off
	s_or_b32 exec_lo, exec_lo, s2
	s_delay_alu instid0(SALU_CYCLE_1)
	s_mov_b32 s2, exec_lo
	v_cmpx_gt_u32_e64 s14, v77
	s_cbranch_execz .LBB128_101
.LBB128_188:
	v_add_co_u32 v36, vcc_lo, 0x2000, v34
	v_add_co_ci_u32_e32 v37, vcc_lo, 0, v35, vcc_lo
	s_waitcnt lgkmcnt(10)
	global_store_b64 v[36:37], v[12:13], off offset:2048
	s_or_b32 exec_lo, exec_lo, s2
	s_delay_alu instid0(SALU_CYCLE_1)
	s_mov_b32 s2, exec_lo
	v_cmpx_gt_u32_e64 s14, v76
	s_cbranch_execz .LBB128_102
.LBB128_189:
	v_add_co_u32 v36, vcc_lo, 0x3000, v34
	v_add_co_ci_u32_e32 v37, vcc_lo, 0, v35, vcc_lo
	s_waitcnt lgkmcnt(9)
	global_store_b64 v[36:37], v[14:15], off
	s_or_b32 exec_lo, exec_lo, s2
	s_delay_alu instid0(SALU_CYCLE_1)
	s_mov_b32 s2, exec_lo
	v_cmpx_gt_u32_e64 s14, v75
	s_cbranch_execz .LBB128_103
.LBB128_190:
	v_add_co_u32 v36, vcc_lo, 0x3000, v34
	v_add_co_ci_u32_e32 v37, vcc_lo, 0, v35, vcc_lo
	s_waitcnt lgkmcnt(8)
	global_store_b64 v[36:37], v[16:17], off offset:2048
	s_or_b32 exec_lo, exec_lo, s2
	s_delay_alu instid0(SALU_CYCLE_1)
	s_mov_b32 s2, exec_lo
	v_cmpx_gt_u32_e64 s14, v74
	s_cbranch_execz .LBB128_104
.LBB128_191:
	v_add_co_u32 v36, vcc_lo, 0x4000, v34
	v_add_co_ci_u32_e32 v37, vcc_lo, 0, v35, vcc_lo
	s_waitcnt lgkmcnt(7)
	global_store_b64 v[36:37], v[18:19], off
	s_or_b32 exec_lo, exec_lo, s2
	s_delay_alu instid0(SALU_CYCLE_1)
	s_mov_b32 s2, exec_lo
	v_cmpx_gt_u32_e64 s14, v73
	s_cbranch_execz .LBB128_105
.LBB128_192:
	v_add_co_u32 v36, vcc_lo, 0x4000, v34
	v_add_co_ci_u32_e32 v37, vcc_lo, 0, v35, vcc_lo
	s_waitcnt lgkmcnt(6)
	global_store_b64 v[36:37], v[20:21], off offset:2048
	s_or_b32 exec_lo, exec_lo, s2
	s_delay_alu instid0(SALU_CYCLE_1)
	s_mov_b32 s2, exec_lo
	v_cmpx_gt_u32_e64 s14, v72
	s_cbranch_execz .LBB128_106
.LBB128_193:
	v_add_co_u32 v36, vcc_lo, 0x5000, v34
	v_add_co_ci_u32_e32 v37, vcc_lo, 0, v35, vcc_lo
	s_waitcnt lgkmcnt(5)
	global_store_b64 v[36:37], v[22:23], off
	s_or_b32 exec_lo, exec_lo, s2
	s_delay_alu instid0(SALU_CYCLE_1)
	s_mov_b32 s2, exec_lo
	v_cmpx_gt_u32_e64 s14, v71
	s_cbranch_execz .LBB128_107
.LBB128_194:
	v_add_co_u32 v36, vcc_lo, 0x5000, v34
	v_add_co_ci_u32_e32 v37, vcc_lo, 0, v35, vcc_lo
	s_waitcnt lgkmcnt(4)
	global_store_b64 v[36:37], v[24:25], off offset:2048
	s_or_b32 exec_lo, exec_lo, s2
	s_delay_alu instid0(SALU_CYCLE_1)
	s_mov_b32 s2, exec_lo
	v_cmpx_gt_u32_e64 s14, v70
	s_cbranch_execz .LBB128_108
.LBB128_195:
	v_add_co_u32 v36, vcc_lo, 0x6000, v34
	v_add_co_ci_u32_e32 v37, vcc_lo, 0, v35, vcc_lo
	s_waitcnt lgkmcnt(3)
	global_store_b64 v[36:37], v[26:27], off
	s_or_b32 exec_lo, exec_lo, s2
	s_delay_alu instid0(SALU_CYCLE_1)
	s_mov_b32 s2, exec_lo
	v_cmpx_gt_u32_e64 s14, v69
	s_cbranch_execz .LBB128_109
.LBB128_196:
	v_add_co_u32 v36, vcc_lo, 0x6000, v34
	v_add_co_ci_u32_e32 v37, vcc_lo, 0, v35, vcc_lo
	s_waitcnt lgkmcnt(2)
	global_store_b64 v[36:37], v[28:29], off offset:2048
	s_or_b32 exec_lo, exec_lo, s2
	s_delay_alu instid0(SALU_CYCLE_1)
	s_mov_b32 s2, exec_lo
	v_cmpx_gt_u32_e64 s14, v68
	s_cbranch_execz .LBB128_110
.LBB128_197:
	v_add_co_u32 v36, vcc_lo, 0x7000, v34
	v_add_co_ci_u32_e32 v37, vcc_lo, 0, v35, vcc_lo
	s_waitcnt lgkmcnt(1)
	global_store_b64 v[36:37], v[30:31], off
	s_or_b32 exec_lo, exec_lo, s2
	s_delay_alu instid0(SALU_CYCLE_1)
	s_mov_b32 s2, exec_lo
	v_cmpx_gt_u32_e64 s14, v67
	s_cbranch_execnz .LBB128_111
	s_branch .LBB128_112
	.section	.rodata,"a",@progbits
	.p2align	6, 0x0
	.amdhsa_kernel _ZN7rocprim6detail20lookback_scan_kernelILNS0_25lookback_scan_determinismE0ELb1ENS0_19wrapped_scan_configINS_14default_configElEEN6hipcub22TransformInputIteratorIiNS6_6CastOpIiEEPilEEPlNS6_3SumENS_12future_valueIlSC_EElNS0_19lookback_scan_stateIlLb0ELb1EEEEEvT2_T3_mT5_T4_T7_jPT6_SO_bb
		.amdhsa_group_segment_fixed_size 33792
		.amdhsa_private_segment_fixed_size 0
		.amdhsa_kernarg_size 84
		.amdhsa_user_sgpr_count 15
		.amdhsa_user_sgpr_dispatch_ptr 0
		.amdhsa_user_sgpr_queue_ptr 0
		.amdhsa_user_sgpr_kernarg_segment_ptr 1
		.amdhsa_user_sgpr_dispatch_id 0
		.amdhsa_user_sgpr_private_segment_size 0
		.amdhsa_wavefront_size32 1
		.amdhsa_uses_dynamic_stack 0
		.amdhsa_enable_private_segment 0
		.amdhsa_system_sgpr_workgroup_id_x 1
		.amdhsa_system_sgpr_workgroup_id_y 0
		.amdhsa_system_sgpr_workgroup_id_z 0
		.amdhsa_system_sgpr_workgroup_info 0
		.amdhsa_system_vgpr_workitem_id 0
		.amdhsa_next_free_vgpr 96
		.amdhsa_next_free_sgpr 68
		.amdhsa_reserve_vcc 1
		.amdhsa_float_round_mode_32 0
		.amdhsa_float_round_mode_16_64 0
		.amdhsa_float_denorm_mode_32 3
		.amdhsa_float_denorm_mode_16_64 3
		.amdhsa_dx10_clamp 1
		.amdhsa_ieee_mode 1
		.amdhsa_fp16_overflow 0
		.amdhsa_workgroup_processor_mode 1
		.amdhsa_memory_ordered 1
		.amdhsa_forward_progress 0
		.amdhsa_shared_vgpr_count 0
		.amdhsa_exception_fp_ieee_invalid_op 0
		.amdhsa_exception_fp_denorm_src 0
		.amdhsa_exception_fp_ieee_div_zero 0
		.amdhsa_exception_fp_ieee_overflow 0
		.amdhsa_exception_fp_ieee_underflow 0
		.amdhsa_exception_fp_ieee_inexact 0
		.amdhsa_exception_int_div_zero 0
	.end_amdhsa_kernel
	.section	.text._ZN7rocprim6detail20lookback_scan_kernelILNS0_25lookback_scan_determinismE0ELb1ENS0_19wrapped_scan_configINS_14default_configElEEN6hipcub22TransformInputIteratorIiNS6_6CastOpIiEEPilEEPlNS6_3SumENS_12future_valueIlSC_EElNS0_19lookback_scan_stateIlLb0ELb1EEEEEvT2_T3_mT5_T4_T7_jPT6_SO_bb,"axG",@progbits,_ZN7rocprim6detail20lookback_scan_kernelILNS0_25lookback_scan_determinismE0ELb1ENS0_19wrapped_scan_configINS_14default_configElEEN6hipcub22TransformInputIteratorIiNS6_6CastOpIiEEPilEEPlNS6_3SumENS_12future_valueIlSC_EElNS0_19lookback_scan_stateIlLb0ELb1EEEEEvT2_T3_mT5_T4_T7_jPT6_SO_bb,comdat
.Lfunc_end128:
	.size	_ZN7rocprim6detail20lookback_scan_kernelILNS0_25lookback_scan_determinismE0ELb1ENS0_19wrapped_scan_configINS_14default_configElEEN6hipcub22TransformInputIteratorIiNS6_6CastOpIiEEPilEEPlNS6_3SumENS_12future_valueIlSC_EElNS0_19lookback_scan_stateIlLb0ELb1EEEEEvT2_T3_mT5_T4_T7_jPT6_SO_bb, .Lfunc_end128-_ZN7rocprim6detail20lookback_scan_kernelILNS0_25lookback_scan_determinismE0ELb1ENS0_19wrapped_scan_configINS_14default_configElEEN6hipcub22TransformInputIteratorIiNS6_6CastOpIiEEPilEEPlNS6_3SumENS_12future_valueIlSC_EElNS0_19lookback_scan_stateIlLb0ELb1EEEEEvT2_T3_mT5_T4_T7_jPT6_SO_bb
                                        ; -- End function
	.section	.AMDGPU.csdata,"",@progbits
; Kernel info:
; codeLenInByte = 11340
; NumSgprs: 70
; NumVgprs: 96
; ScratchSize: 0
; MemoryBound: 0
; FloatMode: 240
; IeeeMode: 1
; LDSByteSize: 33792 bytes/workgroup (compile time only)
; SGPRBlocks: 8
; VGPRBlocks: 11
; NumSGPRsForWavesPerEU: 70
; NumVGPRsForWavesPerEU: 96
; Occupancy: 6
; WaveLimiterHint : 1
; COMPUTE_PGM_RSRC2:SCRATCH_EN: 0
; COMPUTE_PGM_RSRC2:USER_SGPR: 15
; COMPUTE_PGM_RSRC2:TRAP_HANDLER: 0
; COMPUTE_PGM_RSRC2:TGID_X_EN: 1
; COMPUTE_PGM_RSRC2:TGID_Y_EN: 0
; COMPUTE_PGM_RSRC2:TGID_Z_EN: 0
; COMPUTE_PGM_RSRC2:TIDIG_COMP_CNT: 0
	.section	.text._ZN7rocprim6detail16transform_kernelINS0_24wrapped_transform_configINS_14default_configElEElPlS5_NS_8identityIlEEEEvT1_mT2_T3_,"axG",@progbits,_ZN7rocprim6detail16transform_kernelINS0_24wrapped_transform_configINS_14default_configElEElPlS5_NS_8identityIlEEEEvT1_mT2_T3_,comdat
	.protected	_ZN7rocprim6detail16transform_kernelINS0_24wrapped_transform_configINS_14default_configElEElPlS5_NS_8identityIlEEEEvT1_mT2_T3_ ; -- Begin function _ZN7rocprim6detail16transform_kernelINS0_24wrapped_transform_configINS_14default_configElEElPlS5_NS_8identityIlEEEEvT1_mT2_T3_
	.globl	_ZN7rocprim6detail16transform_kernelINS0_24wrapped_transform_configINS_14default_configElEElPlS5_NS_8identityIlEEEEvT1_mT2_T3_
	.p2align	8
	.type	_ZN7rocprim6detail16transform_kernelINS0_24wrapped_transform_configINS_14default_configElEElPlS5_NS_8identityIlEEEEvT1_mT2_T3_,@function
_ZN7rocprim6detail16transform_kernelINS0_24wrapped_transform_configINS_14default_configElEElPlS5_NS_8identityIlEEEEvT1_mT2_T3_: ; @_ZN7rocprim6detail16transform_kernelINS0_24wrapped_transform_configINS_14default_configElEElPlS5_NS_8identityIlEEEEvT1_mT2_T3_
; %bb.0:
	s_clause 0x2
	s_load_b32 s3, s[0:1], 0x20
	s_load_b128 s[4:7], s[0:1], 0x0
	s_load_b64 s[0:1], s[0:1], 0x10
	v_lshlrev_b32_e32 v2, 3, v0
	s_lshl_b32 s2, s15, 9
	s_waitcnt lgkmcnt(0)
	s_add_i32 s7, s3, -1
	s_mov_b32 s3, 0
	s_cmp_lg_u32 s15, s7
	s_mov_b32 s7, -1
	s_cbranch_scc0 .LBB129_2
; %bb.1:
	s_lshl_b64 s[8:9], s[2:3], 3
	s_mov_b32 s7, s3
	s_add_u32 s10, s4, s8
	s_addc_u32 s11, s5, s9
	s_add_u32 s8, s0, s8
	global_load_b64 v[3:4], v2, s[10:11]
	s_addc_u32 s9, s1, s9
	s_waitcnt vmcnt(0)
	global_store_b64 v2, v[3:4], s[8:9]
.LBB129_2:
	s_and_not1_b32 vcc_lo, exec_lo, s7
	s_cbranch_vccnz .LBB129_7
; %bb.3:
	s_sub_i32 s6, s6, s2
	s_delay_alu instid0(SALU_CYCLE_1)
	v_cmp_gt_u32_e32 vcc_lo, s6, v0
                                        ; implicit-def: $vgpr0_vgpr1
	s_and_saveexec_b32 s6, vcc_lo
	s_cbranch_execz .LBB129_5
; %bb.4:
	s_lshl_b64 s[8:9], s[2:3], 3
	s_delay_alu instid0(SALU_CYCLE_1)
	s_add_u32 s4, s4, s8
	s_addc_u32 s5, s5, s9
	global_load_b64 v[0:1], v2, s[4:5]
.LBB129_5:
	s_or_b32 exec_lo, exec_lo, s6
	s_and_saveexec_b32 s4, vcc_lo
	s_cbranch_execz .LBB129_7
; %bb.6:
	s_lshl_b64 s[2:3], s[2:3], 3
	s_delay_alu instid0(SALU_CYCLE_1)
	s_add_u32 s0, s0, s2
	s_addc_u32 s1, s1, s3
	s_waitcnt vmcnt(0)
	global_store_b64 v2, v[0:1], s[0:1]
.LBB129_7:
	s_nop 0
	s_sendmsg sendmsg(MSG_DEALLOC_VGPRS)
	s_endpgm
	.section	.rodata,"a",@progbits
	.p2align	6, 0x0
	.amdhsa_kernel _ZN7rocprim6detail16transform_kernelINS0_24wrapped_transform_configINS_14default_configElEElPlS5_NS_8identityIlEEEEvT1_mT2_T3_
		.amdhsa_group_segment_fixed_size 0
		.amdhsa_private_segment_fixed_size 0
		.amdhsa_kernarg_size 288
		.amdhsa_user_sgpr_count 15
		.amdhsa_user_sgpr_dispatch_ptr 0
		.amdhsa_user_sgpr_queue_ptr 0
		.amdhsa_user_sgpr_kernarg_segment_ptr 1
		.amdhsa_user_sgpr_dispatch_id 0
		.amdhsa_user_sgpr_private_segment_size 0
		.amdhsa_wavefront_size32 1
		.amdhsa_uses_dynamic_stack 0
		.amdhsa_enable_private_segment 0
		.amdhsa_system_sgpr_workgroup_id_x 1
		.amdhsa_system_sgpr_workgroup_id_y 0
		.amdhsa_system_sgpr_workgroup_id_z 0
		.amdhsa_system_sgpr_workgroup_info 0
		.amdhsa_system_vgpr_workitem_id 0
		.amdhsa_next_free_vgpr 5
		.amdhsa_next_free_sgpr 16
		.amdhsa_reserve_vcc 1
		.amdhsa_float_round_mode_32 0
		.amdhsa_float_round_mode_16_64 0
		.amdhsa_float_denorm_mode_32 3
		.amdhsa_float_denorm_mode_16_64 3
		.amdhsa_dx10_clamp 1
		.amdhsa_ieee_mode 1
		.amdhsa_fp16_overflow 0
		.amdhsa_workgroup_processor_mode 1
		.amdhsa_memory_ordered 1
		.amdhsa_forward_progress 0
		.amdhsa_shared_vgpr_count 0
		.amdhsa_exception_fp_ieee_invalid_op 0
		.amdhsa_exception_fp_denorm_src 0
		.amdhsa_exception_fp_ieee_div_zero 0
		.amdhsa_exception_fp_ieee_overflow 0
		.amdhsa_exception_fp_ieee_underflow 0
		.amdhsa_exception_fp_ieee_inexact 0
		.amdhsa_exception_int_div_zero 0
	.end_amdhsa_kernel
	.section	.text._ZN7rocprim6detail16transform_kernelINS0_24wrapped_transform_configINS_14default_configElEElPlS5_NS_8identityIlEEEEvT1_mT2_T3_,"axG",@progbits,_ZN7rocprim6detail16transform_kernelINS0_24wrapped_transform_configINS_14default_configElEElPlS5_NS_8identityIlEEEEvT1_mT2_T3_,comdat
.Lfunc_end129:
	.size	_ZN7rocprim6detail16transform_kernelINS0_24wrapped_transform_configINS_14default_configElEElPlS5_NS_8identityIlEEEEvT1_mT2_T3_, .Lfunc_end129-_ZN7rocprim6detail16transform_kernelINS0_24wrapped_transform_configINS_14default_configElEElPlS5_NS_8identityIlEEEEvT1_mT2_T3_
                                        ; -- End function
	.section	.AMDGPU.csdata,"",@progbits
; Kernel info:
; codeLenInByte = 208
; NumSgprs: 18
; NumVgprs: 5
; ScratchSize: 0
; MemoryBound: 0
; FloatMode: 240
; IeeeMode: 1
; LDSByteSize: 0 bytes/workgroup (compile time only)
; SGPRBlocks: 2
; VGPRBlocks: 0
; NumSGPRsForWavesPerEU: 18
; NumVGPRsForWavesPerEU: 5
; Occupancy: 16
; WaveLimiterHint : 0
; COMPUTE_PGM_RSRC2:SCRATCH_EN: 0
; COMPUTE_PGM_RSRC2:USER_SGPR: 15
; COMPUTE_PGM_RSRC2:TRAP_HANDLER: 0
; COMPUTE_PGM_RSRC2:TGID_X_EN: 1
; COMPUTE_PGM_RSRC2:TGID_Y_EN: 0
; COMPUTE_PGM_RSRC2:TGID_Z_EN: 0
; COMPUTE_PGM_RSRC2:TIDIG_COMP_CNT: 0
	.section	.text._ZN7rocprim6detail18single_scan_kernelILb1ENS0_19wrapped_scan_configINS_14default_configElEEN6hipcub22TransformInputIteratorIiNS5_6CastOpIiEEPilEEPlNS5_3SumENS_12future_valueIlSB_EElEEvT1_mT4_T2_T3_,"axG",@progbits,_ZN7rocprim6detail18single_scan_kernelILb1ENS0_19wrapped_scan_configINS_14default_configElEEN6hipcub22TransformInputIteratorIiNS5_6CastOpIiEEPilEEPlNS5_3SumENS_12future_valueIlSB_EElEEvT1_mT4_T2_T3_,comdat
	.protected	_ZN7rocprim6detail18single_scan_kernelILb1ENS0_19wrapped_scan_configINS_14default_configElEEN6hipcub22TransformInputIteratorIiNS5_6CastOpIiEEPilEEPlNS5_3SumENS_12future_valueIlSB_EElEEvT1_mT4_T2_T3_ ; -- Begin function _ZN7rocprim6detail18single_scan_kernelILb1ENS0_19wrapped_scan_configINS_14default_configElEEN6hipcub22TransformInputIteratorIiNS5_6CastOpIiEEPilEEPlNS5_3SumENS_12future_valueIlSB_EElEEvT1_mT4_T2_T3_
	.globl	_ZN7rocprim6detail18single_scan_kernelILb1ENS0_19wrapped_scan_configINS_14default_configElEEN6hipcub22TransformInputIteratorIiNS5_6CastOpIiEEPilEEPlNS5_3SumENS_12future_valueIlSB_EElEEvT1_mT4_T2_T3_
	.p2align	8
	.type	_ZN7rocprim6detail18single_scan_kernelILb1ENS0_19wrapped_scan_configINS_14default_configElEEN6hipcub22TransformInputIteratorIiNS5_6CastOpIiEEPilEEPlNS5_3SumENS_12future_valueIlSB_EElEEvT1_mT4_T2_T3_,@function
_ZN7rocprim6detail18single_scan_kernelILb1ENS0_19wrapped_scan_configINS_14default_configElEEN6hipcub22TransformInputIteratorIiNS5_6CastOpIiEEPilEEPlNS5_3SumENS_12future_valueIlSB_EElEEvT1_mT4_T2_T3_: ; @_ZN7rocprim6detail18single_scan_kernelILb1ENS0_19wrapped_scan_configINS_14default_configElEEN6hipcub22TransformInputIteratorIiNS5_6CastOpIiEEPilEEPlNS5_3SumENS_12future_valueIlSB_EElEEvT1_mT4_T2_T3_
; %bb.0:
	s_clause 0x1
	s_load_b64 s[2:3], s[0:1], 0x0
	s_load_b128 s[20:23], s[0:1], 0x10
	s_waitcnt lgkmcnt(0)
	s_load_b32 s36, s[2:3], 0x0
	v_cmp_gt_u32_e32 vcc_lo, s20, v0
	s_waitcnt lgkmcnt(0)
	s_ashr_i32 s37, s36, 31
	s_mov_b32 s38, s36
	s_mov_b32 s40, s36
	;; [unrolled: 1-line block ×30, first 2 shown]
	v_lshlrev_b32_e32 v1, 2, v0
	v_dual_mov_b32 v33, s36 :: v_dual_mov_b32 v34, s37
	s_delay_alu instid0(VALU_DEP_2)
	v_add_co_u32 v35, s2, s2, v1
	v_dual_mov_b32 v1, s36 :: v_dual_mov_b32 v4, s39
	v_add_co_ci_u32_e64 v36, null, s3, 0, s2
	v_dual_mov_b32 v3, s38 :: v_dual_mov_b32 v6, s41
	v_dual_mov_b32 v5, s40 :: v_dual_mov_b32 v8, s43
	;; [unrolled: 1-line block ×15, first 2 shown]
	s_and_saveexec_b32 s2, vcc_lo
	s_cbranch_execz .LBB130_2
; %bb.1:
	global_load_b32 v33, v[35:36], off
	v_dual_mov_b32 v1, s36 :: v_dual_mov_b32 v2, s37
	v_dual_mov_b32 v3, s38 :: v_dual_mov_b32 v4, s39
	;; [unrolled: 1-line block ×16, first 2 shown]
	s_waitcnt vmcnt(0)
	v_ashrrev_i32_e32 v34, 31, v33
.LBB130_2:
	s_or_b32 exec_lo, exec_lo, s2
	v_or_b32_e32 v1, 0x100, v0
	s_delay_alu instid0(VALU_DEP_1) | instskip(NEXT) | instid1(VALU_DEP_1)
	v_cmp_gt_u32_e64 s2, s20, v1
	s_and_saveexec_b32 s3, s2
	s_cbranch_execz .LBB130_4
; %bb.3:
	global_load_b32 v3, v[35:36], off offset:1024
	s_waitcnt vmcnt(0)
	v_ashrrev_i32_e32 v4, 31, v3
.LBB130_4:
	s_or_b32 exec_lo, exec_lo, s3
	v_or_b32_e32 v2, 0x200, v0
	s_delay_alu instid0(VALU_DEP_1) | instskip(NEXT) | instid1(VALU_DEP_1)
	v_cmp_gt_u32_e64 s3, s20, v2
	s_and_saveexec_b32 s4, s3
	s_cbranch_execz .LBB130_6
; %bb.5:
	global_load_b32 v5, v[35:36], off offset:2048
	s_waitcnt vmcnt(0)
	v_ashrrev_i32_e32 v6, 31, v5
.LBB130_6:
	;; [unrolled: 11-line block ×3, first 2 shown]
	s_or_b32 exec_lo, exec_lo, s5
	v_or_b32_e32 v38, 0x400, v0
	s_delay_alu instid0(VALU_DEP_1) | instskip(NEXT) | instid1(VALU_DEP_1)
	v_cmp_gt_u32_e64 s5, s20, v38
	s_and_saveexec_b32 s7, s5
	s_cbranch_execz .LBB130_10
; %bb.9:
	v_add_co_u32 v9, s6, 0x1000, v35
	s_delay_alu instid0(VALU_DEP_1)
	v_add_co_ci_u32_e64 v10, s6, 0, v36, s6
	global_load_b32 v9, v[9:10], off
	s_waitcnt vmcnt(0)
	v_ashrrev_i32_e32 v10, 31, v9
.LBB130_10:
	s_or_b32 exec_lo, exec_lo, s7
	v_or_b32_e32 v39, 0x500, v0
	s_delay_alu instid0(VALU_DEP_1) | instskip(NEXT) | instid1(VALU_DEP_1)
	v_cmp_gt_u32_e64 s6, s20, v39
	s_and_saveexec_b32 s8, s6
	s_cbranch_execz .LBB130_12
; %bb.11:
	v_add_co_u32 v11, s7, 0x1000, v35
	s_delay_alu instid0(VALU_DEP_1)
	v_add_co_ci_u32_e64 v12, s7, 0, v36, s7
	global_load_b32 v11, v[11:12], off offset:1024
	s_waitcnt vmcnt(0)
	v_ashrrev_i32_e32 v12, 31, v11
.LBB130_12:
	s_or_b32 exec_lo, exec_lo, s8
	v_or_b32_e32 v40, 0x600, v0
	s_delay_alu instid0(VALU_DEP_1) | instskip(NEXT) | instid1(VALU_DEP_1)
	v_cmp_gt_u32_e64 s7, s20, v40
	s_and_saveexec_b32 s9, s7
	s_cbranch_execz .LBB130_14
; %bb.13:
	v_add_co_u32 v13, s8, 0x1000, v35
	s_delay_alu instid0(VALU_DEP_1)
	v_add_co_ci_u32_e64 v14, s8, 0, v36, s8
	global_load_b32 v13, v[13:14], off offset:2048
	s_waitcnt vmcnt(0)
	v_ashrrev_i32_e32 v14, 31, v13
.LBB130_14:
	;; [unrolled: 14-line block ×3, first 2 shown]
	s_or_b32 exec_lo, exec_lo, s10
	v_or_b32_e32 v42, 0x800, v0
	s_delay_alu instid0(VALU_DEP_1) | instskip(NEXT) | instid1(VALU_DEP_1)
	v_cmp_gt_u32_e64 s9, s20, v42
	s_and_saveexec_b32 s11, s9
	s_cbranch_execz .LBB130_18
; %bb.17:
	v_add_co_u32 v17, s10, 0x2000, v35
	s_delay_alu instid0(VALU_DEP_1)
	v_add_co_ci_u32_e64 v18, s10, 0, v36, s10
	global_load_b32 v17, v[17:18], off
	s_waitcnt vmcnt(0)
	v_ashrrev_i32_e32 v18, 31, v17
.LBB130_18:
	s_or_b32 exec_lo, exec_lo, s11
	v_or_b32_e32 v43, 0x900, v0
	s_delay_alu instid0(VALU_DEP_1) | instskip(NEXT) | instid1(VALU_DEP_1)
	v_cmp_gt_u32_e64 s10, s20, v43
	s_and_saveexec_b32 s12, s10
	s_cbranch_execz .LBB130_20
; %bb.19:
	v_add_co_u32 v19, s11, 0x2000, v35
	s_delay_alu instid0(VALU_DEP_1)
	v_add_co_ci_u32_e64 v20, s11, 0, v36, s11
	global_load_b32 v19, v[19:20], off offset:1024
	s_waitcnt vmcnt(0)
	v_ashrrev_i32_e32 v20, 31, v19
.LBB130_20:
	s_or_b32 exec_lo, exec_lo, s12
	v_or_b32_e32 v44, 0xa00, v0
	s_delay_alu instid0(VALU_DEP_1) | instskip(NEXT) | instid1(VALU_DEP_1)
	v_cmp_gt_u32_e64 s11, s20, v44
	s_and_saveexec_b32 s13, s11
	s_cbranch_execz .LBB130_22
; %bb.21:
	v_add_co_u32 v21, s12, 0x2000, v35
	s_delay_alu instid0(VALU_DEP_1)
	v_add_co_ci_u32_e64 v22, s12, 0, v36, s12
	global_load_b32 v21, v[21:22], off offset:2048
	s_waitcnt vmcnt(0)
	v_ashrrev_i32_e32 v22, 31, v21
.LBB130_22:
	;; [unrolled: 14-line block ×3, first 2 shown]
	s_or_b32 exec_lo, exec_lo, s14
	v_or_b32_e32 v46, 0xc00, v0
	s_delay_alu instid0(VALU_DEP_1) | instskip(NEXT) | instid1(VALU_DEP_1)
	v_cmp_gt_u32_e64 s13, s20, v46
	s_and_saveexec_b32 s15, s13
	s_cbranch_execz .LBB130_26
; %bb.25:
	v_add_co_u32 v25, s14, 0x3000, v35
	s_delay_alu instid0(VALU_DEP_1)
	v_add_co_ci_u32_e64 v26, s14, 0, v36, s14
	global_load_b32 v25, v[25:26], off
	s_waitcnt vmcnt(0)
	v_ashrrev_i32_e32 v26, 31, v25
.LBB130_26:
	s_or_b32 exec_lo, exec_lo, s15
	v_or_b32_e32 v47, 0xd00, v0
	s_delay_alu instid0(VALU_DEP_1) | instskip(NEXT) | instid1(VALU_DEP_1)
	v_cmp_gt_u32_e64 s14, s20, v47
	s_and_saveexec_b32 s16, s14
	s_cbranch_execz .LBB130_28
; %bb.27:
	v_add_co_u32 v27, s15, 0x3000, v35
	s_delay_alu instid0(VALU_DEP_1)
	v_add_co_ci_u32_e64 v28, s15, 0, v36, s15
	global_load_b32 v27, v[27:28], off offset:1024
	s_waitcnt vmcnt(0)
	v_ashrrev_i32_e32 v28, 31, v27
.LBB130_28:
	s_or_b32 exec_lo, exec_lo, s16
	v_or_b32_e32 v48, 0xe00, v0
	s_delay_alu instid0(VALU_DEP_1) | instskip(NEXT) | instid1(VALU_DEP_1)
	v_cmp_gt_u32_e64 s15, s20, v48
	s_and_saveexec_b32 s17, s15
	s_cbranch_execz .LBB130_30
; %bb.29:
	v_add_co_u32 v29, s16, 0x3000, v35
	s_delay_alu instid0(VALU_DEP_1)
	v_add_co_ci_u32_e64 v30, s16, 0, v36, s16
	global_load_b32 v29, v[29:30], off offset:2048
	s_waitcnt vmcnt(0)
	v_ashrrev_i32_e32 v30, 31, v29
.LBB130_30:
	s_or_b32 exec_lo, exec_lo, s17
	s_load_b64 s[16:17], s[0:1], 0x20
	v_or_b32_e32 v49, 0xf00, v0
	s_delay_alu instid0(VALU_DEP_1) | instskip(NEXT) | instid1(VALU_DEP_1)
	v_cmp_gt_u32_e64 s0, s20, v49
	s_and_saveexec_b32 s18, s0
	s_cbranch_execz .LBB130_32
; %bb.31:
	v_add_co_u32 v31, s1, 0x3000, v35
	s_delay_alu instid0(VALU_DEP_1)
	v_add_co_ci_u32_e64 v32, s1, 0, v36, s1
	global_load_b32 v31, v[31:32], off offset:3072
	s_waitcnt vmcnt(0)
	v_ashrrev_i32_e32 v32, 31, v31
.LBB130_32:
	s_or_b32 exec_lo, exec_lo, s18
	v_lshrrev_b32_e32 v1, 2, v1
	v_lshlrev_b32_e32 v53, 3, v0
	v_lshrrev_b32_e32 v2, 2, v2
	v_lshrrev_b32_e32 v36, 2, v37
	;; [unrolled: 1-line block ×3, first 2 shown]
	v_and_b32_e32 v1, 0x78, v1
	v_lshrrev_b32_e32 v37, 2, v38
	v_lshrrev_b32_e32 v38, 2, v39
	s_load_b64 s[18:19], s[22:23], 0x0
	v_and_b32_e32 v35, 56, v35
	v_add_nc_u32_e32 v55, v1, v53
	v_and_b32_e32 v1, 0xf8, v2
	v_and_b32_e32 v2, 0xf8, v36
	s_mov_b32 s20, exec_lo
	v_add_nc_u32_e32 v54, v35, v53
	ds_store_b64 v54, v[33:34]
	ds_store_b64 v55, v[3:4] offset:2048
	v_add_nc_u32_e32 v56, v1, v53
	v_and_b32_e32 v1, 0x1f8, v38
	v_add_nc_u32_e32 v57, v2, v53
	v_lshrrev_b32_e32 v2, 2, v40
	v_lshrrev_b32_e32 v3, 2, v42
	;; [unrolled: 1-line block ×3, first 2 shown]
	v_add_nc_u32_e32 v59, v1, v53
	v_and_b32_e32 v35, 0x1f8, v37
	v_and_b32_e32 v1, 0x1f8, v2
	v_lshrrev_b32_e32 v2, 2, v41
	v_and_b32_e32 v3, 0x3f8, v3
	v_and_b32_e32 v4, 0x3f8, v4
	v_add_nc_u32_e32 v58, v35, v53
	v_add_nc_u32_e32 v60, v1, v53
	v_and_b32_e32 v1, 0x1f8, v2
	v_lshrrev_b32_e32 v2, 2, v44
	v_add_nc_u32_e32 v62, v3, v53
	v_lshrrev_b32_e32 v3, 2, v47
	v_add_nc_u32_e32 v63, v4, v53
	v_add_nc_u32_e32 v61, v1, v53
	v_and_b32_e32 v1, 0x3f8, v2
	v_lshrrev_b32_e32 v2, 2, v45
	v_and_b32_e32 v3, 0x3f8, v3
	v_lshrrev_b32_e32 v4, 2, v48
	ds_store_b64 v56, v[5:6] offset:4096
	v_add_nc_u32_e32 v64, v1, v53
	v_and_b32_e32 v1, 0x3f8, v2
	v_lshrrev_b32_e32 v2, 2, v46
	v_add_nc_u32_e32 v67, v3, v53
	v_lshrrev_b32_e32 v3, 1, v0
	v_and_b32_e32 v4, 0x3f8, v4
	v_add_nc_u32_e32 v65, v1, v53
	v_and_b32_e32 v1, 0x3f8, v2
	v_lshrrev_b32_e32 v2, 2, v49
	ds_store_b64 v57, v[7:8] offset:6144
	ds_store_b64 v58, v[9:10] offset:8192
	v_add_nc_u32_e32 v68, v4, v53
	ds_store_b64 v59, v[11:12] offset:10240
	v_add_nc_u32_e32 v66, v1, v53
	v_and_b32_e32 v1, 0x3f8, v2
	v_lshlrev_b32_e32 v2, 4, v0
	ds_store_b64 v60, v[13:14] offset:12288
	ds_store_b64 v61, v[15:16] offset:14336
	;; [unrolled: 1-line block ×4, first 2 shown]
	v_add_nc_u32_e32 v69, v1, v53
	v_add_lshl_u32 v70, v3, v2, 3
	ds_store_b64 v64, v[21:22] offset:20480
	ds_store_b64 v65, v[23:24] offset:22528
	;; [unrolled: 1-line block ×6, first 2 shown]
	s_waitcnt lgkmcnt(0)
	s_barrier
	buffer_gl0_inv
	ds_load_2addr_b64 v[1:4], v70 offset1:1
	ds_load_2addr_b64 v[5:8], v70 offset0:2 offset1:3
	ds_load_2addr_b64 v[9:12], v70 offset0:4 offset1:5
	;; [unrolled: 1-line block ×6, first 2 shown]
	s_waitcnt lgkmcnt(6)
	v_add_co_u32 v13, s1, v3, v1
	s_delay_alu instid0(VALU_DEP_1) | instskip(SKIP_1) | instid1(VALU_DEP_2)
	v_add_co_ci_u32_e64 v14, s1, v4, v2, s1
	s_waitcnt lgkmcnt(5)
	v_add_co_u32 v13, s1, v13, v5
	s_delay_alu instid0(VALU_DEP_1) | instskip(NEXT) | instid1(VALU_DEP_2)
	v_add_co_ci_u32_e64 v14, s1, v14, v6, s1
	v_add_co_u32 v13, s1, v13, v7
	s_delay_alu instid0(VALU_DEP_1) | instskip(SKIP_1) | instid1(VALU_DEP_2)
	v_add_co_ci_u32_e64 v14, s1, v14, v8, s1
	s_waitcnt lgkmcnt(4)
	v_add_co_u32 v13, s1, v13, v9
	s_delay_alu instid0(VALU_DEP_1) | instskip(NEXT) | instid1(VALU_DEP_2)
	v_add_co_ci_u32_e64 v14, s1, v14, v10, s1
	;; [unrolled: 7-line block ×4, first 2 shown]
	v_add_co_u32 v33, s1, v13, v31
	s_delay_alu instid0(VALU_DEP_1) | instskip(SKIP_3) | instid1(VALU_DEP_1)
	v_add_co_ci_u32_e64 v34, s1, v14, v32, s1
	ds_load_2addr_b64 v[13:16], v70 offset0:14 offset1:15
	s_waitcnt lgkmcnt(2)
	v_add_co_u32 v33, s1, v33, v21
	v_add_co_ci_u32_e64 v34, s1, v34, v22, s1
	s_waitcnt lgkmcnt(0)
	s_delay_alu instid0(VALU_DEP_2) | instskip(NEXT) | instid1(VALU_DEP_1)
	v_add_co_u32 v33, s1, v33, v23
	v_add_co_ci_u32_e64 v34, s1, v34, v24, s1
	s_barrier
	s_delay_alu instid0(VALU_DEP_2) | instskip(NEXT) | instid1(VALU_DEP_1)
	v_add_co_u32 v33, s1, v33, v17
	v_add_co_ci_u32_e64 v34, s1, v34, v18, s1
	buffer_gl0_inv
	v_add_co_u32 v33, s1, v33, v19
	s_delay_alu instid0(VALU_DEP_1) | instskip(NEXT) | instid1(VALU_DEP_2)
	v_add_co_ci_u32_e64 v34, s1, v34, v20, s1
	v_add_co_u32 v33, s1, v33, v13
	s_delay_alu instid0(VALU_DEP_1) | instskip(NEXT) | instid1(VALU_DEP_2)
	v_add_co_ci_u32_e64 v34, s1, v34, v14, s1
	v_add_co_u32 v15, s1, v33, v15
	s_delay_alu instid0(VALU_DEP_1)
	v_add_co_ci_u32_e64 v16, s1, v34, v16, s1
	ds_store_b64 v54, v[15:16]
	s_waitcnt lgkmcnt(0)
	s_barrier
	buffer_gl0_inv
	v_cmpx_gt_u32_e32 32, v0
	s_cbranch_execz .LBB130_42
; %bb.33:
	v_lshlrev_b32_e32 v33, 1, v0
	v_mbcnt_lo_u32_b32 v72, -1, 0
	s_mov_b32 s21, exec_lo
	s_delay_alu instid0(VALU_DEP_2) | instskip(NEXT) | instid1(VALU_DEP_2)
	v_and_b32_e32 v33, 0x1f8, v33
	v_and_b32_e32 v73, 15, v72
	s_delay_alu instid0(VALU_DEP_2)
	v_lshl_or_b32 v71, v0, 6, v33
	ds_load_2addr_b64 v[33:36], v71 offset1:1
	ds_load_2addr_b64 v[37:40], v71 offset0:2 offset1:3
	ds_load_2addr_b64 v[41:44], v71 offset0:4 offset1:5
	;; [unrolled: 1-line block ×3, first 2 shown]
	s_waitcnt lgkmcnt(3)
	v_add_co_u32 v49, s1, v35, v33
	s_delay_alu instid0(VALU_DEP_1) | instskip(SKIP_1) | instid1(VALU_DEP_2)
	v_add_co_ci_u32_e64 v50, s1, v36, v34, s1
	s_waitcnt lgkmcnt(2)
	v_add_co_u32 v49, s1, v49, v37
	s_delay_alu instid0(VALU_DEP_1) | instskip(NEXT) | instid1(VALU_DEP_2)
	v_add_co_ci_u32_e64 v50, s1, v50, v38, s1
	v_add_co_u32 v49, s1, v49, v39
	s_delay_alu instid0(VALU_DEP_1) | instskip(SKIP_1) | instid1(VALU_DEP_2)
	v_add_co_ci_u32_e64 v50, s1, v50, v40, s1
	s_waitcnt lgkmcnt(1)
	v_add_co_u32 v49, s1, v49, v41
	s_delay_alu instid0(VALU_DEP_1) | instskip(NEXT) | instid1(VALU_DEP_2)
	v_add_co_ci_u32_e64 v50, s1, v50, v42, s1
	;; [unrolled: 7-line block ×3, first 2 shown]
	v_add_co_u32 v49, s1, v49, v47
	s_delay_alu instid0(VALU_DEP_1) | instskip(NEXT) | instid1(VALU_DEP_2)
	v_add_co_ci_u32_e64 v50, s1, v50, v48, s1
	v_mov_b32_dpp v75, v49 row_shr:1 row_mask:0xf bank_mask:0xf
	s_delay_alu instid0(VALU_DEP_2)
	v_mov_b32_e32 v52, v50
	v_mov_b32_dpp v74, v50 row_shr:1 row_mask:0xf bank_mask:0xf
	v_mov_b32_e32 v51, v49
	v_cmpx_ne_u32_e32 0, v73
; %bb.34:
	v_add_co_u32 v49, s1, v49, v75
	s_delay_alu instid0(VALU_DEP_1) | instskip(NEXT) | instid1(VALU_DEP_2)
	v_add_co_ci_u32_e64 v50, s1, 0, v50, s1
	v_add_co_u32 v51, s1, 0, v49
	s_delay_alu instid0(VALU_DEP_1) | instskip(NEXT) | instid1(VALU_DEP_1)
	v_add_co_ci_u32_e64 v52, s1, v74, v50, s1
	v_mov_b32_e32 v50, v52
; %bb.35:
	s_or_b32 exec_lo, exec_lo, s21
	v_mov_b32_dpp v75, v49 row_shr:2 row_mask:0xf bank_mask:0xf
	s_delay_alu instid0(VALU_DEP_2)
	v_mov_b32_dpp v74, v50 row_shr:2 row_mask:0xf bank_mask:0xf
	s_mov_b32 s21, exec_lo
	v_cmpx_lt_u32_e32 1, v73
; %bb.36:
	s_delay_alu instid0(VALU_DEP_3) | instskip(NEXT) | instid1(VALU_DEP_1)
	v_add_co_u32 v49, s1, v51, v75
	v_add_co_ci_u32_e64 v50, s1, 0, v52, s1
	s_delay_alu instid0(VALU_DEP_2) | instskip(NEXT) | instid1(VALU_DEP_1)
	v_add_co_u32 v51, s1, 0, v49
	v_add_co_ci_u32_e64 v52, s1, v74, v50, s1
	s_delay_alu instid0(VALU_DEP_1)
	v_mov_b32_e32 v50, v52
; %bb.37:
	s_or_b32 exec_lo, exec_lo, s21
	v_mov_b32_dpp v75, v49 row_shr:4 row_mask:0xf bank_mask:0xf
	s_delay_alu instid0(VALU_DEP_2)
	v_mov_b32_dpp v74, v50 row_shr:4 row_mask:0xf bank_mask:0xf
	s_mov_b32 s21, exec_lo
	v_cmpx_lt_u32_e32 3, v73
; %bb.38:
	s_delay_alu instid0(VALU_DEP_3) | instskip(NEXT) | instid1(VALU_DEP_1)
	v_add_co_u32 v49, s1, v51, v75
	v_add_co_ci_u32_e64 v50, s1, 0, v52, s1
	s_delay_alu instid0(VALU_DEP_2) | instskip(NEXT) | instid1(VALU_DEP_1)
	v_add_co_u32 v51, s1, 0, v49
	v_add_co_ci_u32_e64 v52, s1, v74, v50, s1
	s_delay_alu instid0(VALU_DEP_1)
	;; [unrolled: 16-line block ×3, first 2 shown]
	v_mov_b32_e32 v50, v52
; %bb.41:
	s_or_b32 exec_lo, exec_lo, s21
	ds_swizzle_b32 v73, v49 offset:swizzle(BROADCAST,32,15)
	ds_swizzle_b32 v74, v50 offset:swizzle(BROADCAST,32,15)
	v_add_nc_u32_e32 v75, -1, v72
	v_and_b32_e32 v76, 16, v72
	s_delay_alu instid0(VALU_DEP_2) | instskip(NEXT) | instid1(VALU_DEP_1)
	v_cmp_gt_i32_e64 s1, 0, v75
	v_cndmask_b32_e64 v72, v75, v72, s1
	s_delay_alu instid0(VALU_DEP_1) | instskip(SKIP_2) | instid1(VALU_DEP_1)
	v_lshlrev_b32_e32 v72, 2, v72
	s_waitcnt lgkmcnt(1)
	v_add_co_u32 v51, s1, v51, v73
	v_add_co_ci_u32_e64 v52, s1, 0, v52, s1
	v_cmp_eq_u32_e64 s1, 0, v76
	s_delay_alu instid0(VALU_DEP_1) | instskip(SKIP_1) | instid1(VALU_DEP_3)
	v_cndmask_b32_e64 v49, v51, v49, s1
	s_waitcnt lgkmcnt(0)
	v_add_nc_u32_e32 v51, v74, v52
	ds_bpermute_b32 v49, v72, v49
	v_cndmask_b32_e64 v50, v51, v50, s1
	ds_bpermute_b32 v50, v72, v50
	s_waitcnt lgkmcnt(1)
	v_add_co_u32 v33, s1, v33, v49
	s_delay_alu instid0(VALU_DEP_1) | instskip(NEXT) | instid1(VALU_DEP_2)
	v_add_co_ci_u32_e64 v34, s1, 0, v34, s1
	v_add_co_u32 v33, s1, v33, 0
	s_waitcnt lgkmcnt(0)
	s_delay_alu instid0(VALU_DEP_2) | instskip(SKIP_1) | instid1(VALU_DEP_1)
	v_add_co_ci_u32_e64 v34, s1, v34, v50, s1
	v_cmp_eq_u32_e64 s1, 0, v0
	v_cndmask_b32_e64 v15, v33, v15, s1
	s_delay_alu instid0(VALU_DEP_3) | instskip(NEXT) | instid1(VALU_DEP_2)
	v_cndmask_b32_e64 v16, v34, v16, s1
	v_add_co_u32 v33, s1, v15, v35
	s_delay_alu instid0(VALU_DEP_1) | instskip(NEXT) | instid1(VALU_DEP_2)
	v_add_co_ci_u32_e64 v34, s1, v16, v36, s1
	v_add_co_u32 v35, s1, v33, v37
	s_delay_alu instid0(VALU_DEP_1) | instskip(NEXT) | instid1(VALU_DEP_2)
	v_add_co_ci_u32_e64 v36, s1, v34, v38, s1
	;; [unrolled: 3-line block ×6, first 2 shown]
	v_add_co_u32 v45, s1, v43, v47
	s_delay_alu instid0(VALU_DEP_1)
	v_add_co_ci_u32_e64 v46, s1, v44, v48, s1
	ds_store_2addr_b64 v71, v[15:16], v[33:34] offset1:1
	ds_store_2addr_b64 v71, v[35:36], v[37:38] offset0:2 offset1:3
	ds_store_2addr_b64 v71, v[39:40], v[41:42] offset0:4 offset1:5
	ds_store_2addr_b64 v71, v[43:44], v[45:46] offset0:6 offset1:7
.LBB130_42:
	s_or_b32 exec_lo, exec_lo, s20
	v_dual_mov_b32 v15, s18 :: v_dual_mov_b32 v16, s19
	s_mov_b32 s20, exec_lo
	s_waitcnt lgkmcnt(0)
	s_barrier
	buffer_gl0_inv
	v_cmpx_ne_u32_e32 0, v0
	s_cbranch_execz .LBB130_44
; %bb.43:
	v_add_nc_u32_e32 v0, -1, v0
	s_delay_alu instid0(VALU_DEP_1) | instskip(NEXT) | instid1(VALU_DEP_1)
	v_lshrrev_b32_e32 v15, 5, v0
	v_add_lshl_u32 v0, v15, v0, 3
	ds_load_b64 v[15:16], v0
	s_waitcnt lgkmcnt(0)
	v_add_co_u32 v15, s1, v15, s18
	s_delay_alu instid0(VALU_DEP_1)
	v_add_co_ci_u32_e64 v16, s1, s19, v16, s1
.LBB130_44:
	s_or_b32 exec_lo, exec_lo, s20
	s_delay_alu instid0(VALU_DEP_2) | instskip(NEXT) | instid1(VALU_DEP_1)
	v_add_co_u32 v0, s1, v15, v1
	v_add_co_ci_u32_e64 v1, s1, v16, v2, s1
	s_delay_alu instid0(VALU_DEP_2) | instskip(NEXT) | instid1(VALU_DEP_1)
	v_add_co_u32 v2, s1, v0, v3
	v_add_co_ci_u32_e64 v3, s1, v1, v4, s1
	s_barrier
	s_delay_alu instid0(VALU_DEP_2) | instskip(NEXT) | instid1(VALU_DEP_1)
	v_add_co_u32 v4, s1, v2, v5
	v_add_co_ci_u32_e64 v5, s1, v3, v6, s1
	buffer_gl0_inv
	v_add_co_u32 v6, s1, v4, v7
	s_delay_alu instid0(VALU_DEP_1) | instskip(SKIP_3) | instid1(VALU_DEP_1)
	v_add_co_ci_u32_e64 v7, s1, v5, v8, s1
	ds_store_2addr_b64 v70, v[15:16], v[0:1] offset1:1
	ds_store_2addr_b64 v70, v[2:3], v[4:5] offset0:2 offset1:3
	v_add_co_u32 v8, s1, v6, v9
	v_add_co_ci_u32_e64 v9, s1, v7, v10, s1
	s_delay_alu instid0(VALU_DEP_2) | instskip(NEXT) | instid1(VALU_DEP_1)
	v_add_co_u32 v10, s1, v8, v11
	v_add_co_ci_u32_e64 v11, s1, v9, v12, s1
	s_delay_alu instid0(VALU_DEP_2) | instskip(NEXT) | instid1(VALU_DEP_1)
	;; [unrolled: 3-line block ×10, first 2 shown]
	v_add_co_u32 v0, s1, v19, v13
	v_add_co_ci_u32_e64 v1, s1, v20, v14, s1
	ds_store_2addr_b64 v70, v[6:7], v[8:9] offset0:4 offset1:5
	ds_store_2addr_b64 v70, v[10:11], v[25:26] offset0:6 offset1:7
	;; [unrolled: 1-line block ×6, first 2 shown]
	s_waitcnt lgkmcnt(0)
	s_barrier
	buffer_gl0_inv
	ds_load_b64 v[30:31], v55 offset:2048
	ds_load_b64 v[28:29], v56 offset:4096
	;; [unrolled: 1-line block ×15, first 2 shown]
	v_add_co_u32 v2, s1, s16, v53
	s_delay_alu instid0(VALU_DEP_1)
	v_add_co_ci_u32_e64 v3, null, s17, 0, s1
	s_and_saveexec_b32 s1, vcc_lo
	s_cbranch_execnz .LBB130_61
; %bb.45:
	s_or_b32 exec_lo, exec_lo, s1
	s_and_saveexec_b32 s1, s2
	s_cbranch_execnz .LBB130_62
.LBB130_46:
	s_or_b32 exec_lo, exec_lo, s1
	s_and_saveexec_b32 s1, s3
	s_cbranch_execnz .LBB130_63
.LBB130_47:
	s_or_b32 exec_lo, exec_lo, s1
	s_and_saveexec_b32 s1, s4
	s_cbranch_execnz .LBB130_64
.LBB130_48:
	s_or_b32 exec_lo, exec_lo, s1
	s_and_saveexec_b32 s1, s5
	s_cbranch_execnz .LBB130_65
.LBB130_49:
	s_or_b32 exec_lo, exec_lo, s1
	s_and_saveexec_b32 s1, s6
	s_cbranch_execnz .LBB130_66
.LBB130_50:
	s_or_b32 exec_lo, exec_lo, s1
	s_and_saveexec_b32 s1, s7
	s_cbranch_execnz .LBB130_67
.LBB130_51:
	s_or_b32 exec_lo, exec_lo, s1
	s_and_saveexec_b32 s1, s8
	s_cbranch_execnz .LBB130_68
.LBB130_52:
	s_or_b32 exec_lo, exec_lo, s1
	s_and_saveexec_b32 s1, s9
	s_cbranch_execnz .LBB130_69
.LBB130_53:
	s_or_b32 exec_lo, exec_lo, s1
	s_and_saveexec_b32 s1, s10
	s_cbranch_execnz .LBB130_70
.LBB130_54:
	s_or_b32 exec_lo, exec_lo, s1
	s_and_saveexec_b32 s1, s11
	s_cbranch_execnz .LBB130_71
.LBB130_55:
	s_or_b32 exec_lo, exec_lo, s1
	s_and_saveexec_b32 s1, s12
	s_cbranch_execnz .LBB130_72
.LBB130_56:
	s_or_b32 exec_lo, exec_lo, s1
	s_and_saveexec_b32 s1, s13
	s_cbranch_execnz .LBB130_73
.LBB130_57:
	s_or_b32 exec_lo, exec_lo, s1
	s_and_saveexec_b32 s1, s14
	s_cbranch_execnz .LBB130_74
.LBB130_58:
	s_or_b32 exec_lo, exec_lo, s1
	s_and_saveexec_b32 s1, s15
	s_cbranch_execnz .LBB130_75
.LBB130_59:
	s_or_b32 exec_lo, exec_lo, s1
	s_and_saveexec_b32 s1, s0
	s_cbranch_execnz .LBB130_76
.LBB130_60:
	s_nop 0
	s_sendmsg sendmsg(MSG_DEALLOC_VGPRS)
	s_endpgm
.LBB130_61:
	ds_load_b64 v[32:33], v54
	s_waitcnt lgkmcnt(0)
	global_store_b64 v[2:3], v[32:33], off
	s_or_b32 exec_lo, exec_lo, s1
	s_and_saveexec_b32 s1, s2
	s_cbranch_execz .LBB130_46
.LBB130_62:
	s_waitcnt lgkmcnt(14)
	global_store_b64 v[2:3], v[30:31], off offset:2048
	s_or_b32 exec_lo, exec_lo, s1
	s_and_saveexec_b32 s1, s3
	s_cbranch_execz .LBB130_47
.LBB130_63:
	s_waitcnt lgkmcnt(14)
	v_add_co_u32 v30, vcc_lo, 0x1000, v2
	v_add_co_ci_u32_e32 v31, vcc_lo, 0, v3, vcc_lo
	s_waitcnt lgkmcnt(13)
	global_store_b64 v[30:31], v[28:29], off
	s_or_b32 exec_lo, exec_lo, s1
	s_and_saveexec_b32 s1, s4
	s_cbranch_execz .LBB130_48
.LBB130_64:
	s_waitcnt lgkmcnt(13)
	v_add_co_u32 v28, vcc_lo, 0x1000, v2
	v_add_co_ci_u32_e32 v29, vcc_lo, 0, v3, vcc_lo
	s_waitcnt lgkmcnt(12)
	global_store_b64 v[28:29], v[26:27], off offset:2048
	s_or_b32 exec_lo, exec_lo, s1
	s_and_saveexec_b32 s1, s5
	s_cbranch_execz .LBB130_49
.LBB130_65:
	s_waitcnt lgkmcnt(12)
	v_add_co_u32 v26, vcc_lo, 0x2000, v2
	v_add_co_ci_u32_e32 v27, vcc_lo, 0, v3, vcc_lo
	s_waitcnt lgkmcnt(11)
	global_store_b64 v[26:27], v[24:25], off
	s_or_b32 exec_lo, exec_lo, s1
	s_and_saveexec_b32 s1, s6
	s_cbranch_execz .LBB130_50
.LBB130_66:
	s_waitcnt lgkmcnt(11)
	v_add_co_u32 v24, vcc_lo, 0x2000, v2
	v_add_co_ci_u32_e32 v25, vcc_lo, 0, v3, vcc_lo
	s_waitcnt lgkmcnt(10)
	global_store_b64 v[24:25], v[22:23], off offset:2048
	s_or_b32 exec_lo, exec_lo, s1
	s_and_saveexec_b32 s1, s7
	s_cbranch_execz .LBB130_51
.LBB130_67:
	s_waitcnt lgkmcnt(10)
	v_add_co_u32 v22, vcc_lo, 0x3000, v2
	v_add_co_ci_u32_e32 v23, vcc_lo, 0, v3, vcc_lo
	s_waitcnt lgkmcnt(9)
	global_store_b64 v[22:23], v[20:21], off
	s_or_b32 exec_lo, exec_lo, s1
	s_and_saveexec_b32 s1, s8
	s_cbranch_execz .LBB130_52
.LBB130_68:
	s_waitcnt lgkmcnt(9)
	v_add_co_u32 v20, vcc_lo, 0x3000, v2
	v_add_co_ci_u32_e32 v21, vcc_lo, 0, v3, vcc_lo
	s_waitcnt lgkmcnt(8)
	global_store_b64 v[20:21], v[18:19], off offset:2048
	s_or_b32 exec_lo, exec_lo, s1
	s_and_saveexec_b32 s1, s9
	s_cbranch_execz .LBB130_53
.LBB130_69:
	s_waitcnt lgkmcnt(8)
	v_add_co_u32 v18, vcc_lo, 0x4000, v2
	v_add_co_ci_u32_e32 v19, vcc_lo, 0, v3, vcc_lo
	s_waitcnt lgkmcnt(7)
	global_store_b64 v[18:19], v[16:17], off
	s_or_b32 exec_lo, exec_lo, s1
	s_and_saveexec_b32 s1, s10
	s_cbranch_execz .LBB130_54
.LBB130_70:
	s_waitcnt lgkmcnt(7)
	v_add_co_u32 v16, vcc_lo, 0x4000, v2
	v_add_co_ci_u32_e32 v17, vcc_lo, 0, v3, vcc_lo
	s_waitcnt lgkmcnt(6)
	global_store_b64 v[16:17], v[14:15], off offset:2048
	s_or_b32 exec_lo, exec_lo, s1
	s_and_saveexec_b32 s1, s11
	s_cbranch_execz .LBB130_55
.LBB130_71:
	s_waitcnt lgkmcnt(6)
	v_add_co_u32 v14, vcc_lo, 0x5000, v2
	v_add_co_ci_u32_e32 v15, vcc_lo, 0, v3, vcc_lo
	s_waitcnt lgkmcnt(5)
	global_store_b64 v[14:15], v[12:13], off
	s_or_b32 exec_lo, exec_lo, s1
	s_and_saveexec_b32 s1, s12
	s_cbranch_execz .LBB130_56
.LBB130_72:
	s_waitcnt lgkmcnt(5)
	v_add_co_u32 v12, vcc_lo, 0x5000, v2
	v_add_co_ci_u32_e32 v13, vcc_lo, 0, v3, vcc_lo
	s_waitcnt lgkmcnt(4)
	global_store_b64 v[12:13], v[10:11], off offset:2048
	s_or_b32 exec_lo, exec_lo, s1
	s_and_saveexec_b32 s1, s13
	s_cbranch_execz .LBB130_57
.LBB130_73:
	s_waitcnt lgkmcnt(4)
	v_add_co_u32 v10, vcc_lo, 0x6000, v2
	v_add_co_ci_u32_e32 v11, vcc_lo, 0, v3, vcc_lo
	s_waitcnt lgkmcnt(3)
	global_store_b64 v[10:11], v[8:9], off
	s_or_b32 exec_lo, exec_lo, s1
	s_and_saveexec_b32 s1, s14
	s_cbranch_execz .LBB130_58
.LBB130_74:
	s_waitcnt lgkmcnt(3)
	v_add_co_u32 v8, vcc_lo, 0x6000, v2
	v_add_co_ci_u32_e32 v9, vcc_lo, 0, v3, vcc_lo
	s_waitcnt lgkmcnt(2)
	global_store_b64 v[8:9], v[6:7], off offset:2048
	s_or_b32 exec_lo, exec_lo, s1
	s_and_saveexec_b32 s1, s15
	s_cbranch_execz .LBB130_59
.LBB130_75:
	s_waitcnt lgkmcnt(2)
	v_add_co_u32 v6, vcc_lo, 0x7000, v2
	v_add_co_ci_u32_e32 v7, vcc_lo, 0, v3, vcc_lo
	s_waitcnt lgkmcnt(1)
	global_store_b64 v[6:7], v[4:5], off
	s_or_b32 exec_lo, exec_lo, s1
	s_and_saveexec_b32 s1, s0
	s_cbranch_execz .LBB130_60
.LBB130_76:
	v_add_co_u32 v2, vcc_lo, 0x7000, v2
	v_add_co_ci_u32_e32 v3, vcc_lo, 0, v3, vcc_lo
	s_waitcnt lgkmcnt(0)
	global_store_b64 v[2:3], v[0:1], off offset:2048
	s_nop 0
	s_sendmsg sendmsg(MSG_DEALLOC_VGPRS)
	s_endpgm
	.section	.rodata,"a",@progbits
	.p2align	6, 0x0
	.amdhsa_kernel _ZN7rocprim6detail18single_scan_kernelILb1ENS0_19wrapped_scan_configINS_14default_configElEEN6hipcub22TransformInputIteratorIiNS5_6CastOpIiEEPilEEPlNS5_3SumENS_12future_valueIlSB_EElEEvT1_mT4_T2_T3_
		.amdhsa_group_segment_fixed_size 33792
		.amdhsa_private_segment_fixed_size 0
		.amdhsa_kernarg_size 44
		.amdhsa_user_sgpr_count 15
		.amdhsa_user_sgpr_dispatch_ptr 0
		.amdhsa_user_sgpr_queue_ptr 0
		.amdhsa_user_sgpr_kernarg_segment_ptr 1
		.amdhsa_user_sgpr_dispatch_id 0
		.amdhsa_user_sgpr_private_segment_size 0
		.amdhsa_wavefront_size32 1
		.amdhsa_uses_dynamic_stack 0
		.amdhsa_enable_private_segment 0
		.amdhsa_system_sgpr_workgroup_id_x 1
		.amdhsa_system_sgpr_workgroup_id_y 0
		.amdhsa_system_sgpr_workgroup_id_z 0
		.amdhsa_system_sgpr_workgroup_info 0
		.amdhsa_system_vgpr_workitem_id 0
		.amdhsa_next_free_vgpr 77
		.amdhsa_next_free_sgpr 68
		.amdhsa_reserve_vcc 1
		.amdhsa_float_round_mode_32 0
		.amdhsa_float_round_mode_16_64 0
		.amdhsa_float_denorm_mode_32 3
		.amdhsa_float_denorm_mode_16_64 3
		.amdhsa_dx10_clamp 1
		.amdhsa_ieee_mode 1
		.amdhsa_fp16_overflow 0
		.amdhsa_workgroup_processor_mode 1
		.amdhsa_memory_ordered 1
		.amdhsa_forward_progress 0
		.amdhsa_shared_vgpr_count 0
		.amdhsa_exception_fp_ieee_invalid_op 0
		.amdhsa_exception_fp_denorm_src 0
		.amdhsa_exception_fp_ieee_div_zero 0
		.amdhsa_exception_fp_ieee_overflow 0
		.amdhsa_exception_fp_ieee_underflow 0
		.amdhsa_exception_fp_ieee_inexact 0
		.amdhsa_exception_int_div_zero 0
	.end_amdhsa_kernel
	.section	.text._ZN7rocprim6detail18single_scan_kernelILb1ENS0_19wrapped_scan_configINS_14default_configElEEN6hipcub22TransformInputIteratorIiNS5_6CastOpIiEEPilEEPlNS5_3SumENS_12future_valueIlSB_EElEEvT1_mT4_T2_T3_,"axG",@progbits,_ZN7rocprim6detail18single_scan_kernelILb1ENS0_19wrapped_scan_configINS_14default_configElEEN6hipcub22TransformInputIteratorIiNS5_6CastOpIiEEPilEEPlNS5_3SumENS_12future_valueIlSB_EElEEvT1_mT4_T2_T3_,comdat
.Lfunc_end130:
	.size	_ZN7rocprim6detail18single_scan_kernelILb1ENS0_19wrapped_scan_configINS_14default_configElEEN6hipcub22TransformInputIteratorIiNS5_6CastOpIiEEPilEEPlNS5_3SumENS_12future_valueIlSB_EElEEvT1_mT4_T2_T3_, .Lfunc_end130-_ZN7rocprim6detail18single_scan_kernelILb1ENS0_19wrapped_scan_configINS_14default_configElEEN6hipcub22TransformInputIteratorIiNS5_6CastOpIiEEPilEEPlNS5_3SumENS_12future_valueIlSB_EElEEvT1_mT4_T2_T3_
                                        ; -- End function
	.section	.AMDGPU.csdata,"",@progbits
; Kernel info:
; codeLenInByte = 4772
; NumSgprs: 70
; NumVgprs: 77
; ScratchSize: 0
; MemoryBound: 0
; FloatMode: 240
; IeeeMode: 1
; LDSByteSize: 33792 bytes/workgroup (compile time only)
; SGPRBlocks: 8
; VGPRBlocks: 9
; NumSGPRsForWavesPerEU: 70
; NumVGPRsForWavesPerEU: 77
; Occupancy: 6
; WaveLimiterHint : 0
; COMPUTE_PGM_RSRC2:SCRATCH_EN: 0
; COMPUTE_PGM_RSRC2:USER_SGPR: 15
; COMPUTE_PGM_RSRC2:TRAP_HANDLER: 0
; COMPUTE_PGM_RSRC2:TGID_X_EN: 1
; COMPUTE_PGM_RSRC2:TGID_Y_EN: 0
; COMPUTE_PGM_RSRC2:TGID_Z_EN: 0
; COMPUTE_PGM_RSRC2:TIDIG_COMP_CNT: 0
	.section	.text._ZL18fill_initial_valueIlEvPT_S0_,"axG",@progbits,_ZL18fill_initial_valueIlEvPT_S0_,comdat
	.globl	_ZL18fill_initial_valueIlEvPT_S0_ ; -- Begin function _ZL18fill_initial_valueIlEvPT_S0_
	.p2align	8
	.type	_ZL18fill_initial_valueIlEvPT_S0_,@function
_ZL18fill_initial_valueIlEvPT_S0_:      ; @_ZL18fill_initial_valueIlEvPT_S0_
; %bb.0:
	s_load_b128 s[0:3], s[0:1], 0x0
	s_waitcnt lgkmcnt(0)
	v_dual_mov_b32 v2, 0 :: v_dual_mov_b32 v1, s3
	v_mov_b32_e32 v0, s2
	global_store_b64 v2, v[0:1], s[0:1]
	s_nop 0
	s_sendmsg sendmsg(MSG_DEALLOC_VGPRS)
	s_endpgm
	.section	.rodata,"a",@progbits
	.p2align	6, 0x0
	.amdhsa_kernel _ZL18fill_initial_valueIlEvPT_S0_
		.amdhsa_group_segment_fixed_size 0
		.amdhsa_private_segment_fixed_size 0
		.amdhsa_kernarg_size 16
		.amdhsa_user_sgpr_count 15
		.amdhsa_user_sgpr_dispatch_ptr 0
		.amdhsa_user_sgpr_queue_ptr 0
		.amdhsa_user_sgpr_kernarg_segment_ptr 1
		.amdhsa_user_sgpr_dispatch_id 0
		.amdhsa_user_sgpr_private_segment_size 0
		.amdhsa_wavefront_size32 1
		.amdhsa_uses_dynamic_stack 0
		.amdhsa_enable_private_segment 0
		.amdhsa_system_sgpr_workgroup_id_x 1
		.amdhsa_system_sgpr_workgroup_id_y 0
		.amdhsa_system_sgpr_workgroup_id_z 0
		.amdhsa_system_sgpr_workgroup_info 0
		.amdhsa_system_vgpr_workitem_id 0
		.amdhsa_next_free_vgpr 3
		.amdhsa_next_free_sgpr 4
		.amdhsa_reserve_vcc 0
		.amdhsa_float_round_mode_32 0
		.amdhsa_float_round_mode_16_64 0
		.amdhsa_float_denorm_mode_32 3
		.amdhsa_float_denorm_mode_16_64 3
		.amdhsa_dx10_clamp 1
		.amdhsa_ieee_mode 1
		.amdhsa_fp16_overflow 0
		.amdhsa_workgroup_processor_mode 1
		.amdhsa_memory_ordered 1
		.amdhsa_forward_progress 0
		.amdhsa_shared_vgpr_count 0
		.amdhsa_exception_fp_ieee_invalid_op 0
		.amdhsa_exception_fp_denorm_src 0
		.amdhsa_exception_fp_ieee_div_zero 0
		.amdhsa_exception_fp_ieee_overflow 0
		.amdhsa_exception_fp_ieee_underflow 0
		.amdhsa_exception_fp_ieee_inexact 0
		.amdhsa_exception_int_div_zero 0
	.end_amdhsa_kernel
	.section	.text._ZL18fill_initial_valueIlEvPT_S0_,"axG",@progbits,_ZL18fill_initial_valueIlEvPT_S0_,comdat
.Lfunc_end131:
	.size	_ZL18fill_initial_valueIlEvPT_S0_, .Lfunc_end131-_ZL18fill_initial_valueIlEvPT_S0_
                                        ; -- End function
	.section	.AMDGPU.csdata,"",@progbits
; Kernel info:
; codeLenInByte = 44
; NumSgprs: 4
; NumVgprs: 3
; ScratchSize: 0
; MemoryBound: 0
; FloatMode: 240
; IeeeMode: 1
; LDSByteSize: 0 bytes/workgroup (compile time only)
; SGPRBlocks: 0
; VGPRBlocks: 0
; NumSGPRsForWavesPerEU: 4
; NumVGPRsForWavesPerEU: 3
; Occupancy: 16
; WaveLimiterHint : 0
; COMPUTE_PGM_RSRC2:SCRATCH_EN: 0
; COMPUTE_PGM_RSRC2:USER_SGPR: 15
; COMPUTE_PGM_RSRC2:TRAP_HANDLER: 0
; COMPUTE_PGM_RSRC2:TGID_X_EN: 1
; COMPUTE_PGM_RSRC2:TGID_Y_EN: 0
; COMPUTE_PGM_RSRC2:TGID_Z_EN: 0
; COMPUTE_PGM_RSRC2:TIDIG_COMP_CNT: 0
	.section	.text._ZN7rocprim6detail20lookback_scan_kernelILNS0_25lookback_scan_determinismE0ELb1ENS0_19wrapped_scan_configINS_14default_configE6__halfEEN6hipcub22TransformInputIteratorIS5_NS7_6CastOpIS5_EEPS5_lEESB_NS7_3MaxENS_12future_valueIS5_SB_EES5_NS0_19lookback_scan_stateIS5_Lb1ELb1EEEEEvT2_T3_mT5_T4_T7_jPT6_SO_bb,"axG",@progbits,_ZN7rocprim6detail20lookback_scan_kernelILNS0_25lookback_scan_determinismE0ELb1ENS0_19wrapped_scan_configINS_14default_configE6__halfEEN6hipcub22TransformInputIteratorIS5_NS7_6CastOpIS5_EEPS5_lEESB_NS7_3MaxENS_12future_valueIS5_SB_EES5_NS0_19lookback_scan_stateIS5_Lb1ELb1EEEEEvT2_T3_mT5_T4_T7_jPT6_SO_bb,comdat
	.protected	_ZN7rocprim6detail20lookback_scan_kernelILNS0_25lookback_scan_determinismE0ELb1ENS0_19wrapped_scan_configINS_14default_configE6__halfEEN6hipcub22TransformInputIteratorIS5_NS7_6CastOpIS5_EEPS5_lEESB_NS7_3MaxENS_12future_valueIS5_SB_EES5_NS0_19lookback_scan_stateIS5_Lb1ELb1EEEEEvT2_T3_mT5_T4_T7_jPT6_SO_bb ; -- Begin function _ZN7rocprim6detail20lookback_scan_kernelILNS0_25lookback_scan_determinismE0ELb1ENS0_19wrapped_scan_configINS_14default_configE6__halfEEN6hipcub22TransformInputIteratorIS5_NS7_6CastOpIS5_EEPS5_lEESB_NS7_3MaxENS_12future_valueIS5_SB_EES5_NS0_19lookback_scan_stateIS5_Lb1ELb1EEEEEvT2_T3_mT5_T4_T7_jPT6_SO_bb
	.globl	_ZN7rocprim6detail20lookback_scan_kernelILNS0_25lookback_scan_determinismE0ELb1ENS0_19wrapped_scan_configINS_14default_configE6__halfEEN6hipcub22TransformInputIteratorIS5_NS7_6CastOpIS5_EEPS5_lEESB_NS7_3MaxENS_12future_valueIS5_SB_EES5_NS0_19lookback_scan_stateIS5_Lb1ELb1EEEEEvT2_T3_mT5_T4_T7_jPT6_SO_bb
	.p2align	8
	.type	_ZN7rocprim6detail20lookback_scan_kernelILNS0_25lookback_scan_determinismE0ELb1ENS0_19wrapped_scan_configINS_14default_configE6__halfEEN6hipcub22TransformInputIteratorIS5_NS7_6CastOpIS5_EEPS5_lEESB_NS7_3MaxENS_12future_valueIS5_SB_EES5_NS0_19lookback_scan_stateIS5_Lb1ELb1EEEEEvT2_T3_mT5_T4_T7_jPT6_SO_bb,@function
_ZN7rocprim6detail20lookback_scan_kernelILNS0_25lookback_scan_determinismE0ELb1ENS0_19wrapped_scan_configINS_14default_configE6__halfEEN6hipcub22TransformInputIteratorIS5_NS7_6CastOpIS5_EEPS5_lEESB_NS7_3MaxENS_12future_valueIS5_SB_EES5_NS0_19lookback_scan_stateIS5_Lb1ELb1EEEEEvT2_T3_mT5_T4_T7_jPT6_SO_bb: ; @_ZN7rocprim6detail20lookback_scan_kernelILNS0_25lookback_scan_determinismE0ELb1ENS0_19wrapped_scan_configINS_14default_configE6__halfEEN6hipcub22TransformInputIteratorIS5_NS7_6CastOpIS5_EEPS5_lEESB_NS7_3MaxENS_12future_valueIS5_SB_EES5_NS0_19lookback_scan_stateIS5_Lb1ELb1EEEEEvT2_T3_mT5_T4_T7_jPT6_SO_bb
; %bb.0:
	s_endpgm
	.section	.rodata,"a",@progbits
	.p2align	6, 0x0
	.amdhsa_kernel _ZN7rocprim6detail20lookback_scan_kernelILNS0_25lookback_scan_determinismE0ELb1ENS0_19wrapped_scan_configINS_14default_configE6__halfEEN6hipcub22TransformInputIteratorIS5_NS7_6CastOpIS5_EEPS5_lEESB_NS7_3MaxENS_12future_valueIS5_SB_EES5_NS0_19lookback_scan_stateIS5_Lb1ELb1EEEEEvT2_T3_mT5_T4_T7_jPT6_SO_bb
		.amdhsa_group_segment_fixed_size 0
		.amdhsa_private_segment_fixed_size 0
		.amdhsa_kernarg_size 84
		.amdhsa_user_sgpr_count 15
		.amdhsa_user_sgpr_dispatch_ptr 0
		.amdhsa_user_sgpr_queue_ptr 0
		.amdhsa_user_sgpr_kernarg_segment_ptr 1
		.amdhsa_user_sgpr_dispatch_id 0
		.amdhsa_user_sgpr_private_segment_size 0
		.amdhsa_wavefront_size32 1
		.amdhsa_uses_dynamic_stack 0
		.amdhsa_enable_private_segment 0
		.amdhsa_system_sgpr_workgroup_id_x 1
		.amdhsa_system_sgpr_workgroup_id_y 0
		.amdhsa_system_sgpr_workgroup_id_z 0
		.amdhsa_system_sgpr_workgroup_info 0
		.amdhsa_system_vgpr_workitem_id 0
		.amdhsa_next_free_vgpr 1
		.amdhsa_next_free_sgpr 1
		.amdhsa_reserve_vcc 0
		.amdhsa_float_round_mode_32 0
		.amdhsa_float_round_mode_16_64 0
		.amdhsa_float_denorm_mode_32 3
		.amdhsa_float_denorm_mode_16_64 3
		.amdhsa_dx10_clamp 1
		.amdhsa_ieee_mode 1
		.amdhsa_fp16_overflow 0
		.amdhsa_workgroup_processor_mode 1
		.amdhsa_memory_ordered 1
		.amdhsa_forward_progress 0
		.amdhsa_shared_vgpr_count 0
		.amdhsa_exception_fp_ieee_invalid_op 0
		.amdhsa_exception_fp_denorm_src 0
		.amdhsa_exception_fp_ieee_div_zero 0
		.amdhsa_exception_fp_ieee_overflow 0
		.amdhsa_exception_fp_ieee_underflow 0
		.amdhsa_exception_fp_ieee_inexact 0
		.amdhsa_exception_int_div_zero 0
	.end_amdhsa_kernel
	.section	.text._ZN7rocprim6detail20lookback_scan_kernelILNS0_25lookback_scan_determinismE0ELb1ENS0_19wrapped_scan_configINS_14default_configE6__halfEEN6hipcub22TransformInputIteratorIS5_NS7_6CastOpIS5_EEPS5_lEESB_NS7_3MaxENS_12future_valueIS5_SB_EES5_NS0_19lookback_scan_stateIS5_Lb1ELb1EEEEEvT2_T3_mT5_T4_T7_jPT6_SO_bb,"axG",@progbits,_ZN7rocprim6detail20lookback_scan_kernelILNS0_25lookback_scan_determinismE0ELb1ENS0_19wrapped_scan_configINS_14default_configE6__halfEEN6hipcub22TransformInputIteratorIS5_NS7_6CastOpIS5_EEPS5_lEESB_NS7_3MaxENS_12future_valueIS5_SB_EES5_NS0_19lookback_scan_stateIS5_Lb1ELb1EEEEEvT2_T3_mT5_T4_T7_jPT6_SO_bb,comdat
.Lfunc_end132:
	.size	_ZN7rocprim6detail20lookback_scan_kernelILNS0_25lookback_scan_determinismE0ELb1ENS0_19wrapped_scan_configINS_14default_configE6__halfEEN6hipcub22TransformInputIteratorIS5_NS7_6CastOpIS5_EEPS5_lEESB_NS7_3MaxENS_12future_valueIS5_SB_EES5_NS0_19lookback_scan_stateIS5_Lb1ELb1EEEEEvT2_T3_mT5_T4_T7_jPT6_SO_bb, .Lfunc_end132-_ZN7rocprim6detail20lookback_scan_kernelILNS0_25lookback_scan_determinismE0ELb1ENS0_19wrapped_scan_configINS_14default_configE6__halfEEN6hipcub22TransformInputIteratorIS5_NS7_6CastOpIS5_EEPS5_lEESB_NS7_3MaxENS_12future_valueIS5_SB_EES5_NS0_19lookback_scan_stateIS5_Lb1ELb1EEEEEvT2_T3_mT5_T4_T7_jPT6_SO_bb
                                        ; -- End function
	.section	.AMDGPU.csdata,"",@progbits
; Kernel info:
; codeLenInByte = 4
; NumSgprs: 0
; NumVgprs: 0
; ScratchSize: 0
; MemoryBound: 0
; FloatMode: 240
; IeeeMode: 1
; LDSByteSize: 0 bytes/workgroup (compile time only)
; SGPRBlocks: 0
; VGPRBlocks: 0
; NumSGPRsForWavesPerEU: 1
; NumVGPRsForWavesPerEU: 1
; Occupancy: 16
; WaveLimiterHint : 0
; COMPUTE_PGM_RSRC2:SCRATCH_EN: 0
; COMPUTE_PGM_RSRC2:USER_SGPR: 15
; COMPUTE_PGM_RSRC2:TRAP_HANDLER: 0
; COMPUTE_PGM_RSRC2:TGID_X_EN: 1
; COMPUTE_PGM_RSRC2:TGID_Y_EN: 0
; COMPUTE_PGM_RSRC2:TGID_Z_EN: 0
; COMPUTE_PGM_RSRC2:TIDIG_COMP_CNT: 0
	.section	.text._ZN7rocprim6detail20lookback_scan_kernelILNS0_25lookback_scan_determinismE0ELb1ENS0_19wrapped_scan_configINS_14default_configE6__halfEEN6hipcub22TransformInputIteratorIS5_NS7_6CastOpIS5_EEPS5_lEESB_NS7_3MaxENS_12future_valueIS5_SB_EES5_NS0_19lookback_scan_stateIS5_Lb0ELb1EEEEEvT2_T3_mT5_T4_T7_jPT6_SO_bb,"axG",@progbits,_ZN7rocprim6detail20lookback_scan_kernelILNS0_25lookback_scan_determinismE0ELb1ENS0_19wrapped_scan_configINS_14default_configE6__halfEEN6hipcub22TransformInputIteratorIS5_NS7_6CastOpIS5_EEPS5_lEESB_NS7_3MaxENS_12future_valueIS5_SB_EES5_NS0_19lookback_scan_stateIS5_Lb0ELb1EEEEEvT2_T3_mT5_T4_T7_jPT6_SO_bb,comdat
	.protected	_ZN7rocprim6detail20lookback_scan_kernelILNS0_25lookback_scan_determinismE0ELb1ENS0_19wrapped_scan_configINS_14default_configE6__halfEEN6hipcub22TransformInputIteratorIS5_NS7_6CastOpIS5_EEPS5_lEESB_NS7_3MaxENS_12future_valueIS5_SB_EES5_NS0_19lookback_scan_stateIS5_Lb0ELb1EEEEEvT2_T3_mT5_T4_T7_jPT6_SO_bb ; -- Begin function _ZN7rocprim6detail20lookback_scan_kernelILNS0_25lookback_scan_determinismE0ELb1ENS0_19wrapped_scan_configINS_14default_configE6__halfEEN6hipcub22TransformInputIteratorIS5_NS7_6CastOpIS5_EEPS5_lEESB_NS7_3MaxENS_12future_valueIS5_SB_EES5_NS0_19lookback_scan_stateIS5_Lb0ELb1EEEEEvT2_T3_mT5_T4_T7_jPT6_SO_bb
	.globl	_ZN7rocprim6detail20lookback_scan_kernelILNS0_25lookback_scan_determinismE0ELb1ENS0_19wrapped_scan_configINS_14default_configE6__halfEEN6hipcub22TransformInputIteratorIS5_NS7_6CastOpIS5_EEPS5_lEESB_NS7_3MaxENS_12future_valueIS5_SB_EES5_NS0_19lookback_scan_stateIS5_Lb0ELb1EEEEEvT2_T3_mT5_T4_T7_jPT6_SO_bb
	.p2align	8
	.type	_ZN7rocprim6detail20lookback_scan_kernelILNS0_25lookback_scan_determinismE0ELb1ENS0_19wrapped_scan_configINS_14default_configE6__halfEEN6hipcub22TransformInputIteratorIS5_NS7_6CastOpIS5_EEPS5_lEESB_NS7_3MaxENS_12future_valueIS5_SB_EES5_NS0_19lookback_scan_stateIS5_Lb0ELb1EEEEEvT2_T3_mT5_T4_T7_jPT6_SO_bb,@function
_ZN7rocprim6detail20lookback_scan_kernelILNS0_25lookback_scan_determinismE0ELb1ENS0_19wrapped_scan_configINS_14default_configE6__halfEEN6hipcub22TransformInputIteratorIS5_NS7_6CastOpIS5_EEPS5_lEESB_NS7_3MaxENS_12future_valueIS5_SB_EES5_NS0_19lookback_scan_stateIS5_Lb0ELb1EEEEEvT2_T3_mT5_T4_T7_jPT6_SO_bb: ; @_ZN7rocprim6detail20lookback_scan_kernelILNS0_25lookback_scan_determinismE0ELb1ENS0_19wrapped_scan_configINS_14default_configE6__halfEEN6hipcub22TransformInputIteratorIS5_NS7_6CastOpIS5_EEPS5_lEESB_NS7_3MaxENS_12future_valueIS5_SB_EES5_NS0_19lookback_scan_stateIS5_Lb0ELb1EEEEEvT2_T3_mT5_T4_T7_jPT6_SO_bb
; %bb.0:
	s_clause 0x1
	s_load_b64 s[2:3], s[0:1], 0x20
	s_load_b32 s4, s[0:1], 0x38
	v_mov_b32_e32 v1, 0
	v_lshlrev_b32_e32 v15, 1, v0
	s_waitcnt lgkmcnt(0)
	global_load_u16 v17, v1, s[2:3]
	s_clause 0x1
	s_load_b128 s[16:19], s[0:1], 0x10
	s_load_b64 s[12:13], s[0:1], 0x0
	s_add_i32 s3, s4, -1
	s_mul_i32 s2, s15, 0x580
	s_mul_i32 s4, s3, 0x580
	s_waitcnt lgkmcnt(0)
	s_sub_u32 s14, s18, s4
	s_subb_u32 s20, s19, 0
	s_cmp_lg_u32 s15, s3
	s_mov_b32 s3, 0
	s_cselect_b32 s21, -1, 0
	s_lshl_b64 s[10:11], s[2:3], 1
	s_mov_b32 s3, -1
	s_add_u32 s4, s12, s10
	s_addc_u32 s5, s13, s11
	s_and_b32 vcc_lo, exec_lo, s21
	s_cbranch_vccz .LBB133_2
; %bb.1:
	s_clause 0x15
	global_load_u16 v1, v15, s[4:5]
	global_load_u16 v2, v15, s[4:5] offset:128
	global_load_u16 v3, v15, s[4:5] offset:256
	;; [unrolled: 1-line block ×21, first 2 shown]
	s_mov_b32 s3, 0
	s_waitcnt vmcnt(21)
	ds_store_b16 v15, v1
	s_waitcnt vmcnt(20)
	ds_store_b16 v15, v2 offset:128
	s_waitcnt vmcnt(19)
	ds_store_b16 v15, v3 offset:256
	;; [unrolled: 2-line block ×21, first 2 shown]
	s_waitcnt lgkmcnt(0)
	s_barrier
.LBB133_2:
	v_cmp_gt_u32_e64 s2, s14, v0
	s_and_not1_b32 vcc_lo, exec_lo, s3
	s_cbranch_vccnz .LBB133_48
; %bb.3:
	v_mov_b32_e32 v1, 0
	global_load_u16 v3, v1, s[4:5]
	v_add_co_u32 v1, s3, s4, v15
	s_delay_alu instid0(VALU_DEP_1)
	v_add_co_ci_u32_e64 v2, null, s5, 0, s3
	s_waitcnt vmcnt(0)
	v_mov_b32_e32 v4, v3
	s_and_saveexec_b32 s3, s2
	s_cbranch_execz .LBB133_5
; %bb.4:
	global_load_u16 v4, v[1:2], off
.LBB133_5:
	s_or_b32 exec_lo, exec_lo, s3
	v_or_b32_e32 v5, 64, v0
	s_delay_alu instid0(VALU_DEP_1)
	v_cmp_gt_u32_e32 vcc_lo, s14, v5
	v_mov_b32_e32 v5, v3
	s_and_saveexec_b32 s2, vcc_lo
	s_cbranch_execz .LBB133_7
; %bb.6:
	global_load_u16 v5, v[1:2], off offset:128
.LBB133_7:
	s_or_b32 exec_lo, exec_lo, s2
	v_or_b32_e32 v6, 0x80, v0
	s_delay_alu instid0(VALU_DEP_1)
	v_cmp_gt_u32_e32 vcc_lo, s14, v6
	v_mov_b32_e32 v6, v3
	s_and_saveexec_b32 s2, vcc_lo
	s_cbranch_execz .LBB133_9
; %bb.8:
	global_load_u16 v6, v[1:2], off offset:256
.LBB133_9:
	;; [unrolled: 10-line block ×20, first 2 shown]
	s_or_b32 exec_lo, exec_lo, s2
	v_or_b32_e32 v27, 0x540, v0
	s_mov_b32 s2, exec_lo
	s_delay_alu instid0(VALU_DEP_1)
	v_cmpx_gt_u32_e64 s14, v27
	s_cbranch_execz .LBB133_47
; %bb.46:
	global_load_u16 v3, v[1:2], off offset:2688
.LBB133_47:
	s_or_b32 exec_lo, exec_lo, s2
	s_waitcnt vmcnt(0)
	ds_store_b16 v15, v4
	ds_store_b16 v15, v5 offset:128
	ds_store_b16 v15, v6 offset:256
	;; [unrolled: 1-line block ×21, first 2 shown]
	s_waitcnt lgkmcnt(0)
	s_barrier
.LBB133_48:
	v_mul_u32_u24_e32 v16, 22, v0
	s_waitcnt vmcnt(0)
	buffer_gl0_inv
	s_load_b64 s[18:19], s[0:1], 0x30
	v_lshrrev_b32_e32 v30, 5, v0
	v_cmp_gt_u32_e32 vcc_lo, 32, v0
	v_lshlrev_b32_e32 v18, 1, v16
	s_cmp_lg_u32 s15, 0
	ds_load_2addr_b32 v[9:10], v18 offset1:1
	ds_load_2addr_b32 v[7:8], v18 offset0:2 offset1:3
	ds_load_2addr_b32 v[5:6], v18 offset0:4 offset1:5
	;; [unrolled: 1-line block ×4, first 2 shown]
	ds_load_b32 v19, v18 offset:40
	s_waitcnt lgkmcnt(0)
	s_barrier
	buffer_gl0_inv
	v_lshrrev_b32_e32 v29, 16, v9
	v_lshrrev_b32_e32 v28, 16, v10
	;; [unrolled: 1-line block ×11, first 2 shown]
	v_cmp_lt_f16_e64 s2, v9, v29
	s_cbranch_scc0 .LBB133_73
; %bb.49:
	s_delay_alu instid0(VALU_DEP_1) | instskip(SKIP_1) | instid1(VALU_DEP_2)
	v_cndmask_b32_e64 v11, v9, v29, s2
	v_add_lshl_u32 v12, v30, v0, 1
	v_cmp_lt_f16_e64 s2, v11, v10
	s_delay_alu instid0(VALU_DEP_1) | instskip(NEXT) | instid1(VALU_DEP_1)
	v_cndmask_b32_e64 v11, v11, v10, s2
	v_cmp_lt_f16_e64 s2, v11, v28
	s_delay_alu instid0(VALU_DEP_1) | instskip(NEXT) | instid1(VALU_DEP_1)
	v_cndmask_b32_e64 v11, v11, v28, s2
	;; [unrolled: 3-line block ×19, first 2 shown]
	v_cmp_lt_f16_e64 s2, v11, v31
	s_delay_alu instid0(VALU_DEP_1)
	v_cndmask_b32_e64 v32, v11, v31, s2
	ds_store_b16 v12, v32
	s_waitcnt lgkmcnt(0)
	s_barrier
	buffer_gl0_inv
	s_and_saveexec_b32 s5, vcc_lo
	s_cbranch_execz .LBB133_51
; %bb.50:
	v_lshrrev_b32_e32 v11, 3, v0
	v_mbcnt_lo_u32_b32 v33, -1, 0
	s_delay_alu instid0(VALU_DEP_2) | instskip(NEXT) | instid1(VALU_DEP_2)
	v_and_b32_e32 v11, 6, v11
	v_and_b32_e32 v35, 15, v33
	v_add_nc_u32_e32 v36, -1, v33
	s_delay_alu instid0(VALU_DEP_3)
	v_lshl_or_b32 v11, v0, 2, v11
	ds_load_u16 v12, v11
	ds_load_u16 v13, v11 offset:2
	v_cmp_gt_i32_e64 s4, 0, v36
	s_waitcnt lgkmcnt(0)
	v_cmp_lt_f16_e64 s2, v12, v13
	s_delay_alu instid0(VALU_DEP_1) | instskip(SKIP_1) | instid1(VALU_DEP_2)
	v_cndmask_b32_e64 v14, v12, v13, s2
	v_cmp_eq_u32_e64 s2, 0, v35
	v_and_b32_e32 v34, 0xffff, v14
	s_delay_alu instid0(VALU_DEP_1) | instskip(NEXT) | instid1(VALU_DEP_1)
	v_mov_b32_dpp v34, v34 row_shr:1 row_mask:0xf bank_mask:0xf
	v_cmp_gt_f16_e64 s3, v14, v34
	s_delay_alu instid0(VALU_DEP_1) | instskip(NEXT) | instid1(SALU_CYCLE_1)
	s_or_b32 s2, s2, s3
	v_cndmask_b32_e64 v14, v34, v14, s2
	s_delay_alu instid0(VALU_DEP_1) | instskip(NEXT) | instid1(VALU_DEP_1)
	v_and_b32_e32 v34, 0xffff, v14
	v_mov_b32_dpp v34, v34 row_shr:2 row_mask:0xf bank_mask:0xf
	s_delay_alu instid0(VALU_DEP_1) | instskip(NEXT) | instid1(VALU_DEP_1)
	v_cmp_gt_f16_e64 s2, v14, v34
	v_cndmask_b32_e64 v34, v34, v14, s2
	v_cmp_lt_u32_e64 s2, 1, v35
	s_delay_alu instid0(VALU_DEP_1) | instskip(NEXT) | instid1(VALU_DEP_1)
	v_cndmask_b32_e64 v14, v14, v34, s2
	v_and_b32_e32 v34, 0xffff, v14
	s_delay_alu instid0(VALU_DEP_1) | instskip(NEXT) | instid1(VALU_DEP_1)
	v_mov_b32_dpp v34, v34 row_shr:4 row_mask:0xf bank_mask:0xf
	v_cmp_gt_f16_e64 s2, v14, v34
	s_delay_alu instid0(VALU_DEP_1) | instskip(SKIP_1) | instid1(VALU_DEP_1)
	v_cndmask_b32_e64 v34, v34, v14, s2
	v_cmp_lt_u32_e64 s2, 3, v35
	v_cndmask_b32_e64 v14, v14, v34, s2
	s_delay_alu instid0(VALU_DEP_1) | instskip(NEXT) | instid1(VALU_DEP_1)
	v_and_b32_e32 v34, 0xffff, v14
	v_mov_b32_dpp v34, v34 row_shr:8 row_mask:0xf bank_mask:0xf
	s_delay_alu instid0(VALU_DEP_1) | instskip(NEXT) | instid1(VALU_DEP_1)
	v_cmp_gt_f16_e64 s2, v14, v34
	v_cndmask_b32_e64 v34, v34, v14, s2
	v_cmp_lt_u32_e64 s2, 7, v35
	v_and_b32_e32 v35, 16, v33
	v_cndmask_b32_e64 v33, v36, v33, s4
	s_delay_alu instid0(VALU_DEP_3) | instskip(NEXT) | instid1(VALU_DEP_3)
	v_cndmask_b32_e64 v14, v14, v34, s2
	v_cmp_eq_u32_e64 s2, 0, v35
	s_delay_alu instid0(VALU_DEP_3) | instskip(NEXT) | instid1(VALU_DEP_3)
	v_lshlrev_b32_e32 v33, 2, v33
	v_and_b32_e32 v34, 0xffff, v14
	ds_swizzle_b32 v34, v34 offset:swizzle(BROADCAST,32,15)
	s_waitcnt lgkmcnt(0)
	v_cmp_gt_f16_e64 s3, v14, v34
	s_delay_alu instid0(VALU_DEP_1) | instskip(NEXT) | instid1(SALU_CYCLE_1)
	s_or_b32 s2, s2, s3
	v_cndmask_b32_e64 v14, v34, v14, s2
	s_delay_alu instid0(VALU_DEP_1) | instskip(SKIP_3) | instid1(VALU_DEP_1)
	v_and_b32_e32 v14, 0xffff, v14
	ds_bpermute_b32 v14, v33, v14
	s_waitcnt lgkmcnt(0)
	v_cmp_gt_f16_e64 s2, v12, v14
	v_cndmask_b32_e64 v12, v14, v12, s2
	v_cmp_eq_u32_e64 s2, 0, v0
	s_delay_alu instid0(VALU_DEP_1) | instskip(NEXT) | instid1(VALU_DEP_1)
	v_cndmask_b32_e64 v12, v12, v32, s2
	v_cmp_gt_f16_e64 s2, v13, v12
	s_delay_alu instid0(VALU_DEP_1)
	v_cndmask_b32_e64 v13, v12, v13, s2
	ds_store_b16 v11, v12
	ds_store_b16 v11, v13 offset:2
.LBB133_51:
	s_or_b32 exec_lo, exec_lo, s5
	v_cmp_eq_u32_e64 s2, 0, v0
	s_mov_b32 s4, exec_lo
	s_waitcnt lgkmcnt(0)
	s_barrier
	buffer_gl0_inv
	v_cmpx_ne_u32_e32 0, v0
	s_cbranch_execz .LBB133_53
; %bb.52:
	v_add_nc_u32_e32 v11, -1, v0
	s_delay_alu instid0(VALU_DEP_1) | instskip(NEXT) | instid1(VALU_DEP_1)
	v_lshrrev_b32_e32 v12, 5, v11
	v_add_lshl_u32 v11, v12, v11, 1
	ds_load_u16 v32, v11
.LBB133_53:
	s_or_b32 exec_lo, exec_lo, s4
	s_and_saveexec_b32 s22, vcc_lo
	s_cbranch_execz .LBB133_72
; %bb.54:
	v_mov_b32_e32 v13, 0
	v_mbcnt_lo_u32_b32 v14, -1, 0
	s_mov_b32 s5, 0
	ds_load_u16 v33, v13 offset:128
	v_cmp_eq_u32_e64 s3, 0, v14
	s_delay_alu instid0(VALU_DEP_1)
	s_and_saveexec_b32 s6, s3
	s_cbranch_execz .LBB133_56
; %bb.55:
	s_waitcnt lgkmcnt(0)
	v_and_b32_e32 v11, 0xffff, v33
	s_add_i32 s4, s15, 32
	s_delay_alu instid0(SALU_CYCLE_1) | instskip(NEXT) | instid1(SALU_CYCLE_1)
	s_lshl_b64 s[4:5], s[4:5], 2
	s_add_u32 s4, s18, s4
	s_delay_alu instid0(VALU_DEP_1)
	v_or_b32_e32 v11, 0x10000, v11
	s_addc_u32 s5, s19, s5
	global_store_b32 v13, v11, s[4:5]
.LBB133_56:
	s_or_b32 exec_lo, exec_lo, s6
	v_xad_u32 v11, v14, -1, s15
	s_mov_b32 s4, exec_lo
	s_delay_alu instid0(VALU_DEP_1) | instskip(NEXT) | instid1(VALU_DEP_1)
	v_add_nc_u32_e32 v12, 32, v11
	v_lshlrev_b64 v[12:13], 2, v[12:13]
	s_delay_alu instid0(VALU_DEP_1) | instskip(NEXT) | instid1(VALU_DEP_2)
	v_add_co_u32 v12, vcc_lo, s18, v12
	v_add_co_ci_u32_e32 v13, vcc_lo, s19, v13, vcc_lo
	global_load_b32 v44, v[12:13], off glc
	s_waitcnt vmcnt(0)
	v_lshrrev_b32_e32 v34, 16, v44
	s_delay_alu instid0(VALU_DEP_1) | instskip(NEXT) | instid1(VALU_DEP_1)
	v_and_b32_e32 v35, 0xff, v34
	v_cmpx_eq_u16_e32 0, v35
	s_cbranch_execz .LBB133_60
; %bb.57:
	s_mov_b32 s5, 0
.LBB133_58:                             ; =>This Inner Loop Header: Depth=1
	global_load_b32 v44, v[12:13], off glc
	s_waitcnt vmcnt(0)
	v_lshrrev_b32_e32 v34, 16, v44
	s_delay_alu instid0(VALU_DEP_1) | instskip(NEXT) | instid1(VALU_DEP_1)
	v_and_b32_e32 v35, 0xff, v34
	v_cmp_ne_u16_e32 vcc_lo, 0, v35
	s_or_b32 s5, vcc_lo, s5
	s_delay_alu instid0(SALU_CYCLE_1)
	s_and_not1_b32 exec_lo, exec_lo, s5
	s_cbranch_execnz .LBB133_58
; %bb.59:
	s_or_b32 exec_lo, exec_lo, s5
.LBB133_60:
	s_delay_alu instid0(SALU_CYCLE_1)
	s_or_b32 exec_lo, exec_lo, s4
	v_cmp_ne_u32_e32 vcc_lo, 31, v14
	v_and_b32_e32 v13, 0xffff, v44
	v_lshlrev_b32_e64 v36, v14, -1
	v_cmp_gt_u32_e64 s4, 30, v14
	v_cmp_gt_u32_e64 s5, 24, v14
	v_add_co_ci_u32_e32 v12, vcc_lo, 0, v14, vcc_lo
	v_cmp_gt_u32_e64 s6, 16, v14
	s_delay_alu instid0(VALU_DEP_4) | instskip(SKIP_1) | instid1(VALU_DEP_4)
	v_cndmask_b32_e64 v38, 0, 1, s4
	v_cmp_gt_u32_e64 s4, 28, v14
	v_lshlrev_b32_e32 v35, 2, v12
	s_delay_alu instid0(VALU_DEP_2) | instskip(SKIP_3) | instid1(VALU_DEP_2)
	v_cndmask_b32_e64 v40, 0, 1, s4
	ds_bpermute_b32 v12, v35, v13
	v_and_b32_e32 v37, 0xff, v34
	v_lshlrev_b32_e32 v40, 2, v40
	v_cmp_eq_u16_e32 vcc_lo, 2, v37
	s_delay_alu instid0(VALU_DEP_2) | instskip(SKIP_1) | instid1(VALU_DEP_1)
	v_add_lshl_u32 v40, v40, v14, 2
	v_and_or_b32 v39, vcc_lo, v36, 0x80000000
	v_ctz_i32_b32_e32 v47, v39
	s_waitcnt lgkmcnt(0)
	v_cmp_gt_f16_e32 vcc_lo, v44, v12
	v_dual_cndmask_b32 v12, v12, v44 :: v_dual_add_nc_u32 v37, 1, v14
	s_delay_alu instid0(VALU_DEP_1) | instskip(NEXT) | instid1(VALU_DEP_2)
	v_and_b32_e32 v39, 0xffff, v12
	v_cmp_le_u32_e32 vcc_lo, v37, v47
	s_delay_alu instid0(VALU_DEP_2) | instskip(NEXT) | instid1(VALU_DEP_1)
	v_dual_cndmask_b32 v13, v13, v39 :: v_dual_lshlrev_b32 v38, 1, v38
	v_add_lshl_u32 v38, v38, v14, 2
	v_cndmask_b32_e32 v12, v44, v12, vcc_lo
	ds_bpermute_b32 v39, v38, v13
	s_waitcnt lgkmcnt(0)
	v_cmp_gt_f16_e64 s4, v12, v39
	s_delay_alu instid0(VALU_DEP_1) | instskip(SKIP_1) | instid1(VALU_DEP_2)
	v_cndmask_b32_e64 v41, v39, v12, s4
	v_add_nc_u32_e32 v39, 2, v14
	v_and_b32_e32 v42, 0xffff, v41
	s_delay_alu instid0(VALU_DEP_2) | instskip(NEXT) | instid1(VALU_DEP_1)
	v_cmp_le_u32_e64 s4, v39, v47
	v_cndmask_b32_e64 v13, v13, v42, s4
	v_cndmask_b32_e64 v12, v12, v41, s4
	;; [unrolled: 1-line block ×3, first 2 shown]
	ds_bpermute_b32 v42, v40, v13
	s_waitcnt lgkmcnt(0)
	v_cmp_gt_f16_e64 s5, v12, v42
	s_delay_alu instid0(VALU_DEP_1) | instskip(SKIP_2) | instid1(VALU_DEP_3)
	v_cndmask_b32_e64 v43, v42, v12, s5
	v_lshlrev_b32_e32 v42, 3, v41
	v_add_nc_u32_e32 v41, 4, v14
	v_and_b32_e32 v45, 0xffff, v43
	s_delay_alu instid0(VALU_DEP_3) | instskip(NEXT) | instid1(VALU_DEP_3)
	v_add_lshl_u32 v42, v42, v14, 2
	v_cmp_le_u32_e64 s5, v41, v47
	s_delay_alu instid0(VALU_DEP_1)
	v_cndmask_b32_e64 v13, v13, v45, s5
	v_cndmask_b32_e64 v12, v12, v43, s5
	;; [unrolled: 1-line block ×3, first 2 shown]
	ds_bpermute_b32 v45, v42, v13
	s_waitcnt lgkmcnt(0)
	v_cmp_gt_f16_e64 s6, v12, v45
	s_delay_alu instid0(VALU_DEP_1) | instskip(SKIP_2) | instid1(VALU_DEP_3)
	v_cndmask_b32_e64 v48, v45, v12, s6
	v_lshlrev_b32_e32 v45, 4, v43
	v_add_nc_u32_e32 v43, 8, v14
	v_and_b32_e32 v46, 0xffff, v48
	s_delay_alu instid0(VALU_DEP_3) | instskip(NEXT) | instid1(VALU_DEP_3)
	v_add_lshl_u32 v45, v45, v14, 2
	v_cmp_le_u32_e64 s6, v43, v47
	s_delay_alu instid0(VALU_DEP_1)
	v_cndmask_b32_e64 v13, v13, v46, s6
	v_add_nc_u32_e32 v46, 16, v14
	v_cndmask_b32_e64 v12, v12, v48, s6
	ds_bpermute_b32 v13, v45, v13
	v_cmp_le_u32_e64 s7, v46, v47
	v_cmp_gt_u32_e64 s8, v46, v47
	s_delay_alu instid0(VALU_DEP_2) | instskip(NEXT) | instid1(SALU_CYCLE_1)
	s_or_b32 s4, s4, s7
	s_or_b32 s4, vcc_lo, s4
	s_delay_alu instid0(SALU_CYCLE_1) | instskip(SKIP_2) | instid1(VALU_DEP_1)
	s_or_b32 s4, s5, s4
	s_waitcnt lgkmcnt(0)
	v_cmp_gt_f16_e64 s9, v12, v13
	s_or_b32 vcc_lo, s8, s9
	v_cndmask_b32_e32 v12, v13, v12, vcc_lo
	s_or_b32 vcc_lo, s6, s4
	s_delay_alu instid0(VALU_DEP_1)
	v_dual_cndmask_b32 v13, v44, v12 :: v_dual_mov_b32 v12, 0
	s_branch .LBB133_62
.LBB133_61:                             ;   in Loop: Header=BB133_62 Depth=1
	s_or_b32 exec_lo, exec_lo, s4
	v_and_b32_e32 v13, 0xffff, v47
	v_and_b32_e32 v48, 0xff, v34
	v_subrev_nc_u32_e32 v11, 32, v11
	ds_bpermute_b32 v14, v35, v13
	v_cmp_eq_u16_e32 vcc_lo, 2, v48
	v_and_or_b32 v48, vcc_lo, v36, 0x80000000
	s_delay_alu instid0(VALU_DEP_1) | instskip(NEXT) | instid1(VALU_DEP_1)
	v_ctz_i32_b32_e32 v48, v48
	v_cmp_le_u32_e64 s7, v46, v48
	v_cmp_gt_u32_e64 s8, v46, v48
	s_waitcnt lgkmcnt(0)
	v_cmp_gt_f16_e32 vcc_lo, v47, v14
	v_cndmask_b32_e32 v14, v14, v47, vcc_lo
	v_cmp_le_u32_e32 vcc_lo, v37, v48
	s_delay_alu instid0(VALU_DEP_2) | instskip(NEXT) | instid1(VALU_DEP_1)
	v_and_b32_e32 v49, 0xffff, v14
	v_dual_cndmask_b32 v14, v47, v14 :: v_dual_cndmask_b32 v13, v13, v49
	ds_bpermute_b32 v49, v38, v13
	s_waitcnt lgkmcnt(0)
	v_cmp_gt_f16_e64 s4, v14, v49
	s_delay_alu instid0(VALU_DEP_1) | instskip(SKIP_1) | instid1(VALU_DEP_2)
	v_cndmask_b32_e64 v49, v49, v14, s4
	v_cmp_le_u32_e64 s4, v39, v48
	v_and_b32_e32 v50, 0xffff, v49
	s_delay_alu instid0(VALU_DEP_2) | instskip(NEXT) | instid1(VALU_DEP_2)
	v_cndmask_b32_e64 v14, v14, v49, s4
	v_cndmask_b32_e64 v13, v13, v50, s4
	s_or_b32 s4, s4, s7
	s_delay_alu instid0(SALU_CYCLE_1) | instskip(SKIP_3) | instid1(VALU_DEP_1)
	s_or_b32 s4, vcc_lo, s4
	ds_bpermute_b32 v50, v40, v13
	s_waitcnt lgkmcnt(0)
	v_cmp_gt_f16_e64 s5, v14, v50
	v_cndmask_b32_e64 v49, v50, v14, s5
	v_cmp_le_u32_e64 s5, v41, v48
	s_delay_alu instid0(VALU_DEP_2) | instskip(NEXT) | instid1(VALU_DEP_2)
	v_and_b32_e32 v50, 0xffff, v49
	v_cndmask_b32_e64 v14, v14, v49, s5
	s_or_b32 s4, s5, s4
	s_delay_alu instid0(VALU_DEP_2) | instskip(SKIP_3) | instid1(VALU_DEP_1)
	v_cndmask_b32_e64 v13, v13, v50, s5
	ds_bpermute_b32 v50, v42, v13
	s_waitcnt lgkmcnt(0)
	v_cmp_gt_f16_e64 s6, v14, v50
	v_cndmask_b32_e64 v49, v50, v14, s6
	v_cmp_le_u32_e64 s6, v43, v48
	s_delay_alu instid0(VALU_DEP_2) | instskip(NEXT) | instid1(VALU_DEP_2)
	v_and_b32_e32 v50, 0xffff, v49
	v_cndmask_b32_e64 v14, v14, v49, s6
	s_delay_alu instid0(VALU_DEP_2) | instskip(SKIP_3) | instid1(VALU_DEP_1)
	v_cndmask_b32_e64 v13, v13, v50, s6
	ds_bpermute_b32 v13, v45, v13
	s_waitcnt lgkmcnt(0)
	v_cmp_gt_f16_e64 s9, v14, v13
	s_or_b32 vcc_lo, s8, s9
	v_cndmask_b32_e32 v13, v13, v14, vcc_lo
	s_or_b32 vcc_lo, s6, s4
	s_delay_alu instid0(VALU_DEP_1) | instskip(NEXT) | instid1(VALU_DEP_1)
	v_cndmask_b32_e32 v13, v47, v13, vcc_lo
	v_cmp_lt_f16_e32 vcc_lo, v13, v44
	v_cndmask_b32_e32 v13, v13, v44, vcc_lo
.LBB133_62:                             ; =>This Loop Header: Depth=1
                                        ;     Child Loop BB133_65 Depth 2
	v_and_b32_e32 v14, 0xff, v34
	s_delay_alu instid0(VALU_DEP_2) | instskip(NEXT) | instid1(VALU_DEP_2)
	v_mov_b32_e32 v44, v13
	v_cmp_ne_u16_e32 vcc_lo, 2, v14
	v_cndmask_b32_e64 v14, 0, 1, vcc_lo
	;;#ASMSTART
	;;#ASMEND
	s_delay_alu instid0(VALU_DEP_1)
	v_cmp_ne_u32_e32 vcc_lo, 0, v14
	s_cmp_lg_u32 vcc_lo, exec_lo
	s_cbranch_scc1 .LBB133_67
; %bb.63:                               ;   in Loop: Header=BB133_62 Depth=1
	v_lshlrev_b64 v[13:14], 2, v[11:12]
	s_mov_b32 s4, exec_lo
	s_delay_alu instid0(VALU_DEP_1) | instskip(NEXT) | instid1(VALU_DEP_2)
	v_add_co_u32 v13, vcc_lo, s18, v13
	v_add_co_ci_u32_e32 v14, vcc_lo, s19, v14, vcc_lo
	global_load_b32 v47, v[13:14], off glc
	s_waitcnt vmcnt(0)
	v_lshrrev_b32_e32 v34, 16, v47
	s_delay_alu instid0(VALU_DEP_1) | instskip(NEXT) | instid1(VALU_DEP_1)
	v_and_b32_e32 v48, 0xff, v34
	v_cmpx_eq_u16_e32 0, v48
	s_cbranch_execz .LBB133_61
; %bb.64:                               ;   in Loop: Header=BB133_62 Depth=1
	s_mov_b32 s5, 0
.LBB133_65:                             ;   Parent Loop BB133_62 Depth=1
                                        ; =>  This Inner Loop Header: Depth=2
	global_load_b32 v47, v[13:14], off glc
	s_waitcnt vmcnt(0)
	v_lshrrev_b32_e32 v34, 16, v47
	s_delay_alu instid0(VALU_DEP_1) | instskip(NEXT) | instid1(VALU_DEP_1)
	v_and_b32_e32 v48, 0xff, v34
	v_cmp_ne_u16_e32 vcc_lo, 0, v48
	s_or_b32 s5, vcc_lo, s5
	s_delay_alu instid0(SALU_CYCLE_1)
	s_and_not1_b32 exec_lo, exec_lo, s5
	s_cbranch_execnz .LBB133_65
; %bb.66:                               ;   in Loop: Header=BB133_62 Depth=1
	s_or_b32 exec_lo, exec_lo, s5
	s_branch .LBB133_61
.LBB133_67:                             ;   in Loop: Header=BB133_62 Depth=1
                                        ; implicit-def: $vgpr13
                                        ; implicit-def: $vgpr34
	s_cbranch_execz .LBB133_62
; %bb.68:
	s_and_saveexec_b32 s4, s3
	s_cbranch_execz .LBB133_70
; %bb.69:
	v_cmp_lt_f16_e32 vcc_lo, v44, v33
	s_add_i32 s6, s15, 32
	s_mov_b32 s7, 0
	v_mov_b32_e32 v12, 0
	s_lshl_b64 s[6:7], s[6:7], 2
	v_cndmask_b32_e32 v11, v44, v33, vcc_lo
	s_add_u32 s6, s18, s6
	s_addc_u32 s7, s19, s7
	s_delay_alu instid0(VALU_DEP_1) | instskip(NEXT) | instid1(VALU_DEP_1)
	v_and_b32_e32 v11, 0xffff, v11
	v_or_b32_e32 v11, 0x20000, v11
	global_store_b32 v12, v11, s[6:7]
.LBB133_70:
	s_or_b32 exec_lo, exec_lo, s4
	s_delay_alu instid0(SALU_CYCLE_1)
	s_and_b32 exec_lo, exec_lo, s2
	s_cbranch_execz .LBB133_72
; %bb.71:
	v_mov_b32_e32 v11, 0
	ds_store_b16 v11, v44
.LBB133_72:
	s_or_b32 exec_lo, exec_lo, s22
	v_mov_b32_e32 v11, 0
	s_waitcnt lgkmcnt(0)
	s_waitcnt_vscnt null, 0x0
	s_barrier
	buffer_gl0_inv
	ds_load_u16 v11, v11
	s_waitcnt lgkmcnt(0)
	v_cmp_lt_f16_e32 vcc_lo, v11, v32
	v_cndmask_b32_e32 v12, v11, v32, vcc_lo
	s_delay_alu instid0(VALU_DEP_1) | instskip(NEXT) | instid1(VALU_DEP_1)
	v_cndmask_b32_e64 v11, v12, v11, s2
	v_cmp_lt_f16_e32 vcc_lo, v11, v9
	v_cndmask_b32_e32 v12, v11, v9, vcc_lo
	s_delay_alu instid0(VALU_DEP_1) | instskip(SKIP_1) | instid1(VALU_DEP_1)
	v_cmp_lt_f16_e32 vcc_lo, v12, v29
	v_cndmask_b32_e32 v13, v12, v29, vcc_lo
	v_cmp_lt_f16_e32 vcc_lo, v13, v10
	v_cndmask_b32_e32 v14, v13, v10, vcc_lo
	s_delay_alu instid0(VALU_DEP_1) | instskip(SKIP_1) | instid1(VALU_DEP_1)
	v_cmp_lt_f16_e32 vcc_lo, v14, v28
	v_cndmask_b32_e32 v32, v14, v28, vcc_lo
	;; [unrolled: 5-line block ×10, first 2 shown]
	v_cmp_lt_f16_e32 vcc_lo, v48, v19
	v_cndmask_b32_e32 v49, v48, v19, vcc_lo
	s_load_b128 s[4:7], s[0:1], 0x40
	s_branch .LBB133_83
.LBB133_73:
                                        ; implicit-def: $vgpr11
                                        ; implicit-def: $vgpr12
                                        ; implicit-def: $vgpr13
                                        ; implicit-def: $vgpr14
                                        ; implicit-def: $vgpr32
                                        ; implicit-def: $vgpr33
                                        ; implicit-def: $vgpr34
                                        ; implicit-def: $vgpr35
                                        ; implicit-def: $vgpr36
                                        ; implicit-def: $vgpr37
                                        ; implicit-def: $vgpr38
                                        ; implicit-def: $vgpr39
                                        ; implicit-def: $vgpr40
                                        ; implicit-def: $vgpr41
                                        ; implicit-def: $vgpr42
                                        ; implicit-def: $vgpr43
                                        ; implicit-def: $vgpr44
                                        ; implicit-def: $vgpr45
                                        ; implicit-def: $vgpr46
                                        ; implicit-def: $vgpr47
                                        ; implicit-def: $vgpr48
                                        ; implicit-def: $vgpr49
	s_load_b128 s[4:7], s[0:1], 0x40
	s_cbranch_execz .LBB133_83
; %bb.74:
	s_load_b32 s2, s[0:1], 0x50
	s_waitcnt lgkmcnt(0)
	s_bitcmp0_b32 s2, 0
	s_cbranch_scc1 .LBB133_76
; %bb.75:
	v_mov_b32_e32 v11, 0
	s_clause 0x1
	global_load_u16 v12, v11, s[12:13] offset:-2
	global_load_u16 v11, v11, s[4:5]
	s_waitcnt vmcnt(0)
	v_cmp_lt_f16_e32 vcc_lo, v11, v12
	v_cndmask_b32_e32 v17, v11, v12, vcc_lo
.LBB133_76:
	v_cmp_lt_f16_e32 vcc_lo, v9, v29
	v_add_lshl_u32 v12, v30, v0, 1
	s_mov_b32 s4, exec_lo
	v_cndmask_b32_e32 v11, v9, v29, vcc_lo
	s_delay_alu instid0(VALU_DEP_1) | instskip(SKIP_1) | instid1(VALU_DEP_1)
	v_cmp_lt_f16_e32 vcc_lo, v11, v10
	v_cndmask_b32_e32 v11, v11, v10, vcc_lo
	v_cmp_lt_f16_e32 vcc_lo, v11, v28
	v_cndmask_b32_e32 v11, v11, v28, vcc_lo
	s_delay_alu instid0(VALU_DEP_1) | instskip(SKIP_1) | instid1(VALU_DEP_1)
	v_cmp_lt_f16_e32 vcc_lo, v11, v7
	v_cndmask_b32_e32 v11, v11, v7, vcc_lo
	v_cmp_lt_f16_e32 vcc_lo, v11, v27
	;; [unrolled: 5-line block ×10, first 2 shown]
	v_cndmask_b32_e32 v11, v11, v31, vcc_lo
	ds_store_b16 v12, v11
	s_waitcnt lgkmcnt(0)
	s_barrier
	buffer_gl0_inv
	v_cmpx_gt_u32_e32 32, v0
	s_cbranch_execz .LBB133_78
; %bb.77:
	v_lshrrev_b32_e32 v12, 3, v0
	v_mbcnt_lo_u32_b32 v31, -1, 0
	s_delay_alu instid0(VALU_DEP_2) | instskip(NEXT) | instid1(VALU_DEP_2)
	v_and_b32_e32 v12, 6, v12
	v_add_nc_u32_e32 v34, -1, v31
	v_and_b32_e32 v33, 15, v31
	s_delay_alu instid0(VALU_DEP_3)
	v_lshl_or_b32 v12, v0, 2, v12
	ds_load_u16 v13, v12
	ds_load_u16 v14, v12 offset:2
	v_cmp_gt_i32_e64 s3, 0, v34
	s_waitcnt lgkmcnt(0)
	v_cmp_lt_f16_e32 vcc_lo, v13, v14
	v_cndmask_b32_e32 v30, v13, v14, vcc_lo
	v_cmp_eq_u32_e32 vcc_lo, 0, v33
	s_delay_alu instid0(VALU_DEP_2) | instskip(NEXT) | instid1(VALU_DEP_1)
	v_and_b32_e32 v32, 0xffff, v30
	v_mov_b32_dpp v32, v32 row_shr:1 row_mask:0xf bank_mask:0xf
	s_delay_alu instid0(VALU_DEP_1) | instskip(NEXT) | instid1(VALU_DEP_1)
	v_cmp_gt_f16_e64 s2, v30, v32
	s_or_b32 vcc_lo, vcc_lo, s2
	v_cndmask_b32_e32 v30, v32, v30, vcc_lo
	s_delay_alu instid0(VALU_DEP_1) | instskip(NEXT) | instid1(VALU_DEP_1)
	v_and_b32_e32 v32, 0xffff, v30
	v_mov_b32_dpp v32, v32 row_shr:2 row_mask:0xf bank_mask:0xf
	s_delay_alu instid0(VALU_DEP_1) | instskip(SKIP_2) | instid1(VALU_DEP_2)
	v_cmp_gt_f16_e32 vcc_lo, v30, v32
	v_cndmask_b32_e32 v32, v32, v30, vcc_lo
	v_cmp_lt_u32_e32 vcc_lo, 1, v33
	v_cndmask_b32_e32 v30, v30, v32, vcc_lo
	s_delay_alu instid0(VALU_DEP_1) | instskip(NEXT) | instid1(VALU_DEP_1)
	v_and_b32_e32 v32, 0xffff, v30
	v_mov_b32_dpp v32, v32 row_shr:4 row_mask:0xf bank_mask:0xf
	s_delay_alu instid0(VALU_DEP_1) | instskip(SKIP_2) | instid1(VALU_DEP_2)
	v_cmp_gt_f16_e32 vcc_lo, v30, v32
	v_cndmask_b32_e32 v32, v32, v30, vcc_lo
	v_cmp_lt_u32_e32 vcc_lo, 3, v33
	v_cndmask_b32_e32 v30, v30, v32, vcc_lo
	s_delay_alu instid0(VALU_DEP_1) | instskip(NEXT) | instid1(VALU_DEP_1)
	v_and_b32_e32 v32, 0xffff, v30
	v_mov_b32_dpp v32, v32 row_shr:8 row_mask:0xf bank_mask:0xf
	s_delay_alu instid0(VALU_DEP_1) | instskip(SKIP_4) | instid1(VALU_DEP_4)
	v_cmp_gt_f16_e32 vcc_lo, v30, v32
	v_cndmask_b32_e32 v32, v32, v30, vcc_lo
	v_cmp_lt_u32_e32 vcc_lo, 7, v33
	v_and_b32_e32 v33, 16, v31
	v_cndmask_b32_e64 v31, v34, v31, s3
	v_cndmask_b32_e32 v30, v30, v32, vcc_lo
	s_delay_alu instid0(VALU_DEP_3) | instskip(NEXT) | instid1(VALU_DEP_3)
	v_cmp_eq_u32_e32 vcc_lo, 0, v33
	v_lshlrev_b32_e32 v31, 2, v31
	s_delay_alu instid0(VALU_DEP_3) | instskip(SKIP_3) | instid1(VALU_DEP_1)
	v_and_b32_e32 v32, 0xffff, v30
	ds_swizzle_b32 v32, v32 offset:swizzle(BROADCAST,32,15)
	s_waitcnt lgkmcnt(0)
	v_cmp_gt_f16_e64 s2, v30, v32
	s_or_b32 vcc_lo, vcc_lo, s2
	v_cndmask_b32_e32 v30, v32, v30, vcc_lo
	s_delay_alu instid0(VALU_DEP_1)
	v_and_b32_e32 v30, 0xffff, v30
	ds_bpermute_b32 v30, v31, v30
	s_waitcnt lgkmcnt(0)
	v_cmp_gt_f16_e32 vcc_lo, v13, v30
	v_cndmask_b32_e32 v13, v30, v13, vcc_lo
	v_cmp_eq_u32_e32 vcc_lo, 0, v0
	s_delay_alu instid0(VALU_DEP_2) | instskip(NEXT) | instid1(VALU_DEP_1)
	v_cndmask_b32_e32 v11, v13, v11, vcc_lo
	v_cmp_gt_f16_e32 vcc_lo, v14, v11
	v_cndmask_b32_e32 v13, v11, v14, vcc_lo
	ds_store_b16 v12, v11
	ds_store_b16 v12, v13 offset:2
.LBB133_78:
	s_or_b32 exec_lo, exec_lo, s4
	v_cmp_eq_u32_e32 vcc_lo, 0, v0
	v_mov_b32_e32 v11, v17
	s_mov_b32 s3, exec_lo
	s_waitcnt lgkmcnt(0)
	s_barrier
	buffer_gl0_inv
	v_cmpx_ne_u32_e32 0, v0
	s_cbranch_execz .LBB133_80
; %bb.79:
	v_add_nc_u32_e32 v11, -1, v0
	s_delay_alu instid0(VALU_DEP_1) | instskip(NEXT) | instid1(VALU_DEP_1)
	v_lshrrev_b32_e32 v12, 5, v11
	v_add_lshl_u32 v11, v12, v11, 1
	ds_load_u16 v11, v11
	s_waitcnt lgkmcnt(0)
	v_cmp_gt_f16_e64 s2, v11, v17
	s_delay_alu instid0(VALU_DEP_1)
	v_cndmask_b32_e64 v11, v17, v11, s2
.LBB133_80:
	s_or_b32 exec_lo, exec_lo, s3
	s_delay_alu instid0(VALU_DEP_1) | instskip(NEXT) | instid1(VALU_DEP_1)
	v_cmp_lt_f16_e64 s2, v11, v9
	v_cndmask_b32_e64 v12, v11, v9, s2
	s_delay_alu instid0(VALU_DEP_1) | instskip(NEXT) | instid1(VALU_DEP_1)
	v_cmp_lt_f16_e64 s2, v12, v29
	v_cndmask_b32_e64 v13, v12, v29, s2
	;; [unrolled: 3-line block ×20, first 2 shown]
	s_delay_alu instid0(VALU_DEP_1)
	v_cmp_lt_f16_e64 s2, v48, v19
	s_and_saveexec_b32 s3, vcc_lo
	s_cbranch_execz .LBB133_82
; %bb.81:
	v_mov_b32_e32 v1, 0
	ds_load_u16 v2, v1 offset:128
	s_waitcnt lgkmcnt(0)
	v_cmp_gt_f16_e32 vcc_lo, v2, v17
	v_cndmask_b32_e32 v2, v17, v2, vcc_lo
	s_delay_alu instid0(VALU_DEP_1) | instskip(NEXT) | instid1(VALU_DEP_1)
	v_and_b32_e32 v2, 0xffff, v2
	v_or_b32_e32 v2, 0x20000, v2
	global_store_b32 v1, v2, s[18:19] offset:128
.LBB133_82:
	s_or_b32 exec_lo, exec_lo, s3
	s_delay_alu instid0(VALU_DEP_1)
	v_cndmask_b32_e64 v49, v48, v19, s2
.LBB133_83:
	v_perm_b32 v4, v14, v13, 0x5040100
	v_perm_b32 v5, v12, v11, 0x5040100
	;; [unrolled: 1-line block ×11, first 2 shown]
	s_add_u32 s2, s16, s10
	s_addc_u32 s3, s17, s11
	s_and_b32 vcc_lo, exec_lo, s21
	s_waitcnt lgkmcnt(0)
	s_mov_b32 s4, -1
	s_waitcnt_vscnt null, 0x0
	s_barrier
	buffer_gl0_inv
	s_cbranch_vccz .LBB133_85
; %bb.84:
	ds_store_2addr_b32 v18, v5, v4 offset1:1
	ds_store_2addr_b32 v18, v7, v6 offset0:2 offset1:3
	ds_store_2addr_b32 v18, v9, v8 offset0:4 offset1:5
	;; [unrolled: 1-line block ×4, first 2 shown]
	ds_store_b32 v18, v3 offset:40
	s_waitcnt lgkmcnt(0)
	s_barrier
	buffer_gl0_inv
	ds_load_u16 v12, v15
	ds_load_u16 v13, v15 offset:128
	ds_load_u16 v14, v15 offset:256
	;; [unrolled: 1-line block ×21, first 2 shown]
	s_mov_b32 s4, 0
	s_waitcnt lgkmcnt(21)
	global_store_b16 v15, v12, s[2:3]
	s_waitcnt lgkmcnt(20)
	global_store_b16 v15, v13, s[2:3] offset:128
	s_waitcnt lgkmcnt(19)
	global_store_b16 v15, v14, s[2:3] offset:256
	;; [unrolled: 2-line block ×21, first 2 shown]
.LBB133_85:
	s_and_not1_b32 vcc_lo, exec_lo, s4
	s_cbranch_vccnz .LBB133_212
; %bb.86:
	v_mad_i32_i24 v27, 0xffffffd6, v0, v18
	ds_store_2addr_b32 v18, v5, v4 offset1:1
	ds_store_2addr_b32 v18, v7, v6 offset0:2 offset1:3
	ds_store_2addr_b32 v18, v9, v8 offset0:4 offset1:5
	;; [unrolled: 1-line block ×4, first 2 shown]
	ds_store_b32 v18, v3 offset:40
	s_waitcnt lgkmcnt(0)
	s_waitcnt_vscnt null, 0x0
	s_barrier
	buffer_gl0_inv
	ds_load_u16 v5, v27
	ds_load_u16 v4, v27 offset:128
	ds_load_u16 v7, v27 offset:256
	;; [unrolled: 1-line block ×21, first 2 shown]
	v_add_co_u32 v2, s2, s2, v15
	v_mov_b32_e32 v1, 0
	v_add_co_ci_u32_e64 v3, null, s3, 0, s2
	s_mov_b32 s2, exec_lo
	v_cmpx_gt_u32_e64 s14, v0
	s_cbranch_execz .LBB133_88
; %bb.87:
	s_waitcnt lgkmcnt(21)
	global_store_b16 v[2:3], v5, off
.LBB133_88:
	s_or_b32 exec_lo, exec_lo, s2
	v_or_b32_e32 v15, 64, v0
	s_mov_b32 s2, exec_lo
	s_delay_alu instid0(VALU_DEP_1)
	v_cmpx_gt_u32_e64 s14, v15
	s_cbranch_execz .LBB133_90
; %bb.89:
	s_waitcnt lgkmcnt(20)
	global_store_b16 v[2:3], v4, off offset:128
.LBB133_90:
	s_or_b32 exec_lo, exec_lo, s2
	v_or_b32_e32 v15, 0x80, v0
	s_mov_b32 s2, exec_lo
	s_delay_alu instid0(VALU_DEP_1)
	v_cmpx_gt_u32_e64 s14, v15
	s_cbranch_execz .LBB133_92
; %bb.91:
	s_waitcnt lgkmcnt(19)
	global_store_b16 v[2:3], v7, off offset:256
.LBB133_92:
	;; [unrolled: 10-line block ×21, first 2 shown]
	s_or_b32 exec_lo, exec_lo, s2
	s_load_b32 s0, s[0:1], 0x50
	s_waitcnt lgkmcnt(0)
	s_bfe_u32 s0, s0, 0x10008
	s_delay_alu instid0(SALU_CYCLE_1)
	s_cmp_eq_u32 s0, 0
	s_cbranch_scc1 .LBB133_212
; %bb.131:
	s_add_u32 s0, s14, -1
	s_addc_u32 s1, s20, -1
	s_add_u32 s2, 0, 0x2e8b0a00
	s_addc_u32 s3, 0, 42
	s_mul_hi_u32 s5, s2, 0xffffffea
	s_add_i32 s3, s3, 0xba2e890
	s_sub_i32 s5, s5, s2
	s_mul_i32 s8, s3, 0xffffffea
	s_mul_i32 s4, s2, 0xffffffea
	s_add_i32 s5, s5, s8
	s_mul_hi_u32 s9, s3, s4
	s_mul_i32 s8, s3, s4
	s_mul_i32 s10, s2, s5
	s_mul_hi_u32 s4, s2, s4
	s_mul_hi_u32 s11, s2, s5
	s_add_u32 s4, s4, s10
	s_addc_u32 s10, 0, s11
	s_mul_hi_u32 s11, s3, s5
	s_add_u32 s4, s4, s8
	s_addc_u32 s4, s10, s9
	s_mul_i32 s5, s3, s5
	s_addc_u32 s8, s11, 0
	s_add_u32 s4, s4, s5
	s_delay_alu instid0(SALU_CYCLE_1) | instskip(SKIP_2) | instid1(VALU_DEP_1)
	v_add_co_u32 v2, s2, s2, s4
	s_addc_u32 s4, 0, s8
	s_cmp_lg_u32 s2, 0
	v_readfirstlane_b32 s2, v2
	s_addc_u32 s3, s3, s4
	s_delay_alu instid0(SALU_CYCLE_1) | instskip(SKIP_1) | instid1(VALU_DEP_1)
	s_mul_i32 s4, s0, s3
	s_mul_hi_u32 s8, s0, s3
	s_mul_hi_u32 s5, s0, s2
	s_mul_i32 s9, s1, s2
	s_add_u32 s4, s5, s4
	s_addc_u32 s5, 0, s8
	s_mul_hi_u32 s2, s1, s2
	s_mul_hi_u32 s8, s1, s3
	s_add_u32 s4, s4, s9
	s_addc_u32 s2, s5, s2
	s_mul_i32 s3, s1, s3
	s_addc_u32 s4, s8, 0
	s_add_u32 s2, s2, s3
	s_addc_u32 s3, 0, s4
	s_mul_i32 s5, s2, 22
	s_add_u32 s4, s2, 1
	v_sub_co_u32 v2, s5, s0, s5
	s_addc_u32 s8, s3, 0
	s_mul_i32 s10, s3, 22
	s_mul_hi_u32 s12, s2, 22
	s_delay_alu instid0(VALU_DEP_1)
	v_sub_co_u32 v3, s11, v2, 22
	s_add_u32 s9, s2, 2
	s_addc_u32 s13, s3, 0
	s_add_i32 s12, s12, s10
	s_cmp_lg_u32 s5, 0
	v_readfirstlane_b32 s5, v3
	s_subb_u32 s10, s1, s12
	s_cmp_lg_u32 s11, 0
	s_subb_u32 s11, s10, 0
	s_delay_alu instid0(VALU_DEP_1) | instskip(SKIP_4) | instid1(SALU_CYCLE_1)
	s_cmp_gt_u32 s5, 21
	s_cselect_b32 s5, -1, 0
	s_cmp_eq_u32 s11, 0
	v_readfirstlane_b32 s11, v2
	s_cselect_b32 s5, s5, -1
	s_cmp_lg_u32 s5, 0
	s_cselect_b32 s4, s9, s4
	s_cselect_b32 s5, s13, s8
	s_cmp_gt_u32 s11, 21
	s_cselect_b32 s8, -1, 0
	s_cmp_eq_u32 s10, 0
	s_cselect_b32 s8, s8, -1
	s_delay_alu instid0(SALU_CYCLE_1) | instskip(SKIP_2) | instid1(SALU_CYCLE_1)
	s_cmp_lg_u32 s8, 0
	s_cselect_b32 s3, s5, s3
	s_cselect_b32 s2, s4, s2
	v_cmp_eq_u64_e32 vcc_lo, s[2:3], v[0:1]
	s_and_saveexec_b32 s2, vcc_lo
	s_cbranch_execz .LBB133_212
; %bb.132:
	v_mul_hi_u32_u24_e32 v1, 22, v0
	v_sub_co_u32 v0, vcc_lo, s0, v16
	s_mov_b32 s0, 0
	s_mov_b32 s2, 0
	s_delay_alu instid0(VALU_DEP_2) | instskip(SKIP_1) | instid1(VALU_DEP_1)
	v_sub_co_ci_u32_e32 v1, vcc_lo, s1, v1, vcc_lo
	s_mov_b32 s1, exec_lo
	v_cmpx_lt_i64_e32 10, v[0:1]
	s_xor_b32 s1, exec_lo, s1
	s_cbranch_execnz .LBB133_136
; %bb.133:
	s_or_saveexec_b32 s1, s1
	s_mov_b32 s3, 0
	s_xor_b32 exec_lo, exec_lo, s1
	s_cbranch_execnz .LBB133_177
.LBB133_134:
	s_or_b32 exec_lo, exec_lo, s1
	s_and_saveexec_b32 s1, s2
	s_cbranch_execnz .LBB133_188
.LBB133_135:
	s_or_b32 exec_lo, exec_lo, s1
	s_and_saveexec_b32 s1, s0
	s_cbranch_execnz .LBB133_189
	s_branch .LBB133_193
.LBB133_136:
	s_mov_b32 s3, 0
	s_mov_b32 s2, exec_lo
	v_cmpx_lt_i64_e32 15, v[0:1]
	s_xor_b32 s2, exec_lo, s2
	s_cbranch_execz .LBB133_158
; %bb.137:
	s_mov_b32 s4, exec_lo
                                        ; implicit-def: $vgpr12
	v_cmpx_lt_i64_e32 18, v[0:1]
	s_xor_b32 s4, exec_lo, s4
	s_cbranch_execz .LBB133_147
; %bb.138:
	s_mov_b32 s5, 0
	s_mov_b32 s3, exec_lo
                                        ; implicit-def: $vgpr12
	v_cmpx_lt_i64_e32 19, v[0:1]
	s_xor_b32 s3, exec_lo, s3
	s_cbranch_execz .LBB133_144
; %bb.139:
	s_mov_b32 s5, exec_lo
	v_cmpx_lt_i64_e32 20, v[0:1]
	s_xor_b32 s5, exec_lo, s5
	s_cbranch_execz .LBB133_141
; %bb.140:
	v_mov_b32_e32 v2, 0
                                        ; implicit-def: $vgpr21
	global_store_b16 v2, v27, s[6:7]
.LBB133_141:
	s_or_saveexec_b32 s5, s5
	s_mov_b32 s8, 0
	s_xor_b32 exec_lo, exec_lo, s5
; %bb.142:
	s_delay_alu instid0(SALU_CYCLE_1)
	s_mov_b32 s8, exec_lo
; %bb.143:
	s_or_b32 exec_lo, exec_lo, s5
	v_mov_b32_e32 v12, v21
	s_and_b32 s5, s8, exec_lo
                                        ; implicit-def: $vgpr26
.LBB133_144:
	s_and_not1_saveexec_b32 s3, s3
	s_cbranch_execz .LBB133_146
; %bb.145:
	v_mov_b32_e32 v2, 0
                                        ; implicit-def: $vgpr12
	global_store_b16 v2, v26, s[6:7]
.LBB133_146:
	s_or_b32 exec_lo, exec_lo, s3
	s_delay_alu instid0(SALU_CYCLE_1)
	s_and_b32 s3, s5, exec_lo
                                        ; implicit-def: $vgpr23
                                        ; implicit-def: $vgpr20
                                        ; implicit-def: $vgpr25
.LBB133_147:
	s_and_not1_saveexec_b32 s4, s4
	s_cbranch_execz .LBB133_157
; %bb.148:
	s_mov_b32 s5, exec_lo
	v_cmpx_lt_i64_e32 16, v[0:1]
	s_xor_b32 s5, exec_lo, s5
	s_cbranch_execz .LBB133_154
; %bb.149:
	s_mov_b32 s8, exec_lo
	v_cmpx_lt_i64_e32 17, v[0:1]
	s_xor_b32 s8, exec_lo, s8
	s_cbranch_execz .LBB133_151
; %bb.150:
	v_mov_b32_e32 v2, 0
                                        ; implicit-def: $vgpr20
	global_store_b16 v2, v25, s[6:7]
.LBB133_151:
	s_and_not1_saveexec_b32 s8, s8
	s_cbranch_execz .LBB133_153
; %bb.152:
	v_mov_b32_e32 v2, 0
	global_store_b16 v2, v20, s[6:7]
.LBB133_153:
	s_or_b32 exec_lo, exec_lo, s8
                                        ; implicit-def: $vgpr23
.LBB133_154:
	s_and_not1_saveexec_b32 s5, s5
	s_cbranch_execz .LBB133_156
; %bb.155:
	v_mov_b32_e32 v2, 0
	global_store_b16 v2, v23, s[6:7]
.LBB133_156:
	s_or_b32 exec_lo, exec_lo, s5
                                        ; implicit-def: $vgpr12
.LBB133_157:
	s_delay_alu instid0(SALU_CYCLE_1) | instskip(NEXT) | instid1(SALU_CYCLE_1)
	s_or_b32 exec_lo, exec_lo, s4
	s_and_b32 s3, s3, exec_lo
                                        ; implicit-def: $vgpr22
                                        ; implicit-def: $vgpr19
                                        ; implicit-def: $vgpr18
                                        ; implicit-def: $vgpr24
.LBB133_158:
	s_and_not1_saveexec_b32 s2, s2
	s_cbranch_execz .LBB133_176
; %bb.159:
	s_mov_b32 s4, exec_lo
	v_cmpx_lt_i64_e32 12, v[0:1]
	s_xor_b32 s4, exec_lo, s4
	s_cbranch_execz .LBB133_169
; %bb.160:
	s_mov_b32 s5, exec_lo
	v_cmpx_lt_i64_e32 13, v[0:1]
	s_xor_b32 s5, exec_lo, s5
	;; [unrolled: 5-line block ×3, first 2 shown]
	s_cbranch_execz .LBB133_163
; %bb.162:
	v_mov_b32_e32 v2, 0
                                        ; implicit-def: $vgpr18
	global_store_b16 v2, v24, s[6:7]
.LBB133_163:
	s_and_not1_saveexec_b32 s8, s8
	s_cbranch_execz .LBB133_165
; %bb.164:
	v_mov_b32_e32 v2, 0
	global_store_b16 v2, v18, s[6:7]
.LBB133_165:
	s_or_b32 exec_lo, exec_lo, s8
                                        ; implicit-def: $vgpr22
.LBB133_166:
	s_and_not1_saveexec_b32 s5, s5
	s_cbranch_execz .LBB133_168
; %bb.167:
	v_mov_b32_e32 v2, 0
	global_store_b16 v2, v22, s[6:7]
.LBB133_168:
	s_or_b32 exec_lo, exec_lo, s5
                                        ; implicit-def: $vgpr12
                                        ; implicit-def: $vgpr19
.LBB133_169:
	s_or_saveexec_b32 s4, s4
	s_mov_b32 s5, s3
	s_xor_b32 exec_lo, exec_lo, s4
	s_cbranch_execz .LBB133_175
; %bb.170:
	s_mov_b32 s5, exec_lo
	v_cmpx_lt_i64_e32 11, v[0:1]
	s_xor_b32 s5, exec_lo, s5
	s_cbranch_execz .LBB133_172
; %bb.171:
	v_mov_b32_e32 v2, 0
                                        ; implicit-def: $vgpr12
	global_store_b16 v2, v19, s[6:7]
.LBB133_172:
	s_or_saveexec_b32 s5, s5
	s_mov_b32 s8, s3
	s_xor_b32 exec_lo, exec_lo, s5
; %bb.173:
	s_delay_alu instid0(SALU_CYCLE_1)
	s_or_b32 s8, s3, exec_lo
; %bb.174:
	s_or_b32 exec_lo, exec_lo, s5
	s_delay_alu instid0(SALU_CYCLE_1) | instskip(SKIP_1) | instid1(SALU_CYCLE_1)
	s_and_not1_b32 s5, s3, exec_lo
	s_and_b32 s8, s8, exec_lo
	s_or_b32 s5, s5, s8
.LBB133_175:
	s_or_b32 exec_lo, exec_lo, s4
	s_delay_alu instid0(SALU_CYCLE_1) | instskip(SKIP_1) | instid1(SALU_CYCLE_1)
	s_and_not1_b32 s3, s3, exec_lo
	s_and_b32 s4, s5, exec_lo
	s_or_b32 s3, s3, s4
.LBB133_176:
	s_or_b32 exec_lo, exec_lo, s2
	s_delay_alu instid0(SALU_CYCLE_1)
	s_and_b32 s2, s3, exec_lo
                                        ; implicit-def: $vgpr14
                                        ; implicit-def: $vgpr17
                                        ; implicit-def: $vgpr13
	s_or_saveexec_b32 s1, s1
	s_mov_b32 s3, 0
	s_xor_b32 exec_lo, exec_lo, s1
	s_cbranch_execz .LBB133_134
.LBB133_177:
	s_mov_b32 s4, 0
	s_mov_b32 s3, -1
	s_mov_b32 s5, s2
	s_mov_b32 s0, exec_lo
                                        ; implicit-def: $vgpr12
	v_cmpx_lt_i64_e32 5, v[0:1]
	s_cbranch_execz .LBB133_187
; %bb.178:
	s_mov_b32 s4, -1
	s_mov_b32 s5, s2
	s_mov_b32 s3, exec_lo
	v_cmpx_lt_i64_e32 7, v[0:1]
	s_cbranch_execz .LBB133_186
; %bb.179:
	s_mov_b32 s4, exec_lo
	v_cmpx_lt_i64_e32 8, v[0:1]
	s_cbranch_execz .LBB133_185
; %bb.180:
	s_mov_b32 s5, exec_lo
	v_cmpx_lt_i64_e32 9, v[0:1]
	s_xor_b32 s5, exec_lo, s5
; %bb.181:
                                        ; implicit-def: $vgpr17
; %bb.182:
	s_delay_alu instid0(SALU_CYCLE_1)
	s_and_not1_saveexec_b32 s5, s5
; %bb.183:
	v_mov_b32_e32 v13, v17
; %bb.184:
	s_or_b32 exec_lo, exec_lo, s5
	s_delay_alu instid0(VALU_DEP_1)
	v_mov_b32_e32 v14, v13
.LBB133_185:
	s_or_b32 exec_lo, exec_lo, s4
	s_delay_alu instid0(SALU_CYCLE_1)
	s_xor_b32 s4, exec_lo, -1
	s_or_b32 s5, s2, exec_lo
.LBB133_186:
	s_or_b32 exec_lo, exec_lo, s3
	v_mov_b32_e32 v12, v14
	s_and_not1_b32 s8, s2, exec_lo
	s_and_b32 s5, s5, exec_lo
	s_xor_b32 s3, exec_lo, -1
	s_and_b32 s4, s4, exec_lo
	s_or_b32 s5, s8, s5
.LBB133_187:
	s_or_b32 exec_lo, exec_lo, s0
	s_delay_alu instid0(SALU_CYCLE_1)
	s_and_not1_b32 s2, s2, exec_lo
	s_and_b32 s5, s5, exec_lo
	s_and_b32 s3, s3, exec_lo
	;; [unrolled: 1-line block ×3, first 2 shown]
	s_or_b32 s2, s2, s5
	s_or_b32 exec_lo, exec_lo, s1
	s_and_saveexec_b32 s1, s2
	s_cbranch_execz .LBB133_135
.LBB133_188:
	v_mov_b32_e32 v2, 0
	global_store_b16 v2, v12, s[6:7]
	s_or_b32 exec_lo, exec_lo, s1
	s_and_saveexec_b32 s1, s0
	s_cbranch_execz .LBB133_193
.LBB133_189:
	s_mov_b32 s0, exec_lo
	v_cmpx_lt_i64_e32 6, v[0:1]
	s_xor_b32 s0, exec_lo, s0
	s_cbranch_execz .LBB133_191
; %bb.190:
	v_mov_b32_e32 v2, 0
                                        ; implicit-def: $vgpr10
	global_store_b16 v2, v11, s[6:7]
.LBB133_191:
	s_and_not1_saveexec_b32 s0, s0
	s_cbranch_execz .LBB133_193
; %bb.192:
	v_mov_b32_e32 v2, 0
	global_store_b16 v2, v10, s[6:7]
.LBB133_193:
	s_or_b32 exec_lo, exec_lo, s1
	s_delay_alu instid0(SALU_CYCLE_1)
	s_and_b32 exec_lo, exec_lo, s3
	s_cbranch_execz .LBB133_212
; %bb.194:
	s_mov_b32 s0, exec_lo
	v_cmpx_lt_i64_e32 2, v[0:1]
	s_xor_b32 s0, exec_lo, s0
	s_cbranch_execz .LBB133_204
; %bb.195:
	s_mov_b32 s1, exec_lo
	v_cmpx_lt_i64_e32 3, v[0:1]
	s_xor_b32 s1, exec_lo, s1
	;; [unrolled: 5-line block ×3, first 2 shown]
	s_cbranch_execz .LBB133_198
; %bb.197:
	v_mov_b32_e32 v0, 0
                                        ; implicit-def: $vgpr6
	global_store_b16 v0, v9, s[6:7]
.LBB133_198:
	s_and_not1_saveexec_b32 s2, s2
	s_cbranch_execz .LBB133_200
; %bb.199:
	v_mov_b32_e32 v0, 0
	global_store_b16 v0, v6, s[6:7]
.LBB133_200:
	s_or_b32 exec_lo, exec_lo, s2
                                        ; implicit-def: $vgpr8
.LBB133_201:
	s_and_not1_saveexec_b32 s1, s1
	s_cbranch_execz .LBB133_203
; %bb.202:
	v_mov_b32_e32 v0, 0
	global_store_b16 v0, v8, s[6:7]
.LBB133_203:
	s_or_b32 exec_lo, exec_lo, s1
                                        ; implicit-def: $vgpr0_vgpr1
                                        ; implicit-def: $vgpr7
                                        ; implicit-def: $vgpr4
                                        ; implicit-def: $vgpr5
.LBB133_204:
	s_and_not1_saveexec_b32 s0, s0
	s_cbranch_execz .LBB133_212
; %bb.205:
	s_mov_b32 s0, exec_lo
	v_cmpx_lt_i64_e32 1, v[0:1]
	s_xor_b32 s0, exec_lo, s0
	s_cbranch_execz .LBB133_207
; %bb.206:
	v_mov_b32_e32 v0, 0
                                        ; implicit-def: $vgpr4
                                        ; implicit-def: $vgpr5
	global_store_b16 v0, v7, s[6:7]
                                        ; implicit-def: $vgpr0_vgpr1
.LBB133_207:
	s_and_not1_saveexec_b32 s0, s0
	s_cbranch_execz .LBB133_212
; %bb.208:
	s_mov_b32 s0, exec_lo
	v_cmpx_ne_u64_e32 1, v[0:1]
	s_xor_b32 s0, exec_lo, s0
	s_cbranch_execz .LBB133_210
; %bb.209:
	v_mov_b32_e32 v0, 0
                                        ; implicit-def: $vgpr4
	global_store_b16 v0, v5, s[6:7]
.LBB133_210:
	s_and_not1_saveexec_b32 s0, s0
	s_cbranch_execz .LBB133_212
; %bb.211:
	v_mov_b32_e32 v0, 0
	global_store_b16 v0, v4, s[6:7]
.LBB133_212:
	s_nop 0
	s_sendmsg sendmsg(MSG_DEALLOC_VGPRS)
	s_endpgm
	.section	.rodata,"a",@progbits
	.p2align	6, 0x0
	.amdhsa_kernel _ZN7rocprim6detail20lookback_scan_kernelILNS0_25lookback_scan_determinismE0ELb1ENS0_19wrapped_scan_configINS_14default_configE6__halfEEN6hipcub22TransformInputIteratorIS5_NS7_6CastOpIS5_EEPS5_lEESB_NS7_3MaxENS_12future_valueIS5_SB_EES5_NS0_19lookback_scan_stateIS5_Lb0ELb1EEEEEvT2_T3_mT5_T4_T7_jPT6_SO_bb
		.amdhsa_group_segment_fixed_size 2816
		.amdhsa_private_segment_fixed_size 0
		.amdhsa_kernarg_size 84
		.amdhsa_user_sgpr_count 15
		.amdhsa_user_sgpr_dispatch_ptr 0
		.amdhsa_user_sgpr_queue_ptr 0
		.amdhsa_user_sgpr_kernarg_segment_ptr 1
		.amdhsa_user_sgpr_dispatch_id 0
		.amdhsa_user_sgpr_private_segment_size 0
		.amdhsa_wavefront_size32 1
		.amdhsa_uses_dynamic_stack 0
		.amdhsa_enable_private_segment 0
		.amdhsa_system_sgpr_workgroup_id_x 1
		.amdhsa_system_sgpr_workgroup_id_y 0
		.amdhsa_system_sgpr_workgroup_id_z 0
		.amdhsa_system_sgpr_workgroup_info 0
		.amdhsa_system_vgpr_workitem_id 0
		.amdhsa_next_free_vgpr 51
		.amdhsa_next_free_sgpr 23
		.amdhsa_reserve_vcc 1
		.amdhsa_float_round_mode_32 0
		.amdhsa_float_round_mode_16_64 0
		.amdhsa_float_denorm_mode_32 3
		.amdhsa_float_denorm_mode_16_64 3
		.amdhsa_dx10_clamp 1
		.amdhsa_ieee_mode 1
		.amdhsa_fp16_overflow 0
		.amdhsa_workgroup_processor_mode 1
		.amdhsa_memory_ordered 1
		.amdhsa_forward_progress 0
		.amdhsa_shared_vgpr_count 0
		.amdhsa_exception_fp_ieee_invalid_op 0
		.amdhsa_exception_fp_denorm_src 0
		.amdhsa_exception_fp_ieee_div_zero 0
		.amdhsa_exception_fp_ieee_overflow 0
		.amdhsa_exception_fp_ieee_underflow 0
		.amdhsa_exception_fp_ieee_inexact 0
		.amdhsa_exception_int_div_zero 0
	.end_amdhsa_kernel
	.section	.text._ZN7rocprim6detail20lookback_scan_kernelILNS0_25lookback_scan_determinismE0ELb1ENS0_19wrapped_scan_configINS_14default_configE6__halfEEN6hipcub22TransformInputIteratorIS5_NS7_6CastOpIS5_EEPS5_lEESB_NS7_3MaxENS_12future_valueIS5_SB_EES5_NS0_19lookback_scan_stateIS5_Lb0ELb1EEEEEvT2_T3_mT5_T4_T7_jPT6_SO_bb,"axG",@progbits,_ZN7rocprim6detail20lookback_scan_kernelILNS0_25lookback_scan_determinismE0ELb1ENS0_19wrapped_scan_configINS_14default_configE6__halfEEN6hipcub22TransformInputIteratorIS5_NS7_6CastOpIS5_EEPS5_lEESB_NS7_3MaxENS_12future_valueIS5_SB_EES5_NS0_19lookback_scan_stateIS5_Lb0ELb1EEEEEvT2_T3_mT5_T4_T7_jPT6_SO_bb,comdat
.Lfunc_end133:
	.size	_ZN7rocprim6detail20lookback_scan_kernelILNS0_25lookback_scan_determinismE0ELb1ENS0_19wrapped_scan_configINS_14default_configE6__halfEEN6hipcub22TransformInputIteratorIS5_NS7_6CastOpIS5_EEPS5_lEESB_NS7_3MaxENS_12future_valueIS5_SB_EES5_NS0_19lookback_scan_stateIS5_Lb0ELb1EEEEEvT2_T3_mT5_T4_T7_jPT6_SO_bb, .Lfunc_end133-_ZN7rocprim6detail20lookback_scan_kernelILNS0_25lookback_scan_determinismE0ELb1ENS0_19wrapped_scan_configINS_14default_configE6__halfEEN6hipcub22TransformInputIteratorIS5_NS7_6CastOpIS5_EEPS5_lEESB_NS7_3MaxENS_12future_valueIS5_SB_EES5_NS0_19lookback_scan_stateIS5_Lb0ELb1EEEEEvT2_T3_mT5_T4_T7_jPT6_SO_bb
                                        ; -- End function
	.section	.AMDGPU.csdata,"",@progbits
; Kernel info:
; codeLenInByte = 9220
; NumSgprs: 25
; NumVgprs: 51
; ScratchSize: 0
; MemoryBound: 0
; FloatMode: 240
; IeeeMode: 1
; LDSByteSize: 2816 bytes/workgroup (compile time only)
; SGPRBlocks: 3
; VGPRBlocks: 6
; NumSGPRsForWavesPerEU: 25
; NumVGPRsForWavesPerEU: 51
; Occupancy: 16
; WaveLimiterHint : 1
; COMPUTE_PGM_RSRC2:SCRATCH_EN: 0
; COMPUTE_PGM_RSRC2:USER_SGPR: 15
; COMPUTE_PGM_RSRC2:TRAP_HANDLER: 0
; COMPUTE_PGM_RSRC2:TGID_X_EN: 1
; COMPUTE_PGM_RSRC2:TGID_Y_EN: 0
; COMPUTE_PGM_RSRC2:TGID_Z_EN: 0
; COMPUTE_PGM_RSRC2:TIDIG_COMP_CNT: 0
	.section	.text._ZN7rocprim6detail18single_scan_kernelILb1ENS0_19wrapped_scan_configINS_14default_configE6__halfEEN6hipcub22TransformInputIteratorIS4_NS6_6CastOpIS4_EEPS4_lEESA_NS6_3MaxENS_12future_valueIS4_SA_EES4_EEvT1_mT4_T2_T3_,"axG",@progbits,_ZN7rocprim6detail18single_scan_kernelILb1ENS0_19wrapped_scan_configINS_14default_configE6__halfEEN6hipcub22TransformInputIteratorIS4_NS6_6CastOpIS4_EEPS4_lEESA_NS6_3MaxENS_12future_valueIS4_SA_EES4_EEvT1_mT4_T2_T3_,comdat
	.protected	_ZN7rocprim6detail18single_scan_kernelILb1ENS0_19wrapped_scan_configINS_14default_configE6__halfEEN6hipcub22TransformInputIteratorIS4_NS6_6CastOpIS4_EEPS4_lEESA_NS6_3MaxENS_12future_valueIS4_SA_EES4_EEvT1_mT4_T2_T3_ ; -- Begin function _ZN7rocprim6detail18single_scan_kernelILb1ENS0_19wrapped_scan_configINS_14default_configE6__halfEEN6hipcub22TransformInputIteratorIS4_NS6_6CastOpIS4_EEPS4_lEESA_NS6_3MaxENS_12future_valueIS4_SA_EES4_EEvT1_mT4_T2_T3_
	.globl	_ZN7rocprim6detail18single_scan_kernelILb1ENS0_19wrapped_scan_configINS_14default_configE6__halfEEN6hipcub22TransformInputIteratorIS4_NS6_6CastOpIS4_EEPS4_lEESA_NS6_3MaxENS_12future_valueIS4_SA_EES4_EEvT1_mT4_T2_T3_
	.p2align	8
	.type	_ZN7rocprim6detail18single_scan_kernelILb1ENS0_19wrapped_scan_configINS_14default_configE6__halfEEN6hipcub22TransformInputIteratorIS4_NS6_6CastOpIS4_EEPS4_lEESA_NS6_3MaxENS_12future_valueIS4_SA_EES4_EEvT1_mT4_T2_T3_,@function
_ZN7rocprim6detail18single_scan_kernelILb1ENS0_19wrapped_scan_configINS_14default_configE6__halfEEN6hipcub22TransformInputIteratorIS4_NS6_6CastOpIS4_EEPS4_lEESA_NS6_3MaxENS_12future_valueIS4_SA_EES4_EEvT1_mT4_T2_T3_: ; @_ZN7rocprim6detail18single_scan_kernelILb1ENS0_19wrapped_scan_configINS_14default_configE6__halfEEN6hipcub22TransformInputIteratorIS4_NS6_6CastOpIS4_EEPS4_lEESA_NS6_3MaxENS_12future_valueIS4_SA_EES4_EEvT1_mT4_T2_T3_
; %bb.0:
	s_clause 0x1
	s_load_b64 s[2:3], s[0:1], 0x0
	s_load_b128 s[24:27], s[0:1], 0x10
	v_mov_b32_e32 v1, 0
	v_lshlrev_b32_e32 v11, 1, v0
	s_waitcnt lgkmcnt(0)
	s_clause 0x1
	global_load_u16 v3, v1, s[2:3]
	global_load_u16 v12, v1, s[26:27]
	v_add_co_u32 v1, s2, s2, v11
	s_delay_alu instid0(VALU_DEP_1)
	v_add_co_ci_u32_e64 v2, null, s3, 0, s2
	v_cmp_gt_u32_e32 vcc_lo, s24, v0
	s_waitcnt vmcnt(1)
	v_mov_b32_e32 v4, v3
	s_and_saveexec_b32 s2, vcc_lo
	s_cbranch_execz .LBB134_2
; %bb.1:
	global_load_u16 v4, v[1:2], off
.LBB134_2:
	s_or_b32 exec_lo, exec_lo, s2
	v_or_b32_e32 v5, 64, v0
	s_delay_alu instid0(VALU_DEP_1) | instskip(SKIP_1) | instid1(VALU_DEP_2)
	v_cmp_gt_u32_e64 s2, s24, v5
	v_mov_b32_e32 v5, v3
	s_and_saveexec_b32 s3, s2
	s_cbranch_execz .LBB134_4
; %bb.3:
	global_load_u16 v5, v[1:2], off offset:128
.LBB134_4:
	s_or_b32 exec_lo, exec_lo, s3
	v_or_b32_e32 v6, 0x80, v0
	s_delay_alu instid0(VALU_DEP_1) | instskip(SKIP_1) | instid1(VALU_DEP_2)
	v_cmp_gt_u32_e64 s3, s24, v6
	v_mov_b32_e32 v6, v3
	s_and_saveexec_b32 s4, s3
	s_cbranch_execz .LBB134_6
; %bb.5:
	global_load_u16 v6, v[1:2], off offset:256
.LBB134_6:
	;; [unrolled: 10-line block ×20, first 2 shown]
	s_or_b32 exec_lo, exec_lo, s22
	s_load_b64 s[26:27], s[0:1], 0x20
	v_or_b32_e32 v27, 0x540, v0
	s_delay_alu instid0(VALU_DEP_1) | instskip(NEXT) | instid1(VALU_DEP_1)
	v_cmp_gt_u32_e64 s0, s24, v27
	s_and_saveexec_b32 s1, s0
	s_cbranch_execz .LBB134_44
; %bb.43:
	global_load_u16 v3, v[1:2], off offset:2688
.LBB134_44:
	s_or_b32 exec_lo, exec_lo, s1
	s_waitcnt vmcnt(0)
	ds_store_b16 v11, v4
	ds_store_b16 v11, v5 offset:128
	ds_store_b16 v11, v6 offset:256
	;; [unrolled: 1-line block ×15, first 2 shown]
	v_mad_u32_u24 v13, v0, 42, v11
	ds_store_b16 v11, v22 offset:2048
	ds_store_b16 v11, v23 offset:2176
	;; [unrolled: 1-line block ×6, first 2 shown]
	s_waitcnt lgkmcnt(0)
	s_barrier
	buffer_gl0_inv
	ds_load_2addr_b32 v[7:8], v13 offset1:1
	ds_load_2addr_b32 v[5:6], v13 offset0:2 offset1:3
	ds_load_2addr_b32 v[3:4], v13 offset0:4 offset1:5
	ds_load_2addr_b32 v[1:2], v13 offset0:6 offset1:7
	v_lshrrev_b32_e32 v26, 4, v0
	s_mov_b32 s24, exec_lo
	s_delay_alu instid0(VALU_DEP_1) | instskip(NEXT) | instid1(VALU_DEP_1)
	v_and_b32_e32 v26, 2, v26
	v_add_nc_u32_e32 v26, v11, v26
	s_waitcnt lgkmcnt(3)
	v_lshrrev_b32_e32 v16, 16, v7
	v_lshrrev_b32_e32 v17, 16, v8
	s_waitcnt lgkmcnt(2)
	v_lshrrev_b32_e32 v18, 16, v5
	v_lshrrev_b32_e32 v19, 16, v6
	s_waitcnt lgkmcnt(1)
	v_lshrrev_b32_e32 v20, 16, v3
	v_cmp_lt_f16_e64 s1, v7, v16
	v_lshrrev_b32_e32 v21, 16, v4
	s_waitcnt lgkmcnt(0)
	v_lshrrev_b32_e32 v22, 16, v1
	v_lshrrev_b32_e32 v23, 16, v2
	v_cndmask_b32_e64 v9, v7, v16, s1
	s_delay_alu instid0(VALU_DEP_1) | instskip(NEXT) | instid1(VALU_DEP_1)
	v_cmp_lt_f16_e64 s1, v9, v8
	v_cndmask_b32_e64 v9, v9, v8, s1
	s_delay_alu instid0(VALU_DEP_1) | instskip(NEXT) | instid1(VALU_DEP_1)
	v_cmp_lt_f16_e64 s1, v9, v17
	;; [unrolled: 3-line block ×11, first 2 shown]
	v_cndmask_b32_e64 v14, v9, v1, s1
	ds_load_2addr_b32 v[9:10], v13 offset0:8 offset1:9
	v_cmp_lt_f16_e64 s1, v14, v22
	s_delay_alu instid0(VALU_DEP_1) | instskip(NEXT) | instid1(VALU_DEP_1)
	v_cndmask_b32_e64 v14, v14, v22, s1
	v_cmp_lt_f16_e64 s1, v14, v2
	s_delay_alu instid0(VALU_DEP_1) | instskip(NEXT) | instid1(VALU_DEP_1)
	v_cndmask_b32_e64 v14, v14, v2, s1
	v_cmp_lt_f16_e64 s1, v14, v23
	s_delay_alu instid0(VALU_DEP_1)
	v_cndmask_b32_e64 v15, v14, v23, s1
	ds_load_b32 v14, v13 offset:40
	s_waitcnt lgkmcnt(1)
	v_lshrrev_b32_e32 v24, 16, v9
	s_waitcnt lgkmcnt(0)
	s_barrier
	v_cmp_lt_f16_e64 s1, v15, v9
	buffer_gl0_inv
	v_cndmask_b32_e64 v15, v15, v9, s1
	s_delay_alu instid0(VALU_DEP_1) | instskip(NEXT) | instid1(VALU_DEP_1)
	v_cmp_lt_f16_e64 s1, v15, v24
	v_cndmask_b32_e64 v25, v15, v24, s1
	v_lshrrev_b32_e32 v15, 16, v10
	v_lshrrev_b32_e32 v27, 16, v14
	s_delay_alu instid0(VALU_DEP_3) | instskip(NEXT) | instid1(VALU_DEP_1)
	v_cmp_lt_f16_e64 s1, v25, v10
	v_cndmask_b32_e64 v25, v25, v10, s1
	s_delay_alu instid0(VALU_DEP_1) | instskip(NEXT) | instid1(VALU_DEP_1)
	v_cmp_lt_f16_e64 s1, v25, v15
	v_cndmask_b32_e64 v25, v25, v15, s1
	s_delay_alu instid0(VALU_DEP_1) | instskip(NEXT) | instid1(VALU_DEP_1)
	;; [unrolled: 3-line block ×3, first 2 shown]
	v_cmp_lt_f16_e64 s1, v25, v27
	v_cndmask_b32_e64 v25, v25, v27, s1
	ds_store_b16 v26, v25
	s_waitcnt lgkmcnt(0)
	s_barrier
	buffer_gl0_inv
	v_cmpx_gt_u32_e32 32, v0
	s_cbranch_execz .LBB134_46
; %bb.45:
	v_lshrrev_b32_e32 v26, 3, v0
	v_mbcnt_lo_u32_b32 v30, -1, 0
	s_delay_alu instid0(VALU_DEP_2) | instskip(NEXT) | instid1(VALU_DEP_2)
	v_and_b32_e32 v26, 6, v26
	v_and_b32_e32 v32, 15, v30
	v_add_nc_u32_e32 v33, -1, v30
	s_delay_alu instid0(VALU_DEP_3)
	v_lshl_or_b32 v26, v0, 2, v26
	ds_load_u16 v27, v26
	ds_load_u16 v28, v26 offset:2
	v_cmp_gt_i32_e64 s23, 0, v33
	s_waitcnt lgkmcnt(0)
	v_cmp_lt_f16_e64 s1, v27, v28
	s_delay_alu instid0(VALU_DEP_1) | instskip(SKIP_1) | instid1(VALU_DEP_2)
	v_cndmask_b32_e64 v29, v27, v28, s1
	v_cmp_eq_u32_e64 s1, 0, v32
	v_and_b32_e32 v31, 0xffff, v29
	s_delay_alu instid0(VALU_DEP_1) | instskip(NEXT) | instid1(VALU_DEP_1)
	v_mov_b32_dpp v31, v31 row_shr:1 row_mask:0xf bank_mask:0xf
	v_cmp_gt_f16_e64 s22, v29, v31
	s_delay_alu instid0(VALU_DEP_1) | instskip(NEXT) | instid1(SALU_CYCLE_1)
	s_or_b32 s1, s1, s22
	v_cndmask_b32_e64 v29, v31, v29, s1
	s_delay_alu instid0(VALU_DEP_1) | instskip(NEXT) | instid1(VALU_DEP_1)
	v_and_b32_e32 v31, 0xffff, v29
	v_mov_b32_dpp v31, v31 row_shr:2 row_mask:0xf bank_mask:0xf
	s_delay_alu instid0(VALU_DEP_1) | instskip(NEXT) | instid1(VALU_DEP_1)
	v_cmp_gt_f16_e64 s1, v29, v31
	v_cndmask_b32_e64 v31, v31, v29, s1
	v_cmp_lt_u32_e64 s1, 1, v32
	s_delay_alu instid0(VALU_DEP_1) | instskip(NEXT) | instid1(VALU_DEP_1)
	v_cndmask_b32_e64 v29, v29, v31, s1
	v_and_b32_e32 v31, 0xffff, v29
	s_delay_alu instid0(VALU_DEP_1) | instskip(NEXT) | instid1(VALU_DEP_1)
	v_mov_b32_dpp v31, v31 row_shr:4 row_mask:0xf bank_mask:0xf
	v_cmp_gt_f16_e64 s1, v29, v31
	s_delay_alu instid0(VALU_DEP_1) | instskip(SKIP_1) | instid1(VALU_DEP_1)
	v_cndmask_b32_e64 v31, v31, v29, s1
	v_cmp_lt_u32_e64 s1, 3, v32
	v_cndmask_b32_e64 v29, v29, v31, s1
	s_delay_alu instid0(VALU_DEP_1) | instskip(NEXT) | instid1(VALU_DEP_1)
	v_and_b32_e32 v31, 0xffff, v29
	v_mov_b32_dpp v31, v31 row_shr:8 row_mask:0xf bank_mask:0xf
	s_delay_alu instid0(VALU_DEP_1) | instskip(NEXT) | instid1(VALU_DEP_1)
	v_cmp_gt_f16_e64 s1, v29, v31
	v_cndmask_b32_e64 v31, v31, v29, s1
	v_cmp_lt_u32_e64 s1, 7, v32
	v_and_b32_e32 v32, 16, v30
	v_cndmask_b32_e64 v30, v33, v30, s23
	s_delay_alu instid0(VALU_DEP_3) | instskip(NEXT) | instid1(VALU_DEP_3)
	v_cndmask_b32_e64 v29, v29, v31, s1
	v_cmp_eq_u32_e64 s1, 0, v32
	s_delay_alu instid0(VALU_DEP_3) | instskip(NEXT) | instid1(VALU_DEP_3)
	v_lshlrev_b32_e32 v30, 2, v30
	v_and_b32_e32 v31, 0xffff, v29
	ds_swizzle_b32 v31, v31 offset:swizzle(BROADCAST,32,15)
	s_waitcnt lgkmcnt(0)
	v_cmp_gt_f16_e64 s22, v29, v31
	s_delay_alu instid0(VALU_DEP_1) | instskip(NEXT) | instid1(SALU_CYCLE_1)
	s_or_b32 s1, s1, s22
	v_cndmask_b32_e64 v29, v31, v29, s1
	s_delay_alu instid0(VALU_DEP_1) | instskip(SKIP_3) | instid1(VALU_DEP_1)
	v_and_b32_e32 v29, 0xffff, v29
	ds_bpermute_b32 v29, v30, v29
	s_waitcnt lgkmcnt(0)
	v_cmp_gt_f16_e64 s1, v27, v29
	v_cndmask_b32_e64 v27, v29, v27, s1
	v_cmp_eq_u32_e64 s1, 0, v0
	s_delay_alu instid0(VALU_DEP_1) | instskip(NEXT) | instid1(VALU_DEP_1)
	v_cndmask_b32_e64 v25, v27, v25, s1
	v_cmp_gt_f16_e64 s1, v28, v25
	s_delay_alu instid0(VALU_DEP_1)
	v_cndmask_b32_e64 v27, v25, v28, s1
	ds_store_b16 v26, v25
	ds_store_b16 v26, v27 offset:2
.LBB134_46:
	s_or_b32 exec_lo, exec_lo, s24
	s_delay_alu instid0(SALU_CYCLE_1)
	s_mov_b32 s22, exec_lo
	s_waitcnt lgkmcnt(0)
	s_barrier
	buffer_gl0_inv
	v_cmpx_ne_u32_e32 0, v0
	s_cbranch_execz .LBB134_48
; %bb.47:
	v_add_nc_u32_e32 v25, -1, v0
	s_delay_alu instid0(VALU_DEP_1) | instskip(NEXT) | instid1(VALU_DEP_1)
	v_lshrrev_b32_e32 v26, 5, v25
	v_add_lshl_u32 v25, v26, v25, 1
	ds_load_u16 v25, v25
	s_waitcnt lgkmcnt(0)
	v_cmp_gt_f16_e64 s1, v25, v12
	s_delay_alu instid0(VALU_DEP_1)
	v_cndmask_b32_e64 v12, v12, v25, s1
.LBB134_48:
	s_or_b32 exec_lo, exec_lo, s22
	s_delay_alu instid0(VALU_DEP_1) | instskip(SKIP_4) | instid1(VALU_DEP_1)
	v_cmp_lt_f16_e64 s1, v12, v7
	v_mad_i32_i24 v0, 0xffffffd6, v0, v13
	s_barrier
	buffer_gl0_inv
	v_cndmask_b32_e64 v7, v12, v7, s1
	v_cmp_lt_f16_e64 s1, v7, v16
	s_delay_alu instid0(VALU_DEP_1) | instskip(SKIP_1) | instid1(VALU_DEP_2)
	v_cndmask_b32_e64 v16, v7, v16, s1
	v_perm_b32 v7, v7, v12, 0x5040100
	v_cmp_lt_f16_e64 s1, v16, v8
	s_delay_alu instid0(VALU_DEP_1) | instskip(NEXT) | instid1(VALU_DEP_1)
	v_cndmask_b32_e64 v8, v16, v8, s1
	v_cmp_lt_f16_e64 s1, v8, v17
	s_delay_alu instid0(VALU_DEP_1) | instskip(SKIP_1) | instid1(VALU_DEP_2)
	v_cndmask_b32_e64 v17, v8, v17, s1
	v_perm_b32 v8, v8, v16, 0x5040100
	v_cmp_lt_f16_e64 s1, v17, v5
	s_delay_alu instid0(VALU_DEP_1) | instskip(NEXT) | instid1(VALU_DEP_1)
	;; [unrolled: 7-line block ×10, first 2 shown]
	v_cndmask_b32_e64 v14, v12, v14, s1
	v_perm_b32 v12, v14, v12, 0x5040100
	ds_store_2addr_b32 v13, v7, v8 offset1:1
	ds_store_2addr_b32 v13, v5, v6 offset0:2 offset1:3
	ds_store_2addr_b32 v13, v3, v4 offset0:4 offset1:5
	;; [unrolled: 1-line block ×4, first 2 shown]
	ds_store_b32 v13, v12 offset:40
	s_waitcnt lgkmcnt(0)
	s_barrier
	buffer_gl0_inv
	ds_load_u16 v22, v0 offset:256
	ds_load_u16 v21, v0 offset:384
	;; [unrolled: 1-line block ×21, first 2 shown]
	v_add_co_u32 v0, s1, s26, v11
	s_delay_alu instid0(VALU_DEP_1)
	v_add_co_ci_u32_e64 v1, null, s27, 0, s1
	s_and_saveexec_b32 s1, vcc_lo
	s_cbranch_execnz .LBB134_71
; %bb.49:
	s_or_b32 exec_lo, exec_lo, s1
	s_and_saveexec_b32 s1, s2
	s_cbranch_execnz .LBB134_72
.LBB134_50:
	s_or_b32 exec_lo, exec_lo, s1
	s_and_saveexec_b32 s1, s3
	s_cbranch_execnz .LBB134_73
.LBB134_51:
	s_or_b32 exec_lo, exec_lo, s1
	s_and_saveexec_b32 s1, s4
	s_cbranch_execnz .LBB134_74
.LBB134_52:
	s_or_b32 exec_lo, exec_lo, s1
	s_and_saveexec_b32 s1, s5
	s_cbranch_execnz .LBB134_75
.LBB134_53:
	s_or_b32 exec_lo, exec_lo, s1
	s_and_saveexec_b32 s1, s6
	s_cbranch_execnz .LBB134_76
.LBB134_54:
	s_or_b32 exec_lo, exec_lo, s1
	s_and_saveexec_b32 s1, s7
	s_cbranch_execnz .LBB134_77
.LBB134_55:
	s_or_b32 exec_lo, exec_lo, s1
	s_and_saveexec_b32 s1, s8
	s_cbranch_execnz .LBB134_78
.LBB134_56:
	s_or_b32 exec_lo, exec_lo, s1
	s_and_saveexec_b32 s1, s9
	s_cbranch_execnz .LBB134_79
.LBB134_57:
	s_or_b32 exec_lo, exec_lo, s1
	s_and_saveexec_b32 s1, s10
	s_cbranch_execnz .LBB134_80
.LBB134_58:
	s_or_b32 exec_lo, exec_lo, s1
	s_and_saveexec_b32 s1, s11
	s_cbranch_execnz .LBB134_81
.LBB134_59:
	s_or_b32 exec_lo, exec_lo, s1
	s_and_saveexec_b32 s1, s12
	s_cbranch_execnz .LBB134_82
.LBB134_60:
	s_or_b32 exec_lo, exec_lo, s1
	s_and_saveexec_b32 s1, s13
	s_cbranch_execnz .LBB134_83
.LBB134_61:
	s_or_b32 exec_lo, exec_lo, s1
	s_and_saveexec_b32 s1, s14
	s_cbranch_execnz .LBB134_84
.LBB134_62:
	s_or_b32 exec_lo, exec_lo, s1
	s_and_saveexec_b32 s1, s15
	s_cbranch_execnz .LBB134_85
.LBB134_63:
	s_or_b32 exec_lo, exec_lo, s1
	s_and_saveexec_b32 s1, s16
	s_cbranch_execnz .LBB134_86
.LBB134_64:
	s_or_b32 exec_lo, exec_lo, s1
	s_and_saveexec_b32 s1, s17
	s_cbranch_execnz .LBB134_87
.LBB134_65:
	s_or_b32 exec_lo, exec_lo, s1
	s_and_saveexec_b32 s1, s18
	s_cbranch_execnz .LBB134_88
.LBB134_66:
	s_or_b32 exec_lo, exec_lo, s1
	s_and_saveexec_b32 s1, s19
	s_cbranch_execnz .LBB134_89
.LBB134_67:
	s_or_b32 exec_lo, exec_lo, s1
	s_and_saveexec_b32 s1, s20
	s_cbranch_execnz .LBB134_90
.LBB134_68:
	s_or_b32 exec_lo, exec_lo, s1
	s_and_saveexec_b32 s1, s21
	s_cbranch_execnz .LBB134_91
.LBB134_69:
	s_or_b32 exec_lo, exec_lo, s1
	s_and_saveexec_b32 s1, s0
	s_cbranch_execnz .LBB134_92
.LBB134_70:
	s_nop 0
	s_sendmsg sendmsg(MSG_DEALLOC_VGPRS)
	s_endpgm
.LBB134_71:
	ds_load_u16 v11, v11
	s_waitcnt lgkmcnt(0)
	global_store_b16 v[0:1], v11, off
	s_or_b32 exec_lo, exec_lo, s1
	s_and_saveexec_b32 s1, s2
	s_cbranch_execz .LBB134_50
.LBB134_72:
	s_waitcnt lgkmcnt(6)
	global_store_b16 v[0:1], v23, off offset:128
	s_or_b32 exec_lo, exec_lo, s1
	s_and_saveexec_b32 s1, s3
	s_cbranch_execz .LBB134_51
.LBB134_73:
	s_waitcnt lgkmcnt(20)
	global_store_b16 v[0:1], v22, off offset:256
	s_or_b32 exec_lo, exec_lo, s1
	s_and_saveexec_b32 s1, s4
	s_cbranch_execz .LBB134_52
.LBB134_74:
	s_waitcnt lgkmcnt(19)
	global_store_b16 v[0:1], v21, off offset:384
	s_or_b32 exec_lo, exec_lo, s1
	s_and_saveexec_b32 s1, s5
	s_cbranch_execz .LBB134_53
.LBB134_75:
	s_waitcnt lgkmcnt(18)
	global_store_b16 v[0:1], v20, off offset:512
	s_or_b32 exec_lo, exec_lo, s1
	s_and_saveexec_b32 s1, s6
	s_cbranch_execz .LBB134_54
.LBB134_76:
	s_waitcnt lgkmcnt(17)
	global_store_b16 v[0:1], v19, off offset:640
	s_or_b32 exec_lo, exec_lo, s1
	s_and_saveexec_b32 s1, s7
	s_cbranch_execz .LBB134_55
.LBB134_77:
	s_waitcnt lgkmcnt(16)
	global_store_b16 v[0:1], v18, off offset:768
	s_or_b32 exec_lo, exec_lo, s1
	s_and_saveexec_b32 s1, s8
	s_cbranch_execz .LBB134_56
.LBB134_78:
	s_waitcnt lgkmcnt(15)
	global_store_b16 v[0:1], v17, off offset:896
	s_or_b32 exec_lo, exec_lo, s1
	s_and_saveexec_b32 s1, s9
	s_cbranch_execz .LBB134_57
.LBB134_79:
	s_waitcnt lgkmcnt(14)
	global_store_b16 v[0:1], v16, off offset:1024
	s_or_b32 exec_lo, exec_lo, s1
	s_and_saveexec_b32 s1, s10
	s_cbranch_execz .LBB134_58
.LBB134_80:
	s_waitcnt lgkmcnt(13)
	global_store_b16 v[0:1], v15, off offset:1152
	s_or_b32 exec_lo, exec_lo, s1
	s_and_saveexec_b32 s1, s11
	s_cbranch_execz .LBB134_59
.LBB134_81:
	s_waitcnt lgkmcnt(12)
	global_store_b16 v[0:1], v14, off offset:1280
	s_or_b32 exec_lo, exec_lo, s1
	s_and_saveexec_b32 s1, s12
	s_cbranch_execz .LBB134_60
.LBB134_82:
	s_waitcnt lgkmcnt(11)
	global_store_b16 v[0:1], v13, off offset:1408
	s_or_b32 exec_lo, exec_lo, s1
	s_and_saveexec_b32 s1, s13
	s_cbranch_execz .LBB134_61
.LBB134_83:
	s_waitcnt lgkmcnt(10)
	global_store_b16 v[0:1], v12, off offset:1536
	s_or_b32 exec_lo, exec_lo, s1
	s_and_saveexec_b32 s1, s14
	s_cbranch_execz .LBB134_62
.LBB134_84:
	s_waitcnt lgkmcnt(9)
	global_store_b16 v[0:1], v10, off offset:1664
	s_or_b32 exec_lo, exec_lo, s1
	s_and_saveexec_b32 s1, s15
	s_cbranch_execz .LBB134_63
.LBB134_85:
	s_waitcnt lgkmcnt(8)
	global_store_b16 v[0:1], v9, off offset:1792
	s_or_b32 exec_lo, exec_lo, s1
	s_and_saveexec_b32 s1, s16
	s_cbranch_execz .LBB134_64
.LBB134_86:
	s_waitcnt lgkmcnt(7)
	global_store_b16 v[0:1], v8, off offset:1920
	s_or_b32 exec_lo, exec_lo, s1
	s_and_saveexec_b32 s1, s17
	s_cbranch_execz .LBB134_65
.LBB134_87:
	s_waitcnt lgkmcnt(5)
	global_store_b16 v[0:1], v7, off offset:2048
	s_or_b32 exec_lo, exec_lo, s1
	s_and_saveexec_b32 s1, s18
	s_cbranch_execz .LBB134_66
.LBB134_88:
	s_waitcnt lgkmcnt(4)
	global_store_b16 v[0:1], v6, off offset:2176
	s_or_b32 exec_lo, exec_lo, s1
	s_and_saveexec_b32 s1, s19
	s_cbranch_execz .LBB134_67
.LBB134_89:
	s_waitcnt lgkmcnt(3)
	global_store_b16 v[0:1], v5, off offset:2304
	s_or_b32 exec_lo, exec_lo, s1
	s_and_saveexec_b32 s1, s20
	s_cbranch_execz .LBB134_68
.LBB134_90:
	s_waitcnt lgkmcnt(2)
	global_store_b16 v[0:1], v4, off offset:2432
	s_or_b32 exec_lo, exec_lo, s1
	s_and_saveexec_b32 s1, s21
	s_cbranch_execz .LBB134_69
.LBB134_91:
	s_waitcnt lgkmcnt(1)
	global_store_b16 v[0:1], v3, off offset:2560
	s_or_b32 exec_lo, exec_lo, s1
	s_and_saveexec_b32 s1, s0
	s_cbranch_execz .LBB134_70
.LBB134_92:
	s_waitcnt lgkmcnt(0)
	global_store_b16 v[0:1], v2, off offset:2688
	s_nop 0
	s_sendmsg sendmsg(MSG_DEALLOC_VGPRS)
	s_endpgm
	.section	.rodata,"a",@progbits
	.p2align	6, 0x0
	.amdhsa_kernel _ZN7rocprim6detail18single_scan_kernelILb1ENS0_19wrapped_scan_configINS_14default_configE6__halfEEN6hipcub22TransformInputIteratorIS4_NS6_6CastOpIS4_EEPS4_lEESA_NS6_3MaxENS_12future_valueIS4_SA_EES4_EEvT1_mT4_T2_T3_
		.amdhsa_group_segment_fixed_size 2816
		.amdhsa_private_segment_fixed_size 0
		.amdhsa_kernarg_size 44
		.amdhsa_user_sgpr_count 15
		.amdhsa_user_sgpr_dispatch_ptr 0
		.amdhsa_user_sgpr_queue_ptr 0
		.amdhsa_user_sgpr_kernarg_segment_ptr 1
		.amdhsa_user_sgpr_dispatch_id 0
		.amdhsa_user_sgpr_private_segment_size 0
		.amdhsa_wavefront_size32 1
		.amdhsa_uses_dynamic_stack 0
		.amdhsa_enable_private_segment 0
		.amdhsa_system_sgpr_workgroup_id_x 1
		.amdhsa_system_sgpr_workgroup_id_y 0
		.amdhsa_system_sgpr_workgroup_id_z 0
		.amdhsa_system_sgpr_workgroup_info 0
		.amdhsa_system_vgpr_workitem_id 0
		.amdhsa_next_free_vgpr 34
		.amdhsa_next_free_sgpr 28
		.amdhsa_reserve_vcc 1
		.amdhsa_float_round_mode_32 0
		.amdhsa_float_round_mode_16_64 0
		.amdhsa_float_denorm_mode_32 3
		.amdhsa_float_denorm_mode_16_64 3
		.amdhsa_dx10_clamp 1
		.amdhsa_ieee_mode 1
		.amdhsa_fp16_overflow 0
		.amdhsa_workgroup_processor_mode 1
		.amdhsa_memory_ordered 1
		.amdhsa_forward_progress 0
		.amdhsa_shared_vgpr_count 0
		.amdhsa_exception_fp_ieee_invalid_op 0
		.amdhsa_exception_fp_denorm_src 0
		.amdhsa_exception_fp_ieee_div_zero 0
		.amdhsa_exception_fp_ieee_overflow 0
		.amdhsa_exception_fp_ieee_underflow 0
		.amdhsa_exception_fp_ieee_inexact 0
		.amdhsa_exception_int_div_zero 0
	.end_amdhsa_kernel
	.section	.text._ZN7rocprim6detail18single_scan_kernelILb1ENS0_19wrapped_scan_configINS_14default_configE6__halfEEN6hipcub22TransformInputIteratorIS4_NS6_6CastOpIS4_EEPS4_lEESA_NS6_3MaxENS_12future_valueIS4_SA_EES4_EEvT1_mT4_T2_T3_,"axG",@progbits,_ZN7rocprim6detail18single_scan_kernelILb1ENS0_19wrapped_scan_configINS_14default_configE6__halfEEN6hipcub22TransformInputIteratorIS4_NS6_6CastOpIS4_EEPS4_lEESA_NS6_3MaxENS_12future_valueIS4_SA_EES4_EEvT1_mT4_T2_T3_,comdat
.Lfunc_end134:
	.size	_ZN7rocprim6detail18single_scan_kernelILb1ENS0_19wrapped_scan_configINS_14default_configE6__halfEEN6hipcub22TransformInputIteratorIS4_NS6_6CastOpIS4_EEPS4_lEESA_NS6_3MaxENS_12future_valueIS4_SA_EES4_EEvT1_mT4_T2_T3_, .Lfunc_end134-_ZN7rocprim6detail18single_scan_kernelILb1ENS0_19wrapped_scan_configINS_14default_configE6__halfEEN6hipcub22TransformInputIteratorIS4_NS6_6CastOpIS4_EEPS4_lEESA_NS6_3MaxENS_12future_valueIS4_SA_EES4_EEvT1_mT4_T2_T3_
                                        ; -- End function
	.section	.AMDGPU.csdata,"",@progbits
; Kernel info:
; codeLenInByte = 4036
; NumSgprs: 30
; NumVgprs: 34
; ScratchSize: 0
; MemoryBound: 0
; FloatMode: 240
; IeeeMode: 1
; LDSByteSize: 2816 bytes/workgroup (compile time only)
; SGPRBlocks: 3
; VGPRBlocks: 4
; NumSGPRsForWavesPerEU: 30
; NumVGPRsForWavesPerEU: 34
; Occupancy: 16
; WaveLimiterHint : 0
; COMPUTE_PGM_RSRC2:SCRATCH_EN: 0
; COMPUTE_PGM_RSRC2:USER_SGPR: 15
; COMPUTE_PGM_RSRC2:TRAP_HANDLER: 0
; COMPUTE_PGM_RSRC2:TGID_X_EN: 1
; COMPUTE_PGM_RSRC2:TGID_Y_EN: 0
; COMPUTE_PGM_RSRC2:TGID_Z_EN: 0
; COMPUTE_PGM_RSRC2:TIDIG_COMP_CNT: 0
	.section	.text._ZL18fill_initial_valueI6__halfEvPT_S1_,"axG",@progbits,_ZL18fill_initial_valueI6__halfEvPT_S1_,comdat
	.globl	_ZL18fill_initial_valueI6__halfEvPT_S1_ ; -- Begin function _ZL18fill_initial_valueI6__halfEvPT_S1_
	.p2align	8
	.type	_ZL18fill_initial_valueI6__halfEvPT_S1_,@function
_ZL18fill_initial_valueI6__halfEvPT_S1_: ; @_ZL18fill_initial_valueI6__halfEvPT_S1_
; %bb.0:
	s_clause 0x1
	s_load_b32 s2, s[0:1], 0x8
	s_load_b64 s[0:1], s[0:1], 0x0
	s_waitcnt lgkmcnt(0)
	v_dual_mov_b32 v0, 0 :: v_dual_mov_b32 v1, s2
	global_store_b16 v0, v1, s[0:1]
	s_nop 0
	s_sendmsg sendmsg(MSG_DEALLOC_VGPRS)
	s_endpgm
	.section	.rodata,"a",@progbits
	.p2align	6, 0x0
	.amdhsa_kernel _ZL18fill_initial_valueI6__halfEvPT_S1_
		.amdhsa_group_segment_fixed_size 0
		.amdhsa_private_segment_fixed_size 0
		.amdhsa_kernarg_size 12
		.amdhsa_user_sgpr_count 15
		.amdhsa_user_sgpr_dispatch_ptr 0
		.amdhsa_user_sgpr_queue_ptr 0
		.amdhsa_user_sgpr_kernarg_segment_ptr 1
		.amdhsa_user_sgpr_dispatch_id 0
		.amdhsa_user_sgpr_private_segment_size 0
		.amdhsa_wavefront_size32 1
		.amdhsa_uses_dynamic_stack 0
		.amdhsa_enable_private_segment 0
		.amdhsa_system_sgpr_workgroup_id_x 1
		.amdhsa_system_sgpr_workgroup_id_y 0
		.amdhsa_system_sgpr_workgroup_id_z 0
		.amdhsa_system_sgpr_workgroup_info 0
		.amdhsa_system_vgpr_workitem_id 0
		.amdhsa_next_free_vgpr 2
		.amdhsa_next_free_sgpr 3
		.amdhsa_reserve_vcc 0
		.amdhsa_float_round_mode_32 0
		.amdhsa_float_round_mode_16_64 0
		.amdhsa_float_denorm_mode_32 3
		.amdhsa_float_denorm_mode_16_64 3
		.amdhsa_dx10_clamp 1
		.amdhsa_ieee_mode 1
		.amdhsa_fp16_overflow 0
		.amdhsa_workgroup_processor_mode 1
		.amdhsa_memory_ordered 1
		.amdhsa_forward_progress 0
		.amdhsa_shared_vgpr_count 0
		.amdhsa_exception_fp_ieee_invalid_op 0
		.amdhsa_exception_fp_denorm_src 0
		.amdhsa_exception_fp_ieee_div_zero 0
		.amdhsa_exception_fp_ieee_overflow 0
		.amdhsa_exception_fp_ieee_underflow 0
		.amdhsa_exception_fp_ieee_inexact 0
		.amdhsa_exception_int_div_zero 0
	.end_amdhsa_kernel
	.section	.text._ZL18fill_initial_valueI6__halfEvPT_S1_,"axG",@progbits,_ZL18fill_initial_valueI6__halfEvPT_S1_,comdat
.Lfunc_end135:
	.size	_ZL18fill_initial_valueI6__halfEvPT_S1_, .Lfunc_end135-_ZL18fill_initial_valueI6__halfEvPT_S1_
                                        ; -- End function
	.section	.AMDGPU.csdata,"",@progbits
; Kernel info:
; codeLenInByte = 52
; NumSgprs: 3
; NumVgprs: 2
; ScratchSize: 0
; MemoryBound: 0
; FloatMode: 240
; IeeeMode: 1
; LDSByteSize: 0 bytes/workgroup (compile time only)
; SGPRBlocks: 0
; VGPRBlocks: 0
; NumSGPRsForWavesPerEU: 3
; NumVGPRsForWavesPerEU: 2
; Occupancy: 16
; WaveLimiterHint : 0
; COMPUTE_PGM_RSRC2:SCRATCH_EN: 0
; COMPUTE_PGM_RSRC2:USER_SGPR: 15
; COMPUTE_PGM_RSRC2:TRAP_HANDLER: 0
; COMPUTE_PGM_RSRC2:TGID_X_EN: 1
; COMPUTE_PGM_RSRC2:TGID_Y_EN: 0
; COMPUTE_PGM_RSRC2:TGID_Z_EN: 0
; COMPUTE_PGM_RSRC2:TIDIG_COMP_CNT: 0
	.section	.text._ZN7rocprim6detail20lookback_scan_kernelILNS0_25lookback_scan_determinismE0ELb1ENS0_19wrapped_scan_configINS_14default_configE12hip_bfloat16EEN6hipcub22TransformInputIteratorIS5_NS7_6CastOpIS5_EEPS5_lEESB_NS7_3MaxENS_12future_valueIS5_SB_EES5_NS0_19lookback_scan_stateIS5_Lb1ELb1EEEEEvT2_T3_mT5_T4_T7_jPT6_SO_bb,"axG",@progbits,_ZN7rocprim6detail20lookback_scan_kernelILNS0_25lookback_scan_determinismE0ELb1ENS0_19wrapped_scan_configINS_14default_configE12hip_bfloat16EEN6hipcub22TransformInputIteratorIS5_NS7_6CastOpIS5_EEPS5_lEESB_NS7_3MaxENS_12future_valueIS5_SB_EES5_NS0_19lookback_scan_stateIS5_Lb1ELb1EEEEEvT2_T3_mT5_T4_T7_jPT6_SO_bb,comdat
	.protected	_ZN7rocprim6detail20lookback_scan_kernelILNS0_25lookback_scan_determinismE0ELb1ENS0_19wrapped_scan_configINS_14default_configE12hip_bfloat16EEN6hipcub22TransformInputIteratorIS5_NS7_6CastOpIS5_EEPS5_lEESB_NS7_3MaxENS_12future_valueIS5_SB_EES5_NS0_19lookback_scan_stateIS5_Lb1ELb1EEEEEvT2_T3_mT5_T4_T7_jPT6_SO_bb ; -- Begin function _ZN7rocprim6detail20lookback_scan_kernelILNS0_25lookback_scan_determinismE0ELb1ENS0_19wrapped_scan_configINS_14default_configE12hip_bfloat16EEN6hipcub22TransformInputIteratorIS5_NS7_6CastOpIS5_EEPS5_lEESB_NS7_3MaxENS_12future_valueIS5_SB_EES5_NS0_19lookback_scan_stateIS5_Lb1ELb1EEEEEvT2_T3_mT5_T4_T7_jPT6_SO_bb
	.globl	_ZN7rocprim6detail20lookback_scan_kernelILNS0_25lookback_scan_determinismE0ELb1ENS0_19wrapped_scan_configINS_14default_configE12hip_bfloat16EEN6hipcub22TransformInputIteratorIS5_NS7_6CastOpIS5_EEPS5_lEESB_NS7_3MaxENS_12future_valueIS5_SB_EES5_NS0_19lookback_scan_stateIS5_Lb1ELb1EEEEEvT2_T3_mT5_T4_T7_jPT6_SO_bb
	.p2align	8
	.type	_ZN7rocprim6detail20lookback_scan_kernelILNS0_25lookback_scan_determinismE0ELb1ENS0_19wrapped_scan_configINS_14default_configE12hip_bfloat16EEN6hipcub22TransformInputIteratorIS5_NS7_6CastOpIS5_EEPS5_lEESB_NS7_3MaxENS_12future_valueIS5_SB_EES5_NS0_19lookback_scan_stateIS5_Lb1ELb1EEEEEvT2_T3_mT5_T4_T7_jPT6_SO_bb,@function
_ZN7rocprim6detail20lookback_scan_kernelILNS0_25lookback_scan_determinismE0ELb1ENS0_19wrapped_scan_configINS_14default_configE12hip_bfloat16EEN6hipcub22TransformInputIteratorIS5_NS7_6CastOpIS5_EEPS5_lEESB_NS7_3MaxENS_12future_valueIS5_SB_EES5_NS0_19lookback_scan_stateIS5_Lb1ELb1EEEEEvT2_T3_mT5_T4_T7_jPT6_SO_bb: ; @_ZN7rocprim6detail20lookback_scan_kernelILNS0_25lookback_scan_determinismE0ELb1ENS0_19wrapped_scan_configINS_14default_configE12hip_bfloat16EEN6hipcub22TransformInputIteratorIS5_NS7_6CastOpIS5_EEPS5_lEESB_NS7_3MaxENS_12future_valueIS5_SB_EES5_NS0_19lookback_scan_stateIS5_Lb1ELb1EEEEEvT2_T3_mT5_T4_T7_jPT6_SO_bb
; %bb.0:
	s_endpgm
	.section	.rodata,"a",@progbits
	.p2align	6, 0x0
	.amdhsa_kernel _ZN7rocprim6detail20lookback_scan_kernelILNS0_25lookback_scan_determinismE0ELb1ENS0_19wrapped_scan_configINS_14default_configE12hip_bfloat16EEN6hipcub22TransformInputIteratorIS5_NS7_6CastOpIS5_EEPS5_lEESB_NS7_3MaxENS_12future_valueIS5_SB_EES5_NS0_19lookback_scan_stateIS5_Lb1ELb1EEEEEvT2_T3_mT5_T4_T7_jPT6_SO_bb
		.amdhsa_group_segment_fixed_size 0
		.amdhsa_private_segment_fixed_size 0
		.amdhsa_kernarg_size 84
		.amdhsa_user_sgpr_count 15
		.amdhsa_user_sgpr_dispatch_ptr 0
		.amdhsa_user_sgpr_queue_ptr 0
		.amdhsa_user_sgpr_kernarg_segment_ptr 1
		.amdhsa_user_sgpr_dispatch_id 0
		.amdhsa_user_sgpr_private_segment_size 0
		.amdhsa_wavefront_size32 1
		.amdhsa_uses_dynamic_stack 0
		.amdhsa_enable_private_segment 0
		.amdhsa_system_sgpr_workgroup_id_x 1
		.amdhsa_system_sgpr_workgroup_id_y 0
		.amdhsa_system_sgpr_workgroup_id_z 0
		.amdhsa_system_sgpr_workgroup_info 0
		.amdhsa_system_vgpr_workitem_id 0
		.amdhsa_next_free_vgpr 1
		.amdhsa_next_free_sgpr 1
		.amdhsa_reserve_vcc 0
		.amdhsa_float_round_mode_32 0
		.amdhsa_float_round_mode_16_64 0
		.amdhsa_float_denorm_mode_32 3
		.amdhsa_float_denorm_mode_16_64 3
		.amdhsa_dx10_clamp 1
		.amdhsa_ieee_mode 1
		.amdhsa_fp16_overflow 0
		.amdhsa_workgroup_processor_mode 1
		.amdhsa_memory_ordered 1
		.amdhsa_forward_progress 0
		.amdhsa_shared_vgpr_count 0
		.amdhsa_exception_fp_ieee_invalid_op 0
		.amdhsa_exception_fp_denorm_src 0
		.amdhsa_exception_fp_ieee_div_zero 0
		.amdhsa_exception_fp_ieee_overflow 0
		.amdhsa_exception_fp_ieee_underflow 0
		.amdhsa_exception_fp_ieee_inexact 0
		.amdhsa_exception_int_div_zero 0
	.end_amdhsa_kernel
	.section	.text._ZN7rocprim6detail20lookback_scan_kernelILNS0_25lookback_scan_determinismE0ELb1ENS0_19wrapped_scan_configINS_14default_configE12hip_bfloat16EEN6hipcub22TransformInputIteratorIS5_NS7_6CastOpIS5_EEPS5_lEESB_NS7_3MaxENS_12future_valueIS5_SB_EES5_NS0_19lookback_scan_stateIS5_Lb1ELb1EEEEEvT2_T3_mT5_T4_T7_jPT6_SO_bb,"axG",@progbits,_ZN7rocprim6detail20lookback_scan_kernelILNS0_25lookback_scan_determinismE0ELb1ENS0_19wrapped_scan_configINS_14default_configE12hip_bfloat16EEN6hipcub22TransformInputIteratorIS5_NS7_6CastOpIS5_EEPS5_lEESB_NS7_3MaxENS_12future_valueIS5_SB_EES5_NS0_19lookback_scan_stateIS5_Lb1ELb1EEEEEvT2_T3_mT5_T4_T7_jPT6_SO_bb,comdat
.Lfunc_end136:
	.size	_ZN7rocprim6detail20lookback_scan_kernelILNS0_25lookback_scan_determinismE0ELb1ENS0_19wrapped_scan_configINS_14default_configE12hip_bfloat16EEN6hipcub22TransformInputIteratorIS5_NS7_6CastOpIS5_EEPS5_lEESB_NS7_3MaxENS_12future_valueIS5_SB_EES5_NS0_19lookback_scan_stateIS5_Lb1ELb1EEEEEvT2_T3_mT5_T4_T7_jPT6_SO_bb, .Lfunc_end136-_ZN7rocprim6detail20lookback_scan_kernelILNS0_25lookback_scan_determinismE0ELb1ENS0_19wrapped_scan_configINS_14default_configE12hip_bfloat16EEN6hipcub22TransformInputIteratorIS5_NS7_6CastOpIS5_EEPS5_lEESB_NS7_3MaxENS_12future_valueIS5_SB_EES5_NS0_19lookback_scan_stateIS5_Lb1ELb1EEEEEvT2_T3_mT5_T4_T7_jPT6_SO_bb
                                        ; -- End function
	.section	.AMDGPU.csdata,"",@progbits
; Kernel info:
; codeLenInByte = 4
; NumSgprs: 0
; NumVgprs: 0
; ScratchSize: 0
; MemoryBound: 0
; FloatMode: 240
; IeeeMode: 1
; LDSByteSize: 0 bytes/workgroup (compile time only)
; SGPRBlocks: 0
; VGPRBlocks: 0
; NumSGPRsForWavesPerEU: 1
; NumVGPRsForWavesPerEU: 1
; Occupancy: 16
; WaveLimiterHint : 0
; COMPUTE_PGM_RSRC2:SCRATCH_EN: 0
; COMPUTE_PGM_RSRC2:USER_SGPR: 15
; COMPUTE_PGM_RSRC2:TRAP_HANDLER: 0
; COMPUTE_PGM_RSRC2:TGID_X_EN: 1
; COMPUTE_PGM_RSRC2:TGID_Y_EN: 0
; COMPUTE_PGM_RSRC2:TGID_Z_EN: 0
; COMPUTE_PGM_RSRC2:TIDIG_COMP_CNT: 0
	.section	.text._ZN7rocprim6detail20lookback_scan_kernelILNS0_25lookback_scan_determinismE0ELb1ENS0_19wrapped_scan_configINS_14default_configE12hip_bfloat16EEN6hipcub22TransformInputIteratorIS5_NS7_6CastOpIS5_EEPS5_lEESB_NS7_3MaxENS_12future_valueIS5_SB_EES5_NS0_19lookback_scan_stateIS5_Lb0ELb1EEEEEvT2_T3_mT5_T4_T7_jPT6_SO_bb,"axG",@progbits,_ZN7rocprim6detail20lookback_scan_kernelILNS0_25lookback_scan_determinismE0ELb1ENS0_19wrapped_scan_configINS_14default_configE12hip_bfloat16EEN6hipcub22TransformInputIteratorIS5_NS7_6CastOpIS5_EEPS5_lEESB_NS7_3MaxENS_12future_valueIS5_SB_EES5_NS0_19lookback_scan_stateIS5_Lb0ELb1EEEEEvT2_T3_mT5_T4_T7_jPT6_SO_bb,comdat
	.protected	_ZN7rocprim6detail20lookback_scan_kernelILNS0_25lookback_scan_determinismE0ELb1ENS0_19wrapped_scan_configINS_14default_configE12hip_bfloat16EEN6hipcub22TransformInputIteratorIS5_NS7_6CastOpIS5_EEPS5_lEESB_NS7_3MaxENS_12future_valueIS5_SB_EES5_NS0_19lookback_scan_stateIS5_Lb0ELb1EEEEEvT2_T3_mT5_T4_T7_jPT6_SO_bb ; -- Begin function _ZN7rocprim6detail20lookback_scan_kernelILNS0_25lookback_scan_determinismE0ELb1ENS0_19wrapped_scan_configINS_14default_configE12hip_bfloat16EEN6hipcub22TransformInputIteratorIS5_NS7_6CastOpIS5_EEPS5_lEESB_NS7_3MaxENS_12future_valueIS5_SB_EES5_NS0_19lookback_scan_stateIS5_Lb0ELb1EEEEEvT2_T3_mT5_T4_T7_jPT6_SO_bb
	.globl	_ZN7rocprim6detail20lookback_scan_kernelILNS0_25lookback_scan_determinismE0ELb1ENS0_19wrapped_scan_configINS_14default_configE12hip_bfloat16EEN6hipcub22TransformInputIteratorIS5_NS7_6CastOpIS5_EEPS5_lEESB_NS7_3MaxENS_12future_valueIS5_SB_EES5_NS0_19lookback_scan_stateIS5_Lb0ELb1EEEEEvT2_T3_mT5_T4_T7_jPT6_SO_bb
	.p2align	8
	.type	_ZN7rocprim6detail20lookback_scan_kernelILNS0_25lookback_scan_determinismE0ELb1ENS0_19wrapped_scan_configINS_14default_configE12hip_bfloat16EEN6hipcub22TransformInputIteratorIS5_NS7_6CastOpIS5_EEPS5_lEESB_NS7_3MaxENS_12future_valueIS5_SB_EES5_NS0_19lookback_scan_stateIS5_Lb0ELb1EEEEEvT2_T3_mT5_T4_T7_jPT6_SO_bb,@function
_ZN7rocprim6detail20lookback_scan_kernelILNS0_25lookback_scan_determinismE0ELb1ENS0_19wrapped_scan_configINS_14default_configE12hip_bfloat16EEN6hipcub22TransformInputIteratorIS5_NS7_6CastOpIS5_EEPS5_lEESB_NS7_3MaxENS_12future_valueIS5_SB_EES5_NS0_19lookback_scan_stateIS5_Lb0ELb1EEEEEvT2_T3_mT5_T4_T7_jPT6_SO_bb: ; @_ZN7rocprim6detail20lookback_scan_kernelILNS0_25lookback_scan_determinismE0ELb1ENS0_19wrapped_scan_configINS_14default_configE12hip_bfloat16EEN6hipcub22TransformInputIteratorIS5_NS7_6CastOpIS5_EEPS5_lEESB_NS7_3MaxENS_12future_valueIS5_SB_EES5_NS0_19lookback_scan_stateIS5_Lb0ELb1EEEEEvT2_T3_mT5_T4_T7_jPT6_SO_bb
; %bb.0:
	s_clause 0x1
	s_load_b64 s[2:3], s[0:1], 0x20
	s_load_b32 s4, s[0:1], 0x38
	v_mov_b32_e32 v1, 0
	v_lshlrev_b32_e32 v5, 1, v0
	s_waitcnt lgkmcnt(0)
	global_load_u16 v7, v1, s[2:3]
	s_clause 0x1
	s_load_b128 s[8:11], s[0:1], 0x10
	s_load_b64 s[12:13], s[0:1], 0x0
	s_add_i32 s3, s4, -1
	s_mul_i32 s2, s15, 0x580
	s_mul_i32 s4, s3, 0x580
	s_waitcnt lgkmcnt(0)
	s_sub_u32 s14, s10, s4
	s_subb_u32 s18, s11, 0
	s_cmp_lg_u32 s15, s3
	s_mov_b32 s3, 0
	s_cselect_b32 s19, -1, 0
	s_lshl_b64 s[10:11], s[2:3], 1
	s_mov_b32 s3, -1
	s_add_u32 s4, s12, s10
	s_addc_u32 s5, s13, s11
	s_and_b32 vcc_lo, exec_lo, s19
	s_cbranch_vccz .LBB137_2
; %bb.1:
	s_clause 0x15
	global_load_u16 v1, v5, s[4:5]
	global_load_u16 v2, v5, s[4:5] offset:128
	global_load_u16 v3, v5, s[4:5] offset:256
	;; [unrolled: 1-line block ×21, first 2 shown]
	s_mov_b32 s3, 0
	s_waitcnt vmcnt(21)
	ds_store_b16 v5, v1
	s_waitcnt vmcnt(20)
	ds_store_b16 v5, v2 offset:128
	s_waitcnt vmcnt(19)
	ds_store_b16 v5, v3 offset:256
	;; [unrolled: 2-line block ×21, first 2 shown]
	s_waitcnt lgkmcnt(0)
	s_barrier
.LBB137_2:
	v_cmp_gt_u32_e64 s2, s14, v0
	s_and_not1_b32 vcc_lo, exec_lo, s3
	s_cbranch_vccnz .LBB137_48
; %bb.3:
	v_mov_b32_e32 v1, 0
	global_load_u16 v3, v1, s[4:5]
	v_add_co_u32 v1, s3, s4, v5
	s_delay_alu instid0(VALU_DEP_1)
	v_add_co_ci_u32_e64 v2, null, s5, 0, s3
	s_waitcnt vmcnt(0)
	v_mov_b32_e32 v4, v3
	s_and_saveexec_b32 s3, s2
	s_cbranch_execz .LBB137_5
; %bb.4:
	global_load_u16 v4, v[1:2], off
.LBB137_5:
	s_or_b32 exec_lo, exec_lo, s3
	v_or_b32_e32 v6, 64, v0
	s_delay_alu instid0(VALU_DEP_1)
	v_cmp_gt_u32_e32 vcc_lo, s14, v6
	v_mov_b32_e32 v6, v3
	s_and_saveexec_b32 s2, vcc_lo
	s_cbranch_execz .LBB137_7
; %bb.6:
	global_load_u16 v6, v[1:2], off offset:128
.LBB137_7:
	s_or_b32 exec_lo, exec_lo, s2
	v_or_b32_e32 v8, 0x80, v0
	s_delay_alu instid0(VALU_DEP_1)
	v_cmp_gt_u32_e32 vcc_lo, s14, v8
	v_mov_b32_e32 v8, v3
	s_and_saveexec_b32 s2, vcc_lo
	s_cbranch_execz .LBB137_9
; %bb.8:
	global_load_u16 v8, v[1:2], off offset:256
.LBB137_9:
	;; [unrolled: 10-line block ×20, first 2 shown]
	s_or_b32 exec_lo, exec_lo, s2
	v_or_b32_e32 v27, 0x540, v0
	s_mov_b32 s2, exec_lo
	s_delay_alu instid0(VALU_DEP_1)
	v_cmpx_gt_u32_e64 s14, v27
	s_cbranch_execz .LBB137_47
; %bb.46:
	global_load_u16 v3, v[1:2], off offset:2688
.LBB137_47:
	s_or_b32 exec_lo, exec_lo, s2
	s_waitcnt vmcnt(0)
	ds_store_b16 v5, v4
	ds_store_b16 v5, v6 offset:128
	ds_store_b16 v5, v8 offset:256
	;; [unrolled: 1-line block ×21, first 2 shown]
	s_waitcnt lgkmcnt(0)
	s_barrier
.LBB137_48:
	v_mul_u32_u24_e32 v6, 22, v0
	s_waitcnt vmcnt(0)
	buffer_gl0_inv
	s_load_b64 s[16:17], s[0:1], 0x30
	v_lshrrev_b32_e32 v53, 5, v0
	v_cmp_gt_u32_e32 vcc_lo, 32, v0
	v_lshlrev_b32_e32 v8, 1, v6
	s_cmp_lg_u32 s15, 0
	ds_load_2addr_b32 v[1:2], v8 offset1:1
	ds_load_2addr_b32 v[3:4], v8 offset0:2 offset1:3
	ds_load_2addr_b32 v[9:10], v8 offset0:4 offset1:5
	;; [unrolled: 1-line block ×4, first 2 shown]
	ds_load_b32 v23, v8 offset:40
	s_waitcnt lgkmcnt(0)
	s_barrier
	buffer_gl0_inv
	v_lshrrev_b32_e32 v32, 16, v1
	v_lshrrev_b32_e32 v27, 16, v2
	v_and_b32_e32 v36, 0xffff, v1
	v_and_b32_e32 v33, 0xffff, v2
	v_lshrrev_b32_e32 v24, 16, v3
	v_lshrrev_b32_e32 v21, 16, v4
	v_and_b32_e32 v29, 0xffff, v3
	v_and_b32_e32 v25, 0xffff, v4
	;; [unrolled: 4-line block ×4, first 2 shown]
	v_lshrrev_b32_e32 v11, 16, v30
	v_lshrrev_b32_e32 v51, 16, v23
	;; [unrolled: 1-line block ×3, first 2 shown]
	v_and_b32_e32 v14, 0xffff, v30
	v_and_b32_e32 v12, 0xffff, v31
	;; [unrolled: 1-line block ×3, first 2 shown]
	v_lshlrev_b32_e32 v52, 16, v51
	v_lshlrev_b32_e32 v50, 16, v36
	;; [unrolled: 1-line block ×22, first 2 shown]
	s_cbranch_scc0 .LBB137_77
; %bb.49:
	v_cmp_lt_f32_e64 s2, v50, v49
	v_add_lshl_u32 v3, v53, v0, 1
	s_delay_alu instid0(VALU_DEP_2) | instskip(NEXT) | instid1(VALU_DEP_1)
	v_cndmask_b32_e64 v1, v36, v32, s2
	v_lshlrev_b32_e32 v2, 16, v1
	s_delay_alu instid0(VALU_DEP_1) | instskip(NEXT) | instid1(VALU_DEP_1)
	v_cmp_lt_f32_e64 s2, v2, v48
	v_cndmask_b32_e64 v1, v1, v33, s2
	s_delay_alu instid0(VALU_DEP_1) | instskip(NEXT) | instid1(VALU_DEP_1)
	v_lshlrev_b32_e32 v2, 16, v1
	v_cmp_lt_f32_e64 s2, v2, v47
	s_delay_alu instid0(VALU_DEP_1) | instskip(NEXT) | instid1(VALU_DEP_1)
	v_cndmask_b32_e64 v1, v1, v27, s2
	v_lshlrev_b32_e32 v2, 16, v1
	s_delay_alu instid0(VALU_DEP_1) | instskip(NEXT) | instid1(VALU_DEP_1)
	v_cmp_lt_f32_e64 s2, v2, v46
	v_cndmask_b32_e64 v1, v1, v29, s2
	s_delay_alu instid0(VALU_DEP_1) | instskip(NEXT) | instid1(VALU_DEP_1)
	v_lshlrev_b32_e32 v2, 16, v1
	v_cmp_lt_f32_e64 s2, v2, v45
	s_delay_alu instid0(VALU_DEP_1) | instskip(NEXT) | instid1(VALU_DEP_1)
	;; [unrolled: 9-line block ×9, first 2 shown]
	v_cndmask_b32_e64 v1, v1, v10, s2
	v_lshlrev_b32_e32 v2, 16, v1
	s_delay_alu instid0(VALU_DEP_1) | instskip(NEXT) | instid1(VALU_DEP_1)
	v_cmp_lt_f32_e64 s2, v2, v23
	v_cndmask_b32_e64 v1, v1, v9, s2
	s_delay_alu instid0(VALU_DEP_1) | instskip(NEXT) | instid1(VALU_DEP_1)
	v_lshlrev_b32_e32 v2, 16, v1
	v_cmp_lt_f32_e64 s2, v2, v52
	s_delay_alu instid0(VALU_DEP_1)
	v_cndmask_b32_e64 v54, v1, v51, s2
	ds_store_b16 v3, v54
	s_waitcnt lgkmcnt(0)
	s_barrier
	buffer_gl0_inv
	s_and_saveexec_b32 s5, vcc_lo
	s_cbranch_execz .LBB137_51
; %bb.50:
	v_lshrrev_b32_e32 v1, 3, v0
	v_mbcnt_lo_u32_b32 v61, -1, 0
	s_delay_alu instid0(VALU_DEP_2) | instskip(NEXT) | instid1(VALU_DEP_1)
	v_and_b32_e32 v1, 6, v1
	v_lshl_or_b32 v1, v0, 2, v1
	ds_load_b32 v2, v1
	s_waitcnt lgkmcnt(0)
	v_and_b32_e32 v3, 0xffff0000, v2
	v_lshlrev_b32_e32 v4, 16, v2
	v_lshrrev_b32_e32 v55, 16, v2
	s_delay_alu instid0(VALU_DEP_2) | instskip(NEXT) | instid1(VALU_DEP_1)
	v_cmp_lt_f32_e64 s2, v4, v3
	v_cndmask_b32_e64 v56, v2, v55, s2
	s_delay_alu instid0(VALU_DEP_1) | instskip(SKIP_1) | instid1(VALU_DEP_2)
	v_and_b32_e32 v57, 0xffff, v56
	v_lshlrev_b32_e32 v59, 16, v56
	v_mov_b32_dpp v58, v57 row_shr:1 row_mask:0xf bank_mask:0xf
	s_delay_alu instid0(VALU_DEP_1) | instskip(NEXT) | instid1(VALU_DEP_1)
	v_lshlrev_b32_e32 v60, 16, v58
	v_cmp_lt_f32_e64 s2, v60, v59
	v_and_b32_e32 v59, 15, v61
	s_delay_alu instid0(VALU_DEP_2) | instskip(NEXT) | instid1(VALU_DEP_2)
	v_cndmask_b32_e64 v58, v58, v56, s2
	v_cmp_eq_u32_e64 s2, 0, v59
	s_delay_alu instid0(VALU_DEP_2) | instskip(NEXT) | instid1(VALU_DEP_2)
	v_and_b32_e32 v60, 0xffff, v58
	v_cndmask_b32_e64 v56, v58, v56, s2
	s_delay_alu instid0(VALU_DEP_2) | instskip(NEXT) | instid1(VALU_DEP_1)
	v_cndmask_b32_e64 v57, v60, v57, s2
	v_mov_b32_dpp v60, v57 row_shr:2 row_mask:0xf bank_mask:0xf
	v_lshlrev_b32_e32 v62, 16, v57
	s_delay_alu instid0(VALU_DEP_2) | instskip(NEXT) | instid1(VALU_DEP_1)
	v_lshlrev_b32_e32 v63, 16, v60
	v_cmp_lt_f32_e64 s2, v63, v62
	s_delay_alu instid0(VALU_DEP_1) | instskip(SKIP_1) | instid1(VALU_DEP_2)
	v_cndmask_b32_e64 v58, v60, v56, s2
	v_cmp_lt_u32_e64 s2, 1, v59
	v_and_b32_e32 v60, 0xffff, v58
	s_delay_alu instid0(VALU_DEP_2) | instskip(NEXT) | instid1(VALU_DEP_2)
	v_cndmask_b32_e64 v56, v56, v58, s2
	v_cndmask_b32_e64 v57, v57, v60, s2
	s_delay_alu instid0(VALU_DEP_1) | instskip(SKIP_1) | instid1(VALU_DEP_2)
	v_mov_b32_dpp v60, v57 row_shr:4 row_mask:0xf bank_mask:0xf
	v_lshlrev_b32_e32 v62, 16, v57
	v_lshlrev_b32_e32 v63, 16, v60
	s_delay_alu instid0(VALU_DEP_1) | instskip(NEXT) | instid1(VALU_DEP_1)
	v_cmp_lt_f32_e64 s2, v63, v62
	v_cndmask_b32_e64 v58, v60, v56, s2
	v_cmp_lt_u32_e64 s2, 3, v59
	s_delay_alu instid0(VALU_DEP_2) | instskip(NEXT) | instid1(VALU_DEP_2)
	v_and_b32_e32 v60, 0xffff, v58
	v_cndmask_b32_e64 v56, v56, v58, s2
	s_delay_alu instid0(VALU_DEP_2) | instskip(NEXT) | instid1(VALU_DEP_1)
	v_cndmask_b32_e64 v57, v57, v60, s2
	v_mov_b32_dpp v60, v57 row_shr:8 row_mask:0xf bank_mask:0xf
	v_lshlrev_b32_e32 v62, 16, v57
	s_delay_alu instid0(VALU_DEP_2) | instskip(NEXT) | instid1(VALU_DEP_1)
	v_lshlrev_b32_e32 v63, 16, v60
	v_cmp_lt_f32_e64 s2, v63, v62
	v_add_nc_u32_e32 v63, -1, v61
	s_delay_alu instid0(VALU_DEP_2) | instskip(SKIP_1) | instid1(VALU_DEP_2)
	v_cndmask_b32_e64 v58, v60, v56, s2
	v_cmp_lt_u32_e64 s2, 7, v59
	v_and_b32_e32 v60, 0xffff, v58
	s_delay_alu instid0(VALU_DEP_2) | instskip(NEXT) | instid1(VALU_DEP_2)
	v_cndmask_b32_e64 v56, v56, v58, s2
	v_cndmask_b32_e64 v57, v57, v60, s2
	v_and_b32_e32 v60, 16, v61
	v_cmp_gt_i32_e64 s2, 0, v63
	ds_swizzle_b32 v59, v57 offset:swizzle(BROADCAST,32,15)
	v_lshlrev_b32_e32 v57, 16, v57
	v_cmp_eq_u32_e64 s3, 0, v60
	s_waitcnt lgkmcnt(0)
	v_lshlrev_b32_e32 v62, 16, v59
	s_delay_alu instid0(VALU_DEP_1) | instskip(SKIP_1) | instid1(VALU_DEP_2)
	v_cmp_lt_f32_e64 s4, v62, v57
	v_cndmask_b32_e64 v57, v63, v61, s2
	s_or_b32 s2, s3, s4
	s_delay_alu instid0(VALU_DEP_1) | instskip(SKIP_1) | instid1(VALU_DEP_1)
	v_lshlrev_b32_e32 v57, 2, v57
	v_cndmask_b32_e64 v56, v59, v56, s2
	v_and_b32_e32 v56, 0xffff, v56
	ds_bpermute_b32 v56, v57, v56
	s_waitcnt lgkmcnt(0)
	v_lshlrev_b32_e32 v57, 16, v56
	s_delay_alu instid0(VALU_DEP_1) | instskip(NEXT) | instid1(VALU_DEP_1)
	v_cmp_gt_f32_e64 s2, v4, v57
	v_cndmask_b32_e64 v2, v56, v2, s2
	v_cmp_eq_u32_e64 s2, 0, v0
	s_delay_alu instid0(VALU_DEP_1) | instskip(NEXT) | instid1(VALU_DEP_1)
	v_cndmask_b32_e64 v2, v2, v54, s2
	v_lshlrev_b32_e32 v4, 16, v2
	s_delay_alu instid0(VALU_DEP_1) | instskip(NEXT) | instid1(VALU_DEP_1)
	v_cmp_gt_f32_e64 s2, v3, v4
	v_cndmask_b32_e64 v3, v2, v55, s2
	ds_store_b16 v1, v2
	ds_store_b16 v1, v3 offset:2
.LBB137_51:
	s_or_b32 exec_lo, exec_lo, s5
	v_cmp_eq_u32_e64 s2, 0, v0
	s_mov_b32 s4, exec_lo
	s_waitcnt lgkmcnt(0)
	s_barrier
	buffer_gl0_inv
	v_cmpx_ne_u32_e32 0, v0
	s_cbranch_execz .LBB137_53
; %bb.52:
	v_add_nc_u32_e32 v1, -1, v0
	s_delay_alu instid0(VALU_DEP_1) | instskip(NEXT) | instid1(VALU_DEP_1)
	v_lshrrev_b32_e32 v2, 5, v1
	v_add_lshl_u32 v1, v2, v1, 1
	ds_load_u16 v54, v1
.LBB137_53:
	s_or_b32 exec_lo, exec_lo, s4
	s_and_saveexec_b32 s20, vcc_lo
	s_cbranch_execz .LBB137_76
; %bb.54:
	v_mov_b32_e32 v3, 0
	v_mbcnt_lo_u32_b32 v68, -1, 0
	s_mov_b32 s5, 0
	ds_load_u16 v55, v3 offset:128
	v_cmp_eq_u32_e64 s3, 0, v68
	s_waitcnt lgkmcnt(0)
	v_and_b32_e32 v56, 0xffff, v55
	s_delay_alu instid0(VALU_DEP_2)
	s_and_saveexec_b32 s6, s3
	s_cbranch_execz .LBB137_56
; %bb.55:
	s_add_i32 s4, s15, 32
	s_delay_alu instid0(VALU_DEP_1) | instskip(SKIP_1) | instid1(SALU_CYCLE_1)
	v_or_b32_e32 v1, 0x10000, v56
	s_lshl_b64 s[4:5], s[4:5], 2
	s_add_u32 s4, s16, s4
	s_addc_u32 s5, s17, s5
	global_store_b32 v3, v1, s[4:5]
.LBB137_56:
	s_or_b32 exec_lo, exec_lo, s6
	v_xad_u32 v1, v68, -1, s15
	s_mov_b32 s4, exec_lo
	s_delay_alu instid0(VALU_DEP_1) | instskip(NEXT) | instid1(VALU_DEP_1)
	v_add_nc_u32_e32 v2, 32, v1
	v_lshlrev_b64 v[2:3], 2, v[2:3]
	s_delay_alu instid0(VALU_DEP_1) | instskip(NEXT) | instid1(VALU_DEP_2)
	v_add_co_u32 v2, vcc_lo, s16, v2
	v_add_co_ci_u32_e32 v3, vcc_lo, s17, v3, vcc_lo
	global_load_b32 v4, v[2:3], off glc
	s_waitcnt vmcnt(0)
	v_lshrrev_b32_e32 v57, 16, v4
	s_delay_alu instid0(VALU_DEP_1) | instskip(NEXT) | instid1(VALU_DEP_1)
	v_and_b32_e32 v58, 0xff, v57
	v_cmpx_eq_u16_e32 0, v58
	s_cbranch_execz .LBB137_60
; %bb.57:
	s_mov_b32 s5, 0
.LBB137_58:                             ; =>This Inner Loop Header: Depth=1
	global_load_b32 v4, v[2:3], off glc
	s_waitcnt vmcnt(0)
	v_lshrrev_b32_e32 v57, 16, v4
	s_delay_alu instid0(VALU_DEP_1) | instskip(NEXT) | instid1(VALU_DEP_1)
	v_and_b32_e32 v58, 0xff, v57
	v_cmp_ne_u16_e32 vcc_lo, 0, v58
	s_or_b32 s5, vcc_lo, s5
	s_delay_alu instid0(SALU_CYCLE_1)
	s_and_not1_b32 exec_lo, exec_lo, s5
	s_cbranch_execnz .LBB137_58
; %bb.59:
	s_or_b32 exec_lo, exec_lo, s5
.LBB137_60:
	s_delay_alu instid0(SALU_CYCLE_1)
	s_or_b32 exec_lo, exec_lo, s4
	v_cmp_ne_u32_e32 vcc_lo, 31, v68
	v_and_b32_e32 v3, 0xffff, v4
	v_and_b32_e32 v60, 0xff, v57
	v_lshlrev_b32_e64 v59, v68, -1
	v_lshlrev_b32_e32 v61, 16, v4
	v_add_co_ci_u32_e32 v2, vcc_lo, 0, v68, vcc_lo
	s_delay_alu instid0(VALU_DEP_4) | instskip(SKIP_1) | instid1(VALU_DEP_3)
	v_cmp_eq_u16_e32 vcc_lo, 2, v60
	v_cmp_gt_u32_e64 s4, 30, v68
	v_lshlrev_b32_e32 v58, 2, v2
	v_and_or_b32 v63, vcc_lo, v59, 0x80000000
	s_delay_alu instid0(VALU_DEP_3) | instskip(SKIP_4) | instid1(VALU_DEP_1)
	v_cndmask_b32_e64 v62, 0, 1, s4
	ds_bpermute_b32 v2, v58, v3
	v_ctz_i32_b32_e32 v71, v63
	s_waitcnt lgkmcnt(0)
	v_lshlrev_b32_e32 v60, 16, v2
	v_cmp_lt_f32_e32 vcc_lo, v60, v61
	v_add_nc_u32_e32 v60, 1, v68
	v_dual_cndmask_b32 v2, v2, v4 :: v_dual_lshlrev_b32 v61, 1, v62
	s_delay_alu instid0(VALU_DEP_2) | instskip(SKIP_1) | instid1(VALU_DEP_3)
	v_cmp_le_u32_e64 s4, v60, v71
	v_cmp_gt_u32_e32 vcc_lo, 28, v68
	v_add_lshl_u32 v61, v61, v68, 2
	s_delay_alu instid0(VALU_DEP_4) | instskip(NEXT) | instid1(VALU_DEP_4)
	v_and_b32_e32 v62, 0xffff, v2
	v_cndmask_b32_e64 v2, v4, v2, s4
	v_cndmask_b32_e64 v65, 0, 1, vcc_lo
	s_delay_alu instid0(VALU_DEP_3) | instskip(SKIP_4) | instid1(VALU_DEP_1)
	v_cndmask_b32_e64 v3, v3, v62, s4
	ds_bpermute_b32 v62, v61, v3
	v_lshlrev_b32_e32 v63, 16, v3
	s_waitcnt lgkmcnt(0)
	v_lshlrev_b32_e32 v64, 16, v62
	v_cmp_lt_f32_e32 vcc_lo, v64, v63
	v_dual_cndmask_b32 v64, v62, v2 :: v_dual_lshlrev_b32 v63, 2, v65
	v_add_nc_u32_e32 v62, 2, v68
	s_delay_alu instid0(VALU_DEP_2) | instskip(SKIP_1) | instid1(VALU_DEP_4)
	v_add_lshl_u32 v63, v63, v68, 2
	v_cmp_gt_u32_e32 vcc_lo, 24, v68
	v_and_b32_e32 v65, 0xffff, v64
	s_delay_alu instid0(VALU_DEP_4) | instskip(NEXT) | instid1(VALU_DEP_1)
	v_cmp_le_u32_e64 s5, v62, v71
	v_cndmask_b32_e64 v3, v3, v65, s5
	v_cndmask_b32_e64 v2, v2, v64, s5
	v_cndmask_b32_e64 v64, 0, 1, vcc_lo
	ds_bpermute_b32 v65, v63, v3
	v_lshlrev_b32_e32 v66, 16, v3
	s_waitcnt lgkmcnt(0)
	v_lshlrev_b32_e32 v67, 16, v65
	s_delay_alu instid0(VALU_DEP_1) | instskip(SKIP_2) | instid1(VALU_DEP_2)
	v_cmp_lt_f32_e32 vcc_lo, v67, v66
	v_dual_cndmask_b32 v66, v65, v2 :: v_dual_lshlrev_b32 v65, 3, v64
	v_add_nc_u32_e32 v64, 4, v68
	v_and_b32_e32 v67, 0xffff, v66
	s_delay_alu instid0(VALU_DEP_3) | instskip(NEXT) | instid1(VALU_DEP_3)
	v_add_lshl_u32 v65, v65, v68, 2
	v_cmp_le_u32_e64 s6, v64, v71
	s_delay_alu instid0(VALU_DEP_1)
	v_cndmask_b32_e64 v67, v3, v67, s6
	v_cndmask_b32_e64 v2, v2, v66, s6
	v_add_nc_u32_e32 v66, 8, v68
	ds_bpermute_b32 v3, v65, v67
	v_lshlrev_b32_e32 v69, 16, v67
	s_waitcnt lgkmcnt(0)
	v_lshlrev_b32_e32 v70, 16, v3
	s_delay_alu instid0(VALU_DEP_1) | instskip(SKIP_2) | instid1(VALU_DEP_2)
	v_cmp_lt_f32_e32 vcc_lo, v70, v69
	v_cndmask_b32_e32 v3, v3, v2, vcc_lo
	v_cmp_gt_u32_e32 vcc_lo, 16, v68
	v_and_b32_e32 v70, 0xffff, v3
	v_cndmask_b32_e64 v69, 0, 1, vcc_lo
	v_cmp_le_u32_e32 vcc_lo, v66, v71
	s_delay_alu instid0(VALU_DEP_2) | instskip(NEXT) | instid1(VALU_DEP_1)
	v_dual_cndmask_b32 v70, v67, v70 :: v_dual_lshlrev_b32 v69, 4, v69
	v_add_lshl_u32 v67, v69, v68, 2
	v_add_nc_u32_e32 v68, 16, v68
	ds_bpermute_b32 v69, v67, v70
	v_cmp_le_u32_e64 s7, v68, v71
	s_delay_alu instid0(VALU_DEP_1) | instskip(NEXT) | instid1(SALU_CYCLE_1)
	s_or_b32 s5, s5, s7
	s_or_b32 s5, s4, s5
	v_cmp_gt_u32_e64 s4, v68, v71
	s_or_b32 s5, s6, s5
	s_delay_alu instid0(SALU_CYCLE_1) | instskip(NEXT) | instid1(SALU_CYCLE_1)
	s_or_b32 s5, vcc_lo, s5
	s_and_saveexec_b32 s6, s5
	s_cbranch_execz .LBB137_62
; %bb.61:
	s_waitcnt lgkmcnt(0)
	v_lshlrev_b32_e32 v4, 16, v69
	v_lshlrev_b32_e32 v70, 16, v70
	v_cndmask_b32_e32 v2, v2, v3, vcc_lo
	s_delay_alu instid0(VALU_DEP_2) | instskip(NEXT) | instid1(VALU_DEP_1)
	v_cmp_lt_f32_e64 s5, v4, v70
	s_or_b32 vcc_lo, s4, s5
	s_delay_alu instid0(VALU_DEP_2)
	v_cndmask_b32_e32 v4, v69, v2, vcc_lo
.LBB137_62:
	s_or_b32 exec_lo, exec_lo, s6
	v_mov_b32_e32 v2, 0
	s_branch .LBB137_64
.LBB137_63:                             ;   in Loop: Header=BB137_64 Depth=1
                                        ; implicit-def: $vgpr4
                                        ; implicit-def: $vgpr57
	s_cbranch_execnz .LBB137_72
.LBB137_64:                             ; =>This Loop Header: Depth=1
                                        ;     Child Loop BB137_67 Depth 2
	v_and_b32_e32 v3, 0xff, v57
	s_waitcnt lgkmcnt(0)
	s_delay_alu instid0(VALU_DEP_2) | instskip(NEXT) | instid1(VALU_DEP_2)
	v_mov_b32_e32 v69, v4
	v_cmp_ne_u16_e32 vcc_lo, 2, v3
	v_cndmask_b32_e64 v3, 0, 1, vcc_lo
	;;#ASMSTART
	;;#ASMEND
	s_delay_alu instid0(VALU_DEP_1)
	v_cmp_ne_u32_e32 vcc_lo, 0, v3
	s_cmp_lg_u32 vcc_lo, exec_lo
	s_cbranch_scc1 .LBB137_63
; %bb.65:                               ;   in Loop: Header=BB137_64 Depth=1
	v_lshlrev_b64 v[3:4], 2, v[1:2]
	s_mov_b32 s4, exec_lo
	s_delay_alu instid0(VALU_DEP_1) | instskip(NEXT) | instid1(VALU_DEP_2)
	v_add_co_u32 v3, vcc_lo, s16, v3
	v_add_co_ci_u32_e32 v4, vcc_lo, s17, v4, vcc_lo
	global_load_b32 v70, v[3:4], off glc
	s_waitcnt vmcnt(0)
	v_lshrrev_b32_e32 v57, 16, v70
	s_delay_alu instid0(VALU_DEP_1) | instskip(NEXT) | instid1(VALU_DEP_1)
	v_and_b32_e32 v71, 0xff, v57
	v_cmpx_eq_u16_e32 0, v71
	s_cbranch_execz .LBB137_69
; %bb.66:                               ;   in Loop: Header=BB137_64 Depth=1
	s_mov_b32 s5, 0
.LBB137_67:                             ;   Parent Loop BB137_64 Depth=1
                                        ; =>  This Inner Loop Header: Depth=2
	global_load_b32 v70, v[3:4], off glc
	s_waitcnt vmcnt(0)
	v_lshrrev_b32_e32 v57, 16, v70
	s_delay_alu instid0(VALU_DEP_1) | instskip(NEXT) | instid1(VALU_DEP_1)
	v_and_b32_e32 v71, 0xff, v57
	v_cmp_ne_u16_e32 vcc_lo, 0, v71
	s_or_b32 s5, vcc_lo, s5
	s_delay_alu instid0(SALU_CYCLE_1)
	s_and_not1_b32 exec_lo, exec_lo, s5
	s_cbranch_execnz .LBB137_67
; %bb.68:                               ;   in Loop: Header=BB137_64 Depth=1
	s_or_b32 exec_lo, exec_lo, s5
.LBB137_69:                             ;   in Loop: Header=BB137_64 Depth=1
	s_delay_alu instid0(SALU_CYCLE_1) | instskip(SKIP_4) | instid1(VALU_DEP_1)
	s_or_b32 exec_lo, exec_lo, s4
	v_and_b32_e32 v3, 0xffff, v70
	v_lshlrev_b32_e32 v72, 16, v70
	ds_bpermute_b32 v4, v58, v3
	v_and_b32_e32 v71, 0xff, v57
	v_cmp_eq_u16_e32 vcc_lo, 2, v71
	v_and_or_b32 v73, vcc_lo, v59, 0x80000000
	s_delay_alu instid0(VALU_DEP_1) | instskip(SKIP_2) | instid1(VALU_DEP_2)
	v_ctz_i32_b32_e32 v73, v73
	s_waitcnt lgkmcnt(0)
	v_lshlrev_b32_e32 v71, 16, v4
	v_cmp_le_u32_e64 s4, v60, v73
	v_cmp_le_u32_e64 s5, v62, v73
	v_cmp_le_u32_e64 s6, v64, v73
	v_cmp_le_u32_e64 s7, v68, v73
	v_cmp_lt_f32_e32 vcc_lo, v71, v72
	v_cndmask_b32_e32 v4, v4, v70, vcc_lo
	s_delay_alu instid0(VALU_DEP_1) | instskip(SKIP_1) | instid1(VALU_DEP_2)
	v_and_b32_e32 v71, 0xffff, v4
	v_cndmask_b32_e64 v4, v70, v4, s4
	v_cndmask_b32_e64 v3, v3, v71, s4
	ds_bpermute_b32 v71, v61, v3
	v_lshlrev_b32_e32 v72, 16, v3
	s_waitcnt lgkmcnt(0)
	v_lshlrev_b32_e32 v74, 16, v71
	s_delay_alu instid0(VALU_DEP_1) | instskip(SKIP_1) | instid1(VALU_DEP_1)
	v_cmp_lt_f32_e32 vcc_lo, v74, v72
	v_cndmask_b32_e32 v71, v71, v4, vcc_lo
	v_and_b32_e32 v72, 0xffff, v71
	v_cndmask_b32_e64 v4, v4, v71, s5
	s_delay_alu instid0(VALU_DEP_2) | instskip(SKIP_1) | instid1(SALU_CYCLE_1)
	v_cndmask_b32_e64 v3, v3, v72, s5
	s_or_b32 s5, s5, s7
	s_or_b32 s5, s4, s5
	v_cmp_gt_u32_e64 s4, v68, v73
	ds_bpermute_b32 v72, v63, v3
	v_lshlrev_b32_e32 v74, 16, v3
	s_or_b32 s5, s6, s5
	s_waitcnt lgkmcnt(0)
	v_lshlrev_b32_e32 v75, 16, v72
	s_delay_alu instid0(VALU_DEP_1) | instskip(SKIP_1) | instid1(VALU_DEP_1)
	v_cmp_lt_f32_e32 vcc_lo, v75, v74
	v_cndmask_b32_e32 v71, v72, v4, vcc_lo
	v_and_b32_e32 v72, 0xffff, v71
	s_delay_alu instid0(VALU_DEP_1)
	v_cndmask_b32_e64 v72, v3, v72, s6
	v_cndmask_b32_e64 v3, v4, v71, s6
	ds_bpermute_b32 v74, v65, v72
	v_lshlrev_b32_e32 v75, 16, v72
	s_waitcnt lgkmcnt(0)
	v_lshlrev_b32_e32 v76, 16, v74
	s_delay_alu instid0(VALU_DEP_1) | instskip(SKIP_2) | instid1(VALU_DEP_2)
	v_cmp_lt_f32_e32 vcc_lo, v76, v75
	v_cndmask_b32_e32 v4, v74, v3, vcc_lo
	v_cmp_le_u32_e32 vcc_lo, v66, v73
	v_and_b32_e32 v71, 0xffff, v4
	s_or_b32 s5, vcc_lo, s5
	s_delay_alu instid0(VALU_DEP_1)
	v_cndmask_b32_e32 v72, v72, v71, vcc_lo
	ds_bpermute_b32 v71, v67, v72
	s_and_saveexec_b32 s6, s5
	s_cbranch_execz .LBB137_71
; %bb.70:                               ;   in Loop: Header=BB137_64 Depth=1
	s_waitcnt lgkmcnt(0)
	v_dual_cndmask_b32 v3, v3, v4 :: v_dual_lshlrev_b32 v70, 16, v71
	v_lshlrev_b32_e32 v72, 16, v72
	s_delay_alu instid0(VALU_DEP_1) | instskip(NEXT) | instid1(VALU_DEP_1)
	v_cmp_lt_f32_e64 s5, v70, v72
	s_or_b32 vcc_lo, s4, s5
	s_delay_alu instid0(VALU_DEP_3)
	v_cndmask_b32_e32 v70, v71, v3, vcc_lo
.LBB137_71:                             ;   in Loop: Header=BB137_64 Depth=1
	s_or_b32 exec_lo, exec_lo, s6
	s_delay_alu instid0(VALU_DEP_1) | instskip(SKIP_2) | instid1(VALU_DEP_2)
	v_lshlrev_b32_e32 v3, 16, v70
	v_lshlrev_b32_e32 v4, 16, v69
	v_subrev_nc_u32_e32 v1, 32, v1
	v_cmp_lt_f32_e32 vcc_lo, v3, v4
	v_cndmask_b32_e32 v4, v70, v69, vcc_lo
	s_branch .LBB137_64
.LBB137_72:
	s_and_saveexec_b32 s4, s3
	s_cbranch_execz .LBB137_74
; %bb.73:
	v_lshlrev_b32_e32 v1, 16, v69
	v_lshlrev_b32_e32 v2, 16, v55
	s_add_i32 s6, s15, 32
	s_mov_b32 s7, 0
	s_delay_alu instid0(SALU_CYCLE_1) | instskip(NEXT) | instid1(VALU_DEP_1)
	s_lshl_b64 s[6:7], s[6:7], 2
	v_cmp_lt_f32_e32 vcc_lo, v1, v2
	v_mov_b32_e32 v2, 0
	s_add_u32 s6, s16, s6
	s_addc_u32 s7, s17, s7
	v_cndmask_b32_e32 v1, v69, v56, vcc_lo
	s_delay_alu instid0(VALU_DEP_1) | instskip(NEXT) | instid1(VALU_DEP_1)
	v_and_b32_e32 v1, 0xffff, v1
	v_or_b32_e32 v1, 0x20000, v1
	global_store_b32 v2, v1, s[6:7]
.LBB137_74:
	s_or_b32 exec_lo, exec_lo, s4
	s_delay_alu instid0(SALU_CYCLE_1)
	s_and_b32 exec_lo, exec_lo, s2
	s_cbranch_execz .LBB137_76
; %bb.75:
	v_mov_b32_e32 v1, 0
	ds_store_b16 v1, v69
.LBB137_76:
	s_or_b32 exec_lo, exec_lo, s20
	s_waitcnt lgkmcnt(0)
	v_dual_mov_b32 v1, 0 :: v_dual_lshlrev_b32 v2, 16, v54
	s_waitcnt_vscnt null, 0x0
	s_barrier
	buffer_gl0_inv
	ds_load_u16 v1, v1
	s_waitcnt lgkmcnt(0)
	v_lshlrev_b32_e32 v3, 16, v1
	s_delay_alu instid0(VALU_DEP_1) | instskip(SKIP_1) | instid1(VALU_DEP_1)
	v_cmp_lt_f32_e32 vcc_lo, v3, v2
	v_cndmask_b32_e32 v2, v1, v54, vcc_lo
	v_cndmask_b32_e64 v1, v2, v1, s2
	s_delay_alu instid0(VALU_DEP_1) | instskip(NEXT) | instid1(VALU_DEP_1)
	v_lshlrev_b32_e32 v2, 16, v1
	v_cmp_lt_f32_e32 vcc_lo, v2, v50
	v_cndmask_b32_e32 v2, v1, v36, vcc_lo
	s_delay_alu instid0(VALU_DEP_1) | instskip(NEXT) | instid1(VALU_DEP_1)
	v_lshlrev_b32_e32 v3, 16, v2
	v_cmp_lt_f32_e32 vcc_lo, v3, v49
	v_cndmask_b32_e32 v3, v2, v32, vcc_lo
	;; [unrolled: 4-line block ×21, first 2 shown]
	s_load_b128 s[4:7], s[0:1], 0x40
	s_branch .LBB137_89
.LBB137_77:
                                        ; implicit-def: $vgpr1
                                        ; implicit-def: $vgpr2
                                        ; implicit-def: $vgpr3
                                        ; implicit-def: $vgpr4
                                        ; implicit-def: $vgpr54
                                        ; implicit-def: $vgpr55
                                        ; implicit-def: $vgpr56
                                        ; implicit-def: $vgpr57
                                        ; implicit-def: $vgpr58
                                        ; implicit-def: $vgpr59
                                        ; implicit-def: $vgpr60
                                        ; implicit-def: $vgpr61
                                        ; implicit-def: $vgpr62
                                        ; implicit-def: $vgpr63
                                        ; implicit-def: $vgpr64
                                        ; implicit-def: $vgpr65
                                        ; implicit-def: $vgpr66
                                        ; implicit-def: $vgpr67
                                        ; implicit-def: $vgpr68
                                        ; implicit-def: $vgpr69
                                        ; implicit-def: $vgpr70
                                        ; implicit-def: $vgpr71
	s_load_b128 s[4:7], s[0:1], 0x40
	s_cbranch_execz .LBB137_89
; %bb.78:
	s_load_b32 s2, s[0:1], 0x50
	s_waitcnt lgkmcnt(0)
	s_bitcmp0_b32 s2, 0
	s_cbranch_scc1 .LBB137_80
; %bb.79:
	v_mov_b32_e32 v1, 0
	s_clause 0x1
	global_load_u16 v2, v1, s[12:13] offset:-2
	global_load_u16 v1, v1, s[4:5]
	s_waitcnt vmcnt(1)
	v_lshlrev_b32_e32 v3, 16, v2
	s_waitcnt vmcnt(0)
	v_lshlrev_b32_e32 v4, 16, v1
	s_delay_alu instid0(VALU_DEP_1)
	v_cmp_lt_f32_e32 vcc_lo, v4, v3
	v_cndmask_b32_e32 v7, v1, v2, vcc_lo
.LBB137_80:
	v_cmp_lt_f32_e32 vcc_lo, v50, v49
	v_add_lshl_u32 v3, v53, v0, 1
	s_mov_b32 s4, exec_lo
	v_cndmask_b32_e32 v1, v36, v32, vcc_lo
	s_delay_alu instid0(VALU_DEP_1) | instskip(NEXT) | instid1(VALU_DEP_1)
	v_lshlrev_b32_e32 v2, 16, v1
	v_cmp_lt_f32_e32 vcc_lo, v2, v48
	v_cndmask_b32_e32 v1, v1, v33, vcc_lo
	s_delay_alu instid0(VALU_DEP_1) | instskip(NEXT) | instid1(VALU_DEP_1)
	v_lshlrev_b32_e32 v2, 16, v1
	v_cmp_lt_f32_e32 vcc_lo, v2, v47
	;; [unrolled: 4-line block ×20, first 2 shown]
	v_cndmask_b32_e32 v1, v1, v51, vcc_lo
	ds_store_b16 v3, v1
	s_waitcnt lgkmcnt(0)
	s_barrier
	buffer_gl0_inv
	v_cmpx_gt_u32_e32 32, v0
	s_cbranch_execz .LBB137_82
; %bb.81:
	v_lshrrev_b32_e32 v2, 3, v0
	v_mbcnt_lo_u32_b32 v58, -1, 0
	s_delay_alu instid0(VALU_DEP_2) | instskip(NEXT) | instid1(VALU_DEP_1)
	v_and_b32_e32 v2, 6, v2
	v_lshl_or_b32 v2, v0, 2, v2
	ds_load_b32 v3, v2
	s_waitcnt lgkmcnt(0)
	v_and_b32_e32 v4, 0xffff0000, v3
	v_lshlrev_b32_e32 v51, 16, v3
	v_lshrrev_b32_e32 v52, 16, v3
	s_delay_alu instid0(VALU_DEP_2) | instskip(NEXT) | instid1(VALU_DEP_2)
	v_cmp_lt_f32_e32 vcc_lo, v51, v4
	v_cndmask_b32_e32 v53, v3, v52, vcc_lo
	s_delay_alu instid0(VALU_DEP_1) | instskip(SKIP_1) | instid1(VALU_DEP_2)
	v_and_b32_e32 v54, 0xffff, v53
	v_lshlrev_b32_e32 v56, 16, v53
	v_mov_b32_dpp v55, v54 row_shr:1 row_mask:0xf bank_mask:0xf
	s_delay_alu instid0(VALU_DEP_1) | instskip(NEXT) | instid1(VALU_DEP_1)
	v_lshlrev_b32_e32 v57, 16, v55
	v_cmp_lt_f32_e32 vcc_lo, v57, v56
	v_dual_cndmask_b32 v55, v55, v53 :: v_dual_and_b32 v56, 15, v58
	s_delay_alu instid0(VALU_DEP_1) | instskip(NEXT) | instid1(VALU_DEP_2)
	v_and_b32_e32 v57, 0xffff, v55
	v_cmp_eq_u32_e32 vcc_lo, 0, v56
	s_delay_alu instid0(VALU_DEP_2) | instskip(NEXT) | instid1(VALU_DEP_1)
	v_dual_cndmask_b32 v53, v55, v53 :: v_dual_cndmask_b32 v54, v57, v54
	v_mov_b32_dpp v57, v54 row_shr:2 row_mask:0xf bank_mask:0xf
	v_lshlrev_b32_e32 v59, 16, v54
	s_delay_alu instid0(VALU_DEP_2) | instskip(NEXT) | instid1(VALU_DEP_1)
	v_lshlrev_b32_e32 v60, 16, v57
	v_cmp_lt_f32_e32 vcc_lo, v60, v59
	v_cndmask_b32_e32 v55, v57, v53, vcc_lo
	v_cmp_lt_u32_e32 vcc_lo, 1, v56
	s_delay_alu instid0(VALU_DEP_2) | instskip(NEXT) | instid1(VALU_DEP_1)
	v_and_b32_e32 v57, 0xffff, v55
	v_dual_cndmask_b32 v53, v53, v55 :: v_dual_cndmask_b32 v54, v54, v57
	s_delay_alu instid0(VALU_DEP_1) | instskip(SKIP_1) | instid1(VALU_DEP_2)
	v_mov_b32_dpp v57, v54 row_shr:4 row_mask:0xf bank_mask:0xf
	v_lshlrev_b32_e32 v59, 16, v54
	v_lshlrev_b32_e32 v60, 16, v57
	s_delay_alu instid0(VALU_DEP_1) | instskip(SKIP_2) | instid1(VALU_DEP_2)
	v_cmp_lt_f32_e32 vcc_lo, v60, v59
	v_cndmask_b32_e32 v55, v57, v53, vcc_lo
	v_cmp_lt_u32_e32 vcc_lo, 3, v56
	v_and_b32_e32 v57, 0xffff, v55
	s_delay_alu instid0(VALU_DEP_1) | instskip(NEXT) | instid1(VALU_DEP_1)
	v_dual_cndmask_b32 v53, v53, v55 :: v_dual_cndmask_b32 v54, v54, v57
	v_mov_b32_dpp v57, v54 row_shr:8 row_mask:0xf bank_mask:0xf
	v_lshlrev_b32_e32 v59, 16, v54
	s_delay_alu instid0(VALU_DEP_2) | instskip(NEXT) | instid1(VALU_DEP_1)
	v_lshlrev_b32_e32 v60, 16, v57
	v_cmp_lt_f32_e32 vcc_lo, v60, v59
	v_dual_cndmask_b32 v55, v57, v53 :: v_dual_add_nc_u32 v60, -1, v58
	v_cmp_lt_u32_e32 vcc_lo, 7, v56
	s_delay_alu instid0(VALU_DEP_2) | instskip(NEXT) | instid1(VALU_DEP_1)
	v_and_b32_e32 v57, 0xffff, v55
	v_dual_cndmask_b32 v53, v53, v55 :: v_dual_cndmask_b32 v54, v54, v57
	v_and_b32_e32 v57, 16, v58
	v_cmp_gt_i32_e32 vcc_lo, 0, v60
	ds_swizzle_b32 v56, v54 offset:swizzle(BROADCAST,32,15)
	v_lshlrev_b32_e32 v54, 16, v54
	v_cmp_eq_u32_e64 s2, 0, v57
	s_waitcnt lgkmcnt(0)
	v_lshlrev_b32_e32 v59, 16, v56
	s_delay_alu instid0(VALU_DEP_1) | instskip(SKIP_1) | instid1(VALU_DEP_2)
	v_cmp_lt_f32_e64 s3, v59, v54
	v_cndmask_b32_e32 v54, v60, v58, vcc_lo
	s_or_b32 vcc_lo, s2, s3
	s_delay_alu instid0(VALU_DEP_1) | instskip(NEXT) | instid1(VALU_DEP_1)
	v_dual_cndmask_b32 v53, v56, v53 :: v_dual_lshlrev_b32 v54, 2, v54
	v_and_b32_e32 v53, 0xffff, v53
	ds_bpermute_b32 v53, v54, v53
	s_waitcnt lgkmcnt(0)
	v_lshlrev_b32_e32 v54, 16, v53
	s_delay_alu instid0(VALU_DEP_1) | instskip(SKIP_2) | instid1(VALU_DEP_2)
	v_cmp_gt_f32_e32 vcc_lo, v51, v54
	v_cndmask_b32_e32 v3, v53, v3, vcc_lo
	v_cmp_eq_u32_e32 vcc_lo, 0, v0
	v_cndmask_b32_e32 v1, v3, v1, vcc_lo
	s_delay_alu instid0(VALU_DEP_1) | instskip(NEXT) | instid1(VALU_DEP_1)
	v_lshlrev_b32_e32 v3, 16, v1
	v_cmp_gt_f32_e32 vcc_lo, v4, v3
	v_cndmask_b32_e32 v3, v1, v52, vcc_lo
	ds_store_b16 v2, v1
	ds_store_b16 v2, v3 offset:2
.LBB137_82:
	s_or_b32 exec_lo, exec_lo, s4
	v_cmp_eq_u32_e32 vcc_lo, 0, v0
	v_lshlrev_b32_e32 v2, 16, v7
	s_mov_b32 s3, exec_lo
	s_waitcnt lgkmcnt(0)
	s_barrier
	buffer_gl0_inv
                                        ; implicit-def: $vgpr1
                                        ; implicit-def: $vgpr51
	v_cmpx_ne_u32_e32 0, v0
	s_xor_b32 s3, exec_lo, s3
	s_cbranch_execz .LBB137_84
; %bb.83:
	v_add_nc_u32_e32 v1, -1, v0
	v_lshlrev_b32_e32 v51, 16, v7
	s_delay_alu instid0(VALU_DEP_2) | instskip(NEXT) | instid1(VALU_DEP_1)
	v_lshrrev_b32_e32 v2, 5, v1
	v_add_lshl_u32 v1, v2, v1, 1
	ds_load_u16 v1, v1
	s_waitcnt lgkmcnt(0)
	v_lshlrev_b32_e32 v2, 16, v1
	s_delay_alu instid0(VALU_DEP_1) | instskip(NEXT) | instid1(VALU_DEP_1)
	v_cmp_lt_f32_e64 s2, v51, v2
	v_cndmask_b32_e64 v1, v7, v1, s2
	s_delay_alu instid0(VALU_DEP_1)
	v_lshlrev_b32_e32 v2, 16, v1
.LBB137_84:
	s_and_not1_saveexec_b32 s2, s3
; %bb.85:
	s_delay_alu instid0(VALU_DEP_1)
	v_mov_b32_e32 v51, v2
	v_mov_b32_e32 v1, v7
; %bb.86:
	s_or_b32 exec_lo, exec_lo, s2
	v_cmp_lt_f32_e64 s2, v2, v50
	s_delay_alu instid0(VALU_DEP_1) | instskip(NEXT) | instid1(VALU_DEP_1)
	v_cndmask_b32_e64 v2, v1, v36, s2
	v_lshlrev_b32_e32 v3, 16, v2
	s_delay_alu instid0(VALU_DEP_1) | instskip(NEXT) | instid1(VALU_DEP_1)
	v_cmp_lt_f32_e64 s2, v3, v49
	v_cndmask_b32_e64 v3, v2, v32, s2
	s_delay_alu instid0(VALU_DEP_1) | instskip(NEXT) | instid1(VALU_DEP_1)
	v_lshlrev_b32_e32 v4, 16, v3
	v_cmp_lt_f32_e64 s2, v4, v48
	s_delay_alu instid0(VALU_DEP_1) | instskip(NEXT) | instid1(VALU_DEP_1)
	v_cndmask_b32_e64 v4, v3, v33, s2
	v_lshlrev_b32_e32 v32, 16, v4
	s_delay_alu instid0(VALU_DEP_1) | instskip(NEXT) | instid1(VALU_DEP_1)
	v_cmp_lt_f32_e64 s2, v32, v47
	v_cndmask_b32_e64 v54, v4, v27, s2
	s_delay_alu instid0(VALU_DEP_1) | instskip(NEXT) | instid1(VALU_DEP_1)
	v_lshlrev_b32_e32 v27, 16, v54
	;; [unrolled: 9-line block ×10, first 2 shown]
	v_cmp_lt_f32_e64 s2, v10, v23
	s_and_saveexec_b32 s3, vcc_lo
	s_cbranch_execz .LBB137_88
; %bb.87:
	v_mov_b32_e32 v10, 0
	ds_load_u16 v11, v10 offset:128
	s_waitcnt lgkmcnt(0)
	v_lshlrev_b32_e32 v12, 16, v11
	s_delay_alu instid0(VALU_DEP_1) | instskip(SKIP_1) | instid1(VALU_DEP_1)
	v_cmp_lt_f32_e32 vcc_lo, v51, v12
	v_cndmask_b32_e32 v7, v7, v11, vcc_lo
	v_and_b32_e32 v7, 0xffff, v7
	s_delay_alu instid0(VALU_DEP_1)
	v_or_b32_e32 v7, 0x20000, v7
	global_store_b32 v10, v7, s[16:17] offset:128
.LBB137_88:
	s_or_b32 exec_lo, exec_lo, s3
	s_delay_alu instid0(VALU_DEP_1)
	v_cndmask_b32_e64 v71, v70, v9, s2
.LBB137_89:
	v_perm_b32 v4, v4, v3, 0x5040100
	v_perm_b32 v7, v2, v1, 0x5040100
	;; [unrolled: 1-line block ×11, first 2 shown]
	s_add_u32 s2, s8, s10
	s_addc_u32 s3, s9, s11
	s_and_b32 vcc_lo, exec_lo, s19
	s_waitcnt lgkmcnt(0)
	s_mov_b32 s4, -1
	s_waitcnt_vscnt null, 0x0
	s_barrier
	buffer_gl0_inv
	s_cbranch_vccz .LBB137_91
; %bb.90:
	ds_store_2addr_b32 v8, v7, v4 offset1:1
	ds_store_2addr_b32 v8, v10, v9 offset0:2 offset1:3
	ds_store_2addr_b32 v8, v12, v11 offset0:4 offset1:5
	;; [unrolled: 1-line block ×4, first 2 shown]
	ds_store_b32 v8, v3 offset:40
	s_waitcnt lgkmcnt(0)
	s_barrier
	buffer_gl0_inv
	ds_load_u16 v15, v5
	ds_load_u16 v16, v5 offset:128
	ds_load_u16 v17, v5 offset:256
	;; [unrolled: 1-line block ×21, first 2 shown]
	s_mov_b32 s4, 0
	s_waitcnt lgkmcnt(21)
	global_store_b16 v5, v15, s[2:3]
	s_waitcnt lgkmcnt(20)
	global_store_b16 v5, v16, s[2:3] offset:128
	s_waitcnt lgkmcnt(19)
	global_store_b16 v5, v17, s[2:3] offset:256
	;; [unrolled: 2-line block ×21, first 2 shown]
.LBB137_91:
	s_and_not1_b32 vcc_lo, exec_lo, s4
	s_cbranch_vccnz .LBB137_218
; %bb.92:
	v_mad_i32_i24 v27, 0xffffffd6, v0, v8
	ds_store_2addr_b32 v8, v7, v4 offset1:1
	ds_store_2addr_b32 v8, v10, v9 offset0:2 offset1:3
	ds_store_2addr_b32 v8, v12, v11 offset0:4 offset1:5
	ds_store_2addr_b32 v8, v14, v13 offset0:6 offset1:7
	ds_store_2addr_b32 v8, v2, v1 offset0:8 offset1:9
	ds_store_b32 v8, v3 offset:40
	s_waitcnt lgkmcnt(0)
	s_waitcnt_vscnt null, 0x0
	s_barrier
	buffer_gl0_inv
	ds_load_u16 v7, v27
	ds_load_u16 v4, v27 offset:128
	ds_load_u16 v9, v27 offset:256
	;; [unrolled: 1-line block ×21, first 2 shown]
	v_add_co_u32 v2, s2, s2, v5
	v_mov_b32_e32 v1, 0
	v_add_co_ci_u32_e64 v3, null, s3, 0, s2
	s_mov_b32 s2, exec_lo
	v_cmpx_gt_u32_e64 s14, v0
	s_cbranch_execz .LBB137_94
; %bb.93:
	s_waitcnt lgkmcnt(21)
	global_store_b16 v[2:3], v7, off
.LBB137_94:
	s_or_b32 exec_lo, exec_lo, s2
	v_or_b32_e32 v5, 64, v0
	s_mov_b32 s2, exec_lo
	s_delay_alu instid0(VALU_DEP_1)
	v_cmpx_gt_u32_e64 s14, v5
	s_cbranch_execz .LBB137_96
; %bb.95:
	s_waitcnt lgkmcnt(20)
	global_store_b16 v[2:3], v4, off offset:128
.LBB137_96:
	s_or_b32 exec_lo, exec_lo, s2
	v_or_b32_e32 v5, 0x80, v0
	s_mov_b32 s2, exec_lo
	s_delay_alu instid0(VALU_DEP_1)
	v_cmpx_gt_u32_e64 s14, v5
	s_cbranch_execz .LBB137_98
; %bb.97:
	s_waitcnt lgkmcnt(19)
	global_store_b16 v[2:3], v9, off offset:256
.LBB137_98:
	;; [unrolled: 10-line block ×21, first 2 shown]
	s_or_b32 exec_lo, exec_lo, s2
	s_load_b32 s0, s[0:1], 0x50
	s_waitcnt lgkmcnt(0)
	s_bfe_u32 s0, s0, 0x10008
	s_delay_alu instid0(SALU_CYCLE_1)
	s_cmp_eq_u32 s0, 0
	s_cbranch_scc1 .LBB137_218
; %bb.137:
	s_add_u32 s0, s14, -1
	s_addc_u32 s1, s18, -1
	s_add_u32 s2, 0, 0x2e8b0a00
	s_addc_u32 s3, 0, 42
	s_mul_hi_u32 s5, s2, 0xffffffea
	s_add_i32 s3, s3, 0xba2e890
	s_sub_i32 s5, s5, s2
	s_mul_i32 s8, s3, 0xffffffea
	s_mul_i32 s4, s2, 0xffffffea
	s_add_i32 s5, s5, s8
	s_mul_hi_u32 s9, s3, s4
	s_mul_i32 s8, s3, s4
	s_mul_i32 s10, s2, s5
	s_mul_hi_u32 s4, s2, s4
	s_mul_hi_u32 s11, s2, s5
	s_add_u32 s4, s4, s10
	s_addc_u32 s10, 0, s11
	s_mul_hi_u32 s11, s3, s5
	s_add_u32 s4, s4, s8
	s_addc_u32 s4, s10, s9
	s_mul_i32 s5, s3, s5
	s_addc_u32 s8, s11, 0
	s_add_u32 s4, s4, s5
	s_delay_alu instid0(SALU_CYCLE_1) | instskip(SKIP_2) | instid1(VALU_DEP_1)
	v_add_co_u32 v2, s2, s2, s4
	s_addc_u32 s4, 0, s8
	s_cmp_lg_u32 s2, 0
	v_readfirstlane_b32 s2, v2
	s_addc_u32 s3, s3, s4
	s_delay_alu instid0(SALU_CYCLE_1) | instskip(SKIP_1) | instid1(VALU_DEP_1)
	s_mul_i32 s4, s0, s3
	s_mul_hi_u32 s8, s0, s3
	s_mul_hi_u32 s5, s0, s2
	s_mul_i32 s9, s1, s2
	s_add_u32 s4, s5, s4
	s_addc_u32 s5, 0, s8
	s_mul_hi_u32 s2, s1, s2
	s_mul_hi_u32 s8, s1, s3
	s_add_u32 s4, s4, s9
	s_addc_u32 s2, s5, s2
	s_mul_i32 s3, s1, s3
	s_addc_u32 s4, s8, 0
	s_add_u32 s2, s2, s3
	s_addc_u32 s3, 0, s4
	s_mul_i32 s5, s2, 22
	s_add_u32 s4, s2, 1
	v_sub_co_u32 v2, s5, s0, s5
	s_addc_u32 s8, s3, 0
	s_mul_i32 s10, s3, 22
	s_mul_hi_u32 s12, s2, 22
	s_delay_alu instid0(VALU_DEP_1)
	v_sub_co_u32 v3, s11, v2, 22
	s_add_u32 s9, s2, 2
	s_addc_u32 s13, s3, 0
	s_add_i32 s12, s12, s10
	s_cmp_lg_u32 s5, 0
	v_readfirstlane_b32 s5, v3
	s_subb_u32 s10, s1, s12
	s_cmp_lg_u32 s11, 0
	s_subb_u32 s11, s10, 0
	s_delay_alu instid0(VALU_DEP_1) | instskip(SKIP_4) | instid1(SALU_CYCLE_1)
	s_cmp_gt_u32 s5, 21
	s_cselect_b32 s5, -1, 0
	s_cmp_eq_u32 s11, 0
	v_readfirstlane_b32 s11, v2
	s_cselect_b32 s5, s5, -1
	s_cmp_lg_u32 s5, 0
	s_cselect_b32 s4, s9, s4
	s_cselect_b32 s5, s13, s8
	s_cmp_gt_u32 s11, 21
	s_cselect_b32 s8, -1, 0
	s_cmp_eq_u32 s10, 0
	s_cselect_b32 s8, s8, -1
	s_delay_alu instid0(SALU_CYCLE_1) | instskip(SKIP_2) | instid1(SALU_CYCLE_1)
	s_cmp_lg_u32 s8, 0
	s_cselect_b32 s3, s5, s3
	s_cselect_b32 s2, s4, s2
	v_cmp_eq_u64_e32 vcc_lo, s[2:3], v[0:1]
	s_and_saveexec_b32 s2, vcc_lo
	s_cbranch_execz .LBB137_218
; %bb.138:
	v_mul_hi_u32_u24_e32 v1, 22, v0
	v_sub_co_u32 v0, vcc_lo, s0, v6
	s_mov_b32 s0, 0
	s_mov_b32 s2, 0
	s_delay_alu instid0(VALU_DEP_2) | instskip(SKIP_1) | instid1(VALU_DEP_1)
	v_sub_co_ci_u32_e32 v1, vcc_lo, s1, v1, vcc_lo
	s_mov_b32 s1, exec_lo
	v_cmpx_lt_i64_e32 10, v[0:1]
	s_xor_b32 s1, exec_lo, s1
	s_cbranch_execnz .LBB137_142
; %bb.139:
	s_or_saveexec_b32 s1, s1
	s_mov_b32 s3, 0
	s_xor_b32 exec_lo, exec_lo, s1
	s_cbranch_execnz .LBB137_183
.LBB137_140:
	s_or_b32 exec_lo, exec_lo, s1
	s_and_saveexec_b32 s1, s2
	s_cbranch_execnz .LBB137_194
.LBB137_141:
	s_or_b32 exec_lo, exec_lo, s1
	s_and_saveexec_b32 s1, s0
	s_cbranch_execnz .LBB137_195
	s_branch .LBB137_199
.LBB137_142:
	s_mov_b32 s3, 0
	s_mov_b32 s2, exec_lo
	v_cmpx_lt_i64_e32 15, v[0:1]
	s_xor_b32 s2, exec_lo, s2
	s_cbranch_execz .LBB137_164
; %bb.143:
	s_mov_b32 s4, exec_lo
                                        ; implicit-def: $vgpr14
	v_cmpx_lt_i64_e32 18, v[0:1]
	s_xor_b32 s4, exec_lo, s4
	s_cbranch_execz .LBB137_153
; %bb.144:
	s_mov_b32 s5, 0
	s_mov_b32 s3, exec_lo
                                        ; implicit-def: $vgpr14
	v_cmpx_lt_i64_e32 19, v[0:1]
	s_xor_b32 s3, exec_lo, s3
	s_cbranch_execz .LBB137_150
; %bb.145:
	s_mov_b32 s5, exec_lo
	v_cmpx_lt_i64_e32 20, v[0:1]
	s_xor_b32 s5, exec_lo, s5
	s_cbranch_execz .LBB137_147
; %bb.146:
	v_mov_b32_e32 v2, 0
                                        ; implicit-def: $vgpr21
	global_store_b16 v2, v27, s[6:7]
.LBB137_147:
	s_or_saveexec_b32 s5, s5
	s_mov_b32 s8, 0
	s_xor_b32 exec_lo, exec_lo, s5
; %bb.148:
	s_delay_alu instid0(SALU_CYCLE_1)
	s_mov_b32 s8, exec_lo
; %bb.149:
	s_or_b32 exec_lo, exec_lo, s5
	v_mov_b32_e32 v14, v21
	s_and_b32 s5, s8, exec_lo
                                        ; implicit-def: $vgpr26
.LBB137_150:
	s_and_not1_saveexec_b32 s3, s3
	s_cbranch_execz .LBB137_152
; %bb.151:
	v_mov_b32_e32 v2, 0
                                        ; implicit-def: $vgpr14
	global_store_b16 v2, v26, s[6:7]
.LBB137_152:
	s_or_b32 exec_lo, exec_lo, s3
	s_delay_alu instid0(SALU_CYCLE_1)
	s_and_b32 s3, s5, exec_lo
                                        ; implicit-def: $vgpr23
                                        ; implicit-def: $vgpr20
                                        ; implicit-def: $vgpr25
.LBB137_153:
	s_and_not1_saveexec_b32 s4, s4
	s_cbranch_execz .LBB137_163
; %bb.154:
	s_mov_b32 s5, exec_lo
	v_cmpx_lt_i64_e32 16, v[0:1]
	s_xor_b32 s5, exec_lo, s5
	s_cbranch_execz .LBB137_160
; %bb.155:
	s_mov_b32 s8, exec_lo
	v_cmpx_lt_i64_e32 17, v[0:1]
	s_xor_b32 s8, exec_lo, s8
	s_cbranch_execz .LBB137_157
; %bb.156:
	v_mov_b32_e32 v2, 0
                                        ; implicit-def: $vgpr20
	global_store_b16 v2, v25, s[6:7]
.LBB137_157:
	s_and_not1_saveexec_b32 s8, s8
	s_cbranch_execz .LBB137_159
; %bb.158:
	v_mov_b32_e32 v2, 0
	global_store_b16 v2, v20, s[6:7]
.LBB137_159:
	s_or_b32 exec_lo, exec_lo, s8
                                        ; implicit-def: $vgpr23
.LBB137_160:
	s_and_not1_saveexec_b32 s5, s5
	s_cbranch_execz .LBB137_162
; %bb.161:
	v_mov_b32_e32 v2, 0
	global_store_b16 v2, v23, s[6:7]
.LBB137_162:
	s_or_b32 exec_lo, exec_lo, s5
                                        ; implicit-def: $vgpr14
.LBB137_163:
	s_delay_alu instid0(SALU_CYCLE_1) | instskip(NEXT) | instid1(SALU_CYCLE_1)
	s_or_b32 exec_lo, exec_lo, s4
	s_and_b32 s3, s3, exec_lo
                                        ; implicit-def: $vgpr22
                                        ; implicit-def: $vgpr19
                                        ; implicit-def: $vgpr18
                                        ; implicit-def: $vgpr24
.LBB137_164:
	s_and_not1_saveexec_b32 s2, s2
	s_cbranch_execz .LBB137_182
; %bb.165:
	s_mov_b32 s4, exec_lo
	v_cmpx_lt_i64_e32 12, v[0:1]
	s_xor_b32 s4, exec_lo, s4
	s_cbranch_execz .LBB137_175
; %bb.166:
	s_mov_b32 s5, exec_lo
	v_cmpx_lt_i64_e32 13, v[0:1]
	s_xor_b32 s5, exec_lo, s5
	;; [unrolled: 5-line block ×3, first 2 shown]
	s_cbranch_execz .LBB137_169
; %bb.168:
	v_mov_b32_e32 v2, 0
                                        ; implicit-def: $vgpr18
	global_store_b16 v2, v24, s[6:7]
.LBB137_169:
	s_and_not1_saveexec_b32 s8, s8
	s_cbranch_execz .LBB137_171
; %bb.170:
	v_mov_b32_e32 v2, 0
	global_store_b16 v2, v18, s[6:7]
.LBB137_171:
	s_or_b32 exec_lo, exec_lo, s8
                                        ; implicit-def: $vgpr22
.LBB137_172:
	s_and_not1_saveexec_b32 s5, s5
	s_cbranch_execz .LBB137_174
; %bb.173:
	v_mov_b32_e32 v2, 0
	global_store_b16 v2, v22, s[6:7]
.LBB137_174:
	s_or_b32 exec_lo, exec_lo, s5
                                        ; implicit-def: $vgpr14
                                        ; implicit-def: $vgpr19
.LBB137_175:
	s_or_saveexec_b32 s4, s4
	s_mov_b32 s5, s3
	s_xor_b32 exec_lo, exec_lo, s4
	s_cbranch_execz .LBB137_181
; %bb.176:
	s_mov_b32 s5, exec_lo
	v_cmpx_lt_i64_e32 11, v[0:1]
	s_xor_b32 s5, exec_lo, s5
	s_cbranch_execz .LBB137_178
; %bb.177:
	v_mov_b32_e32 v2, 0
                                        ; implicit-def: $vgpr14
	global_store_b16 v2, v19, s[6:7]
.LBB137_178:
	s_or_saveexec_b32 s5, s5
	s_mov_b32 s8, s3
	s_xor_b32 exec_lo, exec_lo, s5
; %bb.179:
	s_delay_alu instid0(SALU_CYCLE_1)
	s_or_b32 s8, s3, exec_lo
; %bb.180:
	s_or_b32 exec_lo, exec_lo, s5
	s_delay_alu instid0(SALU_CYCLE_1) | instskip(SKIP_1) | instid1(SALU_CYCLE_1)
	s_and_not1_b32 s5, s3, exec_lo
	s_and_b32 s8, s8, exec_lo
	s_or_b32 s5, s5, s8
.LBB137_181:
	s_or_b32 exec_lo, exec_lo, s4
	s_delay_alu instid0(SALU_CYCLE_1) | instskip(SKIP_1) | instid1(SALU_CYCLE_1)
	s_and_not1_b32 s3, s3, exec_lo
	s_and_b32 s4, s5, exec_lo
	s_or_b32 s3, s3, s4
.LBB137_182:
	s_or_b32 exec_lo, exec_lo, s2
	s_delay_alu instid0(SALU_CYCLE_1)
	s_and_b32 s2, s3, exec_lo
                                        ; implicit-def: $vgpr16
                                        ; implicit-def: $vgpr17
                                        ; implicit-def: $vgpr15
	s_or_saveexec_b32 s1, s1
	s_mov_b32 s3, 0
	s_xor_b32 exec_lo, exec_lo, s1
	s_cbranch_execz .LBB137_140
.LBB137_183:
	s_mov_b32 s4, 0
	s_mov_b32 s3, -1
	s_mov_b32 s5, s2
	s_mov_b32 s0, exec_lo
                                        ; implicit-def: $vgpr14
	v_cmpx_lt_i64_e32 5, v[0:1]
	s_cbranch_execz .LBB137_193
; %bb.184:
	s_mov_b32 s4, -1
	s_mov_b32 s5, s2
	s_mov_b32 s3, exec_lo
	v_cmpx_lt_i64_e32 7, v[0:1]
	s_cbranch_execz .LBB137_192
; %bb.185:
	s_mov_b32 s4, exec_lo
	v_cmpx_lt_i64_e32 8, v[0:1]
	s_cbranch_execz .LBB137_191
; %bb.186:
	s_mov_b32 s5, exec_lo
	v_cmpx_lt_i64_e32 9, v[0:1]
	s_xor_b32 s5, exec_lo, s5
; %bb.187:
                                        ; implicit-def: $vgpr17
; %bb.188:
	s_delay_alu instid0(SALU_CYCLE_1)
	s_and_not1_saveexec_b32 s5, s5
; %bb.189:
	v_mov_b32_e32 v15, v17
; %bb.190:
	s_or_b32 exec_lo, exec_lo, s5
	s_delay_alu instid0(VALU_DEP_1)
	v_mov_b32_e32 v16, v15
.LBB137_191:
	s_or_b32 exec_lo, exec_lo, s4
	s_delay_alu instid0(SALU_CYCLE_1)
	s_xor_b32 s4, exec_lo, -1
	s_or_b32 s5, s2, exec_lo
.LBB137_192:
	s_or_b32 exec_lo, exec_lo, s3
	v_mov_b32_e32 v14, v16
	s_and_not1_b32 s8, s2, exec_lo
	s_and_b32 s5, s5, exec_lo
	s_xor_b32 s3, exec_lo, -1
	s_and_b32 s4, s4, exec_lo
	s_or_b32 s5, s8, s5
.LBB137_193:
	s_or_b32 exec_lo, exec_lo, s0
	s_delay_alu instid0(SALU_CYCLE_1)
	s_and_not1_b32 s2, s2, exec_lo
	s_and_b32 s5, s5, exec_lo
	s_and_b32 s3, s3, exec_lo
	;; [unrolled: 1-line block ×3, first 2 shown]
	s_or_b32 s2, s2, s5
	s_or_b32 exec_lo, exec_lo, s1
	s_and_saveexec_b32 s1, s2
	s_cbranch_execz .LBB137_141
.LBB137_194:
	v_mov_b32_e32 v2, 0
	global_store_b16 v2, v14, s[6:7]
	s_or_b32 exec_lo, exec_lo, s1
	s_and_saveexec_b32 s1, s0
	s_cbranch_execz .LBB137_199
.LBB137_195:
	s_mov_b32 s0, exec_lo
	v_cmpx_lt_i64_e32 6, v[0:1]
	s_xor_b32 s0, exec_lo, s0
	s_cbranch_execz .LBB137_197
; %bb.196:
	v_mov_b32_e32 v2, 0
                                        ; implicit-def: $vgpr12
	global_store_b16 v2, v13, s[6:7]
.LBB137_197:
	s_and_not1_saveexec_b32 s0, s0
	s_cbranch_execz .LBB137_199
; %bb.198:
	v_mov_b32_e32 v2, 0
	global_store_b16 v2, v12, s[6:7]
.LBB137_199:
	s_or_b32 exec_lo, exec_lo, s1
	s_delay_alu instid0(SALU_CYCLE_1)
	s_and_b32 exec_lo, exec_lo, s3
	s_cbranch_execz .LBB137_218
; %bb.200:
	s_mov_b32 s0, exec_lo
	v_cmpx_lt_i64_e32 2, v[0:1]
	s_xor_b32 s0, exec_lo, s0
	s_cbranch_execz .LBB137_210
; %bb.201:
	s_mov_b32 s1, exec_lo
	v_cmpx_lt_i64_e32 3, v[0:1]
	s_xor_b32 s1, exec_lo, s1
	s_cbranch_execz .LBB137_207
; %bb.202:
	s_mov_b32 s2, exec_lo
	v_cmpx_lt_i64_e32 4, v[0:1]
	s_xor_b32 s2, exec_lo, s2
	s_cbranch_execz .LBB137_204
; %bb.203:
	v_mov_b32_e32 v0, 0
                                        ; implicit-def: $vgpr8
	global_store_b16 v0, v11, s[6:7]
.LBB137_204:
	s_and_not1_saveexec_b32 s2, s2
	s_cbranch_execz .LBB137_206
; %bb.205:
	v_mov_b32_e32 v0, 0
	global_store_b16 v0, v8, s[6:7]
.LBB137_206:
	s_or_b32 exec_lo, exec_lo, s2
                                        ; implicit-def: $vgpr10
.LBB137_207:
	s_and_not1_saveexec_b32 s1, s1
	s_cbranch_execz .LBB137_209
; %bb.208:
	v_mov_b32_e32 v0, 0
	global_store_b16 v0, v10, s[6:7]
.LBB137_209:
	s_or_b32 exec_lo, exec_lo, s1
                                        ; implicit-def: $vgpr0_vgpr1
                                        ; implicit-def: $vgpr9
                                        ; implicit-def: $vgpr4
                                        ; implicit-def: $vgpr7
.LBB137_210:
	s_and_not1_saveexec_b32 s0, s0
	s_cbranch_execz .LBB137_218
; %bb.211:
	s_mov_b32 s0, exec_lo
	v_cmpx_lt_i64_e32 1, v[0:1]
	s_xor_b32 s0, exec_lo, s0
	s_cbranch_execz .LBB137_213
; %bb.212:
	v_mov_b32_e32 v0, 0
                                        ; implicit-def: $vgpr4
                                        ; implicit-def: $vgpr7
	global_store_b16 v0, v9, s[6:7]
                                        ; implicit-def: $vgpr0_vgpr1
.LBB137_213:
	s_and_not1_saveexec_b32 s0, s0
	s_cbranch_execz .LBB137_218
; %bb.214:
	s_mov_b32 s0, exec_lo
	v_cmpx_ne_u64_e32 1, v[0:1]
	s_xor_b32 s0, exec_lo, s0
	s_cbranch_execz .LBB137_216
; %bb.215:
	v_mov_b32_e32 v0, 0
                                        ; implicit-def: $vgpr4
	global_store_b16 v0, v7, s[6:7]
.LBB137_216:
	s_and_not1_saveexec_b32 s0, s0
	s_cbranch_execz .LBB137_218
; %bb.217:
	v_mov_b32_e32 v0, 0
	global_store_b16 v0, v4, s[6:7]
.LBB137_218:
	s_nop 0
	s_sendmsg sendmsg(MSG_DEALLOC_VGPRS)
	s_endpgm
	.section	.rodata,"a",@progbits
	.p2align	6, 0x0
	.amdhsa_kernel _ZN7rocprim6detail20lookback_scan_kernelILNS0_25lookback_scan_determinismE0ELb1ENS0_19wrapped_scan_configINS_14default_configE12hip_bfloat16EEN6hipcub22TransformInputIteratorIS5_NS7_6CastOpIS5_EEPS5_lEESB_NS7_3MaxENS_12future_valueIS5_SB_EES5_NS0_19lookback_scan_stateIS5_Lb0ELb1EEEEEvT2_T3_mT5_T4_T7_jPT6_SO_bb
		.amdhsa_group_segment_fixed_size 2816
		.amdhsa_private_segment_fixed_size 0
		.amdhsa_kernarg_size 84
		.amdhsa_user_sgpr_count 15
		.amdhsa_user_sgpr_dispatch_ptr 0
		.amdhsa_user_sgpr_queue_ptr 0
		.amdhsa_user_sgpr_kernarg_segment_ptr 1
		.amdhsa_user_sgpr_dispatch_id 0
		.amdhsa_user_sgpr_private_segment_size 0
		.amdhsa_wavefront_size32 1
		.amdhsa_uses_dynamic_stack 0
		.amdhsa_enable_private_segment 0
		.amdhsa_system_sgpr_workgroup_id_x 1
		.amdhsa_system_sgpr_workgroup_id_y 0
		.amdhsa_system_sgpr_workgroup_id_z 0
		.amdhsa_system_sgpr_workgroup_info 0
		.amdhsa_system_vgpr_workitem_id 0
		.amdhsa_next_free_vgpr 77
		.amdhsa_next_free_sgpr 21
		.amdhsa_reserve_vcc 1
		.amdhsa_float_round_mode_32 0
		.amdhsa_float_round_mode_16_64 0
		.amdhsa_float_denorm_mode_32 3
		.amdhsa_float_denorm_mode_16_64 3
		.amdhsa_dx10_clamp 1
		.amdhsa_ieee_mode 1
		.amdhsa_fp16_overflow 0
		.amdhsa_workgroup_processor_mode 1
		.amdhsa_memory_ordered 1
		.amdhsa_forward_progress 0
		.amdhsa_shared_vgpr_count 0
		.amdhsa_exception_fp_ieee_invalid_op 0
		.amdhsa_exception_fp_denorm_src 0
		.amdhsa_exception_fp_ieee_div_zero 0
		.amdhsa_exception_fp_ieee_overflow 0
		.amdhsa_exception_fp_ieee_underflow 0
		.amdhsa_exception_fp_ieee_inexact 0
		.amdhsa_exception_int_div_zero 0
	.end_amdhsa_kernel
	.section	.text._ZN7rocprim6detail20lookback_scan_kernelILNS0_25lookback_scan_determinismE0ELb1ENS0_19wrapped_scan_configINS_14default_configE12hip_bfloat16EEN6hipcub22TransformInputIteratorIS5_NS7_6CastOpIS5_EEPS5_lEESB_NS7_3MaxENS_12future_valueIS5_SB_EES5_NS0_19lookback_scan_stateIS5_Lb0ELb1EEEEEvT2_T3_mT5_T4_T7_jPT6_SO_bb,"axG",@progbits,_ZN7rocprim6detail20lookback_scan_kernelILNS0_25lookback_scan_determinismE0ELb1ENS0_19wrapped_scan_configINS_14default_configE12hip_bfloat16EEN6hipcub22TransformInputIteratorIS5_NS7_6CastOpIS5_EEPS5_lEESB_NS7_3MaxENS_12future_valueIS5_SB_EES5_NS0_19lookback_scan_stateIS5_Lb0ELb1EEEEEvT2_T3_mT5_T4_T7_jPT6_SO_bb,comdat
.Lfunc_end137:
	.size	_ZN7rocprim6detail20lookback_scan_kernelILNS0_25lookback_scan_determinismE0ELb1ENS0_19wrapped_scan_configINS_14default_configE12hip_bfloat16EEN6hipcub22TransformInputIteratorIS5_NS7_6CastOpIS5_EEPS5_lEESB_NS7_3MaxENS_12future_valueIS5_SB_EES5_NS0_19lookback_scan_stateIS5_Lb0ELb1EEEEEvT2_T3_mT5_T4_T7_jPT6_SO_bb, .Lfunc_end137-_ZN7rocprim6detail20lookback_scan_kernelILNS0_25lookback_scan_determinismE0ELb1ENS0_19wrapped_scan_configINS_14default_configE12hip_bfloat16EEN6hipcub22TransformInputIteratorIS5_NS7_6CastOpIS5_EEPS5_lEESB_NS7_3MaxENS_12future_valueIS5_SB_EES5_NS0_19lookback_scan_stateIS5_Lb0ELb1EEEEEvT2_T3_mT5_T4_T7_jPT6_SO_bb
                                        ; -- End function
	.section	.AMDGPU.csdata,"",@progbits
; Kernel info:
; codeLenInByte = 10196
; NumSgprs: 23
; NumVgprs: 77
; ScratchSize: 0
; MemoryBound: 0
; FloatMode: 240
; IeeeMode: 1
; LDSByteSize: 2816 bytes/workgroup (compile time only)
; SGPRBlocks: 2
; VGPRBlocks: 9
; NumSGPRsForWavesPerEU: 23
; NumVGPRsForWavesPerEU: 77
; Occupancy: 16
; WaveLimiterHint : 1
; COMPUTE_PGM_RSRC2:SCRATCH_EN: 0
; COMPUTE_PGM_RSRC2:USER_SGPR: 15
; COMPUTE_PGM_RSRC2:TRAP_HANDLER: 0
; COMPUTE_PGM_RSRC2:TGID_X_EN: 1
; COMPUTE_PGM_RSRC2:TGID_Y_EN: 0
; COMPUTE_PGM_RSRC2:TGID_Z_EN: 0
; COMPUTE_PGM_RSRC2:TIDIG_COMP_CNT: 0
	.section	.text._ZN7rocprim6detail18single_scan_kernelILb1ENS0_19wrapped_scan_configINS_14default_configE12hip_bfloat16EEN6hipcub22TransformInputIteratorIS4_NS6_6CastOpIS4_EEPS4_lEESA_NS6_3MaxENS_12future_valueIS4_SA_EES4_EEvT1_mT4_T2_T3_,"axG",@progbits,_ZN7rocprim6detail18single_scan_kernelILb1ENS0_19wrapped_scan_configINS_14default_configE12hip_bfloat16EEN6hipcub22TransformInputIteratorIS4_NS6_6CastOpIS4_EEPS4_lEESA_NS6_3MaxENS_12future_valueIS4_SA_EES4_EEvT1_mT4_T2_T3_,comdat
	.protected	_ZN7rocprim6detail18single_scan_kernelILb1ENS0_19wrapped_scan_configINS_14default_configE12hip_bfloat16EEN6hipcub22TransformInputIteratorIS4_NS6_6CastOpIS4_EEPS4_lEESA_NS6_3MaxENS_12future_valueIS4_SA_EES4_EEvT1_mT4_T2_T3_ ; -- Begin function _ZN7rocprim6detail18single_scan_kernelILb1ENS0_19wrapped_scan_configINS_14default_configE12hip_bfloat16EEN6hipcub22TransformInputIteratorIS4_NS6_6CastOpIS4_EEPS4_lEESA_NS6_3MaxENS_12future_valueIS4_SA_EES4_EEvT1_mT4_T2_T3_
	.globl	_ZN7rocprim6detail18single_scan_kernelILb1ENS0_19wrapped_scan_configINS_14default_configE12hip_bfloat16EEN6hipcub22TransformInputIteratorIS4_NS6_6CastOpIS4_EEPS4_lEESA_NS6_3MaxENS_12future_valueIS4_SA_EES4_EEvT1_mT4_T2_T3_
	.p2align	8
	.type	_ZN7rocprim6detail18single_scan_kernelILb1ENS0_19wrapped_scan_configINS_14default_configE12hip_bfloat16EEN6hipcub22TransformInputIteratorIS4_NS6_6CastOpIS4_EEPS4_lEESA_NS6_3MaxENS_12future_valueIS4_SA_EES4_EEvT1_mT4_T2_T3_,@function
_ZN7rocprim6detail18single_scan_kernelILb1ENS0_19wrapped_scan_configINS_14default_configE12hip_bfloat16EEN6hipcub22TransformInputIteratorIS4_NS6_6CastOpIS4_EEPS4_lEESA_NS6_3MaxENS_12future_valueIS4_SA_EES4_EEvT1_mT4_T2_T3_: ; @_ZN7rocprim6detail18single_scan_kernelILb1ENS0_19wrapped_scan_configINS_14default_configE12hip_bfloat16EEN6hipcub22TransformInputIteratorIS4_NS6_6CastOpIS4_EEPS4_lEESA_NS6_3MaxENS_12future_valueIS4_SA_EES4_EEvT1_mT4_T2_T3_
; %bb.0:
	s_clause 0x1
	s_load_b64 s[2:3], s[0:1], 0x0
	s_load_b128 s[24:27], s[0:1], 0x10
	v_mov_b32_e32 v1, 0
	v_lshlrev_b32_e32 v11, 1, v0
	s_waitcnt lgkmcnt(0)
	s_clause 0x1
	global_load_u16 v3, v1, s[2:3]
	global_load_u16 v12, v1, s[26:27]
	v_add_co_u32 v1, s2, s2, v11
	s_delay_alu instid0(VALU_DEP_1)
	v_add_co_ci_u32_e64 v2, null, s3, 0, s2
	v_cmp_gt_u32_e32 vcc_lo, s24, v0
	s_waitcnt vmcnt(1)
	v_mov_b32_e32 v4, v3
	s_and_saveexec_b32 s2, vcc_lo
	s_cbranch_execz .LBB138_2
; %bb.1:
	global_load_u16 v4, v[1:2], off
.LBB138_2:
	s_or_b32 exec_lo, exec_lo, s2
	v_or_b32_e32 v5, 64, v0
	s_delay_alu instid0(VALU_DEP_1) | instskip(SKIP_1) | instid1(VALU_DEP_2)
	v_cmp_gt_u32_e64 s2, s24, v5
	v_mov_b32_e32 v5, v3
	s_and_saveexec_b32 s3, s2
	s_cbranch_execz .LBB138_4
; %bb.3:
	global_load_u16 v5, v[1:2], off offset:128
.LBB138_4:
	s_or_b32 exec_lo, exec_lo, s3
	v_or_b32_e32 v6, 0x80, v0
	s_delay_alu instid0(VALU_DEP_1) | instskip(SKIP_1) | instid1(VALU_DEP_2)
	v_cmp_gt_u32_e64 s3, s24, v6
	v_mov_b32_e32 v6, v3
	s_and_saveexec_b32 s4, s3
	s_cbranch_execz .LBB138_6
; %bb.5:
	global_load_u16 v6, v[1:2], off offset:256
.LBB138_6:
	;; [unrolled: 10-line block ×20, first 2 shown]
	s_or_b32 exec_lo, exec_lo, s22
	s_load_b64 s[26:27], s[0:1], 0x20
	v_or_b32_e32 v27, 0x540, v0
	s_delay_alu instid0(VALU_DEP_1) | instskip(NEXT) | instid1(VALU_DEP_1)
	v_cmp_gt_u32_e64 s0, s24, v27
	s_and_saveexec_b32 s1, s0
	s_cbranch_execz .LBB138_44
; %bb.43:
	global_load_u16 v3, v[1:2], off offset:2688
.LBB138_44:
	s_or_b32 exec_lo, exec_lo, s1
	s_waitcnt vmcnt(0)
	ds_store_b16 v11, v4
	ds_store_b16 v11, v5 offset:128
	ds_store_b16 v11, v6 offset:256
	ds_store_b16 v11, v7 offset:384
	ds_store_b16 v11, v8 offset:512
	ds_store_b16 v11, v9 offset:640
	ds_store_b16 v11, v10 offset:768
	ds_store_b16 v11, v13 offset:896
	ds_store_b16 v11, v14 offset:1024
	ds_store_b16 v11, v15 offset:1152
	ds_store_b16 v11, v16 offset:1280
	ds_store_b16 v11, v17 offset:1408
	ds_store_b16 v11, v18 offset:1536
	ds_store_b16 v11, v19 offset:1664
	ds_store_b16 v11, v20 offset:1792
	ds_store_b16 v11, v21 offset:1920
	v_mad_u32_u24 v13, v0, 42, v11
	ds_store_b16 v11, v22 offset:2048
	ds_store_b16 v11, v23 offset:2176
	;; [unrolled: 1-line block ×6, first 2 shown]
	s_waitcnt lgkmcnt(0)
	s_barrier
	buffer_gl0_inv
	ds_load_2addr_b32 v[7:8], v13 offset1:1
	ds_load_2addr_b32 v[5:6], v13 offset0:2 offset1:3
	ds_load_2addr_b32 v[3:4], v13 offset0:4 offset1:5
	;; [unrolled: 1-line block ×3, first 2 shown]
	v_lshrrev_b32_e32 v48, 4, v0
	s_mov_b32 s24, exec_lo
	s_waitcnt lgkmcnt(3)
	v_and_b32_e32 v15, 0xffff0000, v7
	v_lshlrev_b32_e32 v17, 16, v7
	v_lshrrev_b32_e32 v16, 16, v7
	v_lshlrev_b32_e32 v18, 16, v8
	v_and_b32_e32 v19, 0xffff0000, v8
	v_lshrrev_b32_e32 v20, 16, v8
	v_cmp_lt_f32_e64 s1, v17, v15
	s_waitcnt lgkmcnt(2)
	v_lshlrev_b32_e32 v21, 16, v5
	v_and_b32_e32 v22, 0xffff0000, v5
	v_lshrrev_b32_e32 v23, 16, v5
	v_lshlrev_b32_e32 v24, 16, v6
	v_cndmask_b32_e64 v9, v7, v16, s1
	v_and_b32_e32 v25, 0xffff0000, v6
	v_lshrrev_b32_e32 v27, 16, v6
	s_waitcnt lgkmcnt(1)
	v_lshlrev_b32_e32 v28, 16, v3
	v_and_b32_e32 v29, 0xffff0000, v3
	v_lshlrev_b32_e32 v10, 16, v9
	v_lshrrev_b32_e32 v30, 16, v3
	v_lshlrev_b32_e32 v31, 16, v4
	v_and_b32_e32 v32, 0xffff0000, v4
	v_lshrrev_b32_e32 v33, 16, v4
	v_cmp_lt_f32_e64 s1, v10, v18
	s_waitcnt lgkmcnt(0)
	v_lshlrev_b32_e32 v34, 16, v1
	v_and_b32_e32 v35, 0xffff0000, v1
	v_lshrrev_b32_e32 v36, 16, v1
	v_lshlrev_b32_e32 v37, 16, v2
	v_cndmask_b32_e64 v9, v9, v8, s1
	v_and_b32_e32 v38, 0xffff0000, v2
	v_lshrrev_b32_e32 v39, 16, v2
	s_delay_alu instid0(VALU_DEP_3) | instskip(NEXT) | instid1(VALU_DEP_1)
	v_lshlrev_b32_e32 v10, 16, v9
	v_cmp_lt_f32_e64 s1, v10, v19
	s_delay_alu instid0(VALU_DEP_1) | instskip(NEXT) | instid1(VALU_DEP_1)
	v_cndmask_b32_e64 v9, v9, v20, s1
	v_lshlrev_b32_e32 v10, 16, v9
	s_delay_alu instid0(VALU_DEP_1) | instskip(NEXT) | instid1(VALU_DEP_1)
	v_cmp_lt_f32_e64 s1, v10, v21
	v_cndmask_b32_e64 v9, v9, v5, s1
	s_delay_alu instid0(VALU_DEP_1) | instskip(NEXT) | instid1(VALU_DEP_1)
	v_lshlrev_b32_e32 v10, 16, v9
	v_cmp_lt_f32_e64 s1, v10, v22
	s_delay_alu instid0(VALU_DEP_1) | instskip(NEXT) | instid1(VALU_DEP_1)
	v_cndmask_b32_e64 v9, v9, v23, s1
	v_lshlrev_b32_e32 v10, 16, v9
	s_delay_alu instid0(VALU_DEP_1) | instskip(NEXT) | instid1(VALU_DEP_1)
	v_cmp_lt_f32_e64 s1, v10, v24
	v_cndmask_b32_e64 v9, v9, v6, s1
	s_delay_alu instid0(VALU_DEP_1) | instskip(NEXT) | instid1(VALU_DEP_1)
	;; [unrolled: 9-line block ×5, first 2 shown]
	v_lshlrev_b32_e32 v10, 16, v9
	v_cmp_lt_f32_e64 s1, v10, v35
	s_delay_alu instid0(VALU_DEP_1) | instskip(SKIP_2) | instid1(VALU_DEP_1)
	v_cndmask_b32_e64 v14, v9, v36, s1
	ds_load_2addr_b32 v[9:10], v13 offset0:8 offset1:9
	v_lshlrev_b32_e32 v26, 16, v14
	v_cmp_lt_f32_e64 s1, v26, v37
	s_delay_alu instid0(VALU_DEP_1) | instskip(NEXT) | instid1(VALU_DEP_1)
	v_cndmask_b32_e64 v14, v14, v2, s1
	v_lshlrev_b32_e32 v26, 16, v14
	s_delay_alu instid0(VALU_DEP_1) | instskip(NEXT) | instid1(VALU_DEP_1)
	v_cmp_lt_f32_e64 s1, v26, v38
	v_cndmask_b32_e64 v26, v14, v39, s1
	ds_load_b32 v14, v13 offset:40
	s_waitcnt lgkmcnt(1)
	v_lshlrev_b32_e32 v40, 16, v9
	v_and_b32_e32 v43, 0xffff0000, v9
	v_lshrrev_b32_e32 v44, 16, v9
	v_lshlrev_b32_e32 v41, 16, v26
	v_lshlrev_b32_e32 v45, 16, v10
	v_lshrrev_b32_e32 v42, 16, v10
	s_waitcnt lgkmcnt(0)
	s_barrier
	v_cmp_lt_f32_e64 s1, v41, v40
	buffer_gl0_inv
	v_cndmask_b32_e64 v26, v26, v9, s1
	s_delay_alu instid0(VALU_DEP_1) | instskip(SKIP_1) | instid1(VALU_DEP_2)
	v_lshlrev_b32_e32 v41, 16, v26
	v_lshrrev_b32_e32 v50, 16, v14
	v_cmp_lt_f32_e64 s1, v41, v43
	s_delay_alu instid0(VALU_DEP_1) | instskip(NEXT) | instid1(VALU_DEP_1)
	v_cndmask_b32_e64 v26, v26, v44, s1
	v_lshlrev_b32_e32 v41, 16, v26
	s_delay_alu instid0(VALU_DEP_1) | instskip(SKIP_1) | instid1(VALU_DEP_2)
	v_cmp_lt_f32_e64 s1, v41, v45
	v_and_b32_e32 v41, 0xffff0000, v10
	v_cndmask_b32_e64 v26, v26, v10, s1
	s_delay_alu instid0(VALU_DEP_1) | instskip(NEXT) | instid1(VALU_DEP_1)
	v_lshlrev_b32_e32 v46, 16, v26
	v_cmp_lt_f32_e64 s1, v46, v41
	s_delay_alu instid0(VALU_DEP_1) | instskip(SKIP_1) | instid1(VALU_DEP_2)
	v_cndmask_b32_e64 v46, v26, v42, s1
	v_lshlrev_b32_e32 v26, 16, v14
	v_lshlrev_b32_e32 v47, 16, v46
	s_delay_alu instid0(VALU_DEP_1) | instskip(SKIP_2) | instid1(VALU_DEP_3)
	v_cmp_lt_f32_e64 s1, v47, v26
	v_and_b32_e32 v47, 2, v48
	v_and_b32_e32 v48, 0xffff0000, v14
	v_cndmask_b32_e64 v46, v46, v14, s1
	s_delay_alu instid0(VALU_DEP_3) | instskip(NEXT) | instid1(VALU_DEP_2)
	v_add_nc_u32_e32 v47, v11, v47
	v_lshlrev_b32_e32 v49, 16, v46
	s_delay_alu instid0(VALU_DEP_1) | instskip(NEXT) | instid1(VALU_DEP_1)
	v_cmp_lt_f32_e64 s1, v49, v48
	v_cndmask_b32_e64 v46, v46, v50, s1
	ds_store_b16 v47, v46
	s_waitcnt lgkmcnt(0)
	s_barrier
	buffer_gl0_inv
	v_cmpx_gt_u32_e32 32, v0
	s_cbranch_execz .LBB138_46
; %bb.45:
	v_lshrrev_b32_e32 v47, 3, v0
	v_mbcnt_lo_u32_b32 v57, -1, 0
	s_delay_alu instid0(VALU_DEP_2) | instskip(NEXT) | instid1(VALU_DEP_1)
	v_and_b32_e32 v47, 6, v47
	v_lshl_or_b32 v47, v0, 2, v47
	ds_load_b32 v48, v47
	s_waitcnt lgkmcnt(0)
	v_and_b32_e32 v49, 0xffff0000, v48
	v_lshlrev_b32_e32 v50, 16, v48
	v_lshrrev_b32_e32 v51, 16, v48
	s_delay_alu instid0(VALU_DEP_2) | instskip(NEXT) | instid1(VALU_DEP_1)
	v_cmp_lt_f32_e64 s1, v50, v49
	v_cndmask_b32_e64 v52, v48, v51, s1
	s_delay_alu instid0(VALU_DEP_1) | instskip(SKIP_1) | instid1(VALU_DEP_2)
	v_and_b32_e32 v53, 0xffff, v52
	v_lshlrev_b32_e32 v55, 16, v52
	v_mov_b32_dpp v54, v53 row_shr:1 row_mask:0xf bank_mask:0xf
	s_delay_alu instid0(VALU_DEP_1) | instskip(NEXT) | instid1(VALU_DEP_1)
	v_lshlrev_b32_e32 v56, 16, v54
	v_cmp_lt_f32_e64 s1, v56, v55
	v_and_b32_e32 v55, 15, v57
	s_delay_alu instid0(VALU_DEP_2) | instskip(NEXT) | instid1(VALU_DEP_2)
	v_cndmask_b32_e64 v54, v54, v52, s1
	v_cmp_eq_u32_e64 s1, 0, v55
	s_delay_alu instid0(VALU_DEP_2) | instskip(NEXT) | instid1(VALU_DEP_2)
	v_and_b32_e32 v56, 0xffff, v54
	v_cndmask_b32_e64 v52, v54, v52, s1
	s_delay_alu instid0(VALU_DEP_2) | instskip(NEXT) | instid1(VALU_DEP_1)
	v_cndmask_b32_e64 v53, v56, v53, s1
	v_mov_b32_dpp v56, v53 row_shr:2 row_mask:0xf bank_mask:0xf
	v_lshlrev_b32_e32 v58, 16, v53
	s_delay_alu instid0(VALU_DEP_2) | instskip(NEXT) | instid1(VALU_DEP_1)
	v_lshlrev_b32_e32 v59, 16, v56
	v_cmp_lt_f32_e64 s1, v59, v58
	s_delay_alu instid0(VALU_DEP_1) | instskip(SKIP_1) | instid1(VALU_DEP_2)
	v_cndmask_b32_e64 v54, v56, v52, s1
	v_cmp_lt_u32_e64 s1, 1, v55
	v_and_b32_e32 v56, 0xffff, v54
	s_delay_alu instid0(VALU_DEP_2) | instskip(NEXT) | instid1(VALU_DEP_2)
	v_cndmask_b32_e64 v52, v52, v54, s1
	v_cndmask_b32_e64 v53, v53, v56, s1
	s_delay_alu instid0(VALU_DEP_1) | instskip(SKIP_1) | instid1(VALU_DEP_2)
	v_mov_b32_dpp v56, v53 row_shr:4 row_mask:0xf bank_mask:0xf
	v_lshlrev_b32_e32 v58, 16, v53
	v_lshlrev_b32_e32 v59, 16, v56
	s_delay_alu instid0(VALU_DEP_1) | instskip(NEXT) | instid1(VALU_DEP_1)
	v_cmp_lt_f32_e64 s1, v59, v58
	v_cndmask_b32_e64 v54, v56, v52, s1
	v_cmp_lt_u32_e64 s1, 3, v55
	s_delay_alu instid0(VALU_DEP_2) | instskip(NEXT) | instid1(VALU_DEP_2)
	v_and_b32_e32 v56, 0xffff, v54
	v_cndmask_b32_e64 v52, v52, v54, s1
	s_delay_alu instid0(VALU_DEP_2) | instskip(NEXT) | instid1(VALU_DEP_1)
	v_cndmask_b32_e64 v53, v53, v56, s1
	v_mov_b32_dpp v56, v53 row_shr:8 row_mask:0xf bank_mask:0xf
	v_lshlrev_b32_e32 v58, 16, v53
	s_delay_alu instid0(VALU_DEP_2) | instskip(NEXT) | instid1(VALU_DEP_1)
	v_lshlrev_b32_e32 v59, 16, v56
	v_cmp_lt_f32_e64 s1, v59, v58
	v_add_nc_u32_e32 v59, -1, v57
	s_delay_alu instid0(VALU_DEP_2) | instskip(SKIP_1) | instid1(VALU_DEP_2)
	v_cndmask_b32_e64 v54, v56, v52, s1
	v_cmp_lt_u32_e64 s1, 7, v55
	v_and_b32_e32 v56, 0xffff, v54
	s_delay_alu instid0(VALU_DEP_2) | instskip(NEXT) | instid1(VALU_DEP_2)
	v_cndmask_b32_e64 v52, v52, v54, s1
	v_cndmask_b32_e64 v53, v53, v56, s1
	v_and_b32_e32 v56, 16, v57
	v_cmp_gt_i32_e64 s1, 0, v59
	ds_swizzle_b32 v55, v53 offset:swizzle(BROADCAST,32,15)
	v_lshlrev_b32_e32 v53, 16, v53
	v_cmp_eq_u32_e64 s22, 0, v56
	s_waitcnt lgkmcnt(0)
	v_lshlrev_b32_e32 v58, 16, v55
	s_delay_alu instid0(VALU_DEP_1) | instskip(SKIP_1) | instid1(VALU_DEP_2)
	v_cmp_lt_f32_e64 s23, v58, v53
	v_cndmask_b32_e64 v53, v59, v57, s1
	s_or_b32 s1, s22, s23
	s_delay_alu instid0(VALU_DEP_1) | instskip(SKIP_1) | instid1(VALU_DEP_1)
	v_lshlrev_b32_e32 v53, 2, v53
	v_cndmask_b32_e64 v52, v55, v52, s1
	v_and_b32_e32 v52, 0xffff, v52
	ds_bpermute_b32 v52, v53, v52
	s_waitcnt lgkmcnt(0)
	v_lshlrev_b32_e32 v53, 16, v52
	s_delay_alu instid0(VALU_DEP_1) | instskip(NEXT) | instid1(VALU_DEP_1)
	v_cmp_gt_f32_e64 s1, v50, v53
	v_cndmask_b32_e64 v48, v52, v48, s1
	v_cmp_eq_u32_e64 s1, 0, v0
	s_delay_alu instid0(VALU_DEP_1) | instskip(NEXT) | instid1(VALU_DEP_1)
	v_cndmask_b32_e64 v46, v48, v46, s1
	v_lshlrev_b32_e32 v48, 16, v46
	s_delay_alu instid0(VALU_DEP_1) | instskip(NEXT) | instid1(VALU_DEP_1)
	v_cmp_gt_f32_e64 s1, v49, v48
	v_cndmask_b32_e64 v48, v46, v51, s1
	ds_store_b16 v47, v46
	ds_store_b16 v47, v48 offset:2
.LBB138_46:
	s_or_b32 exec_lo, exec_lo, s24
	s_delay_alu instid0(SALU_CYCLE_1)
	s_mov_b32 s22, exec_lo
	s_waitcnt lgkmcnt(0)
	s_barrier
	buffer_gl0_inv
	v_cmpx_ne_u32_e32 0, v0
	s_cbranch_execz .LBB138_48
; %bb.47:
	v_add_nc_u32_e32 v46, -1, v0
	s_delay_alu instid0(VALU_DEP_1) | instskip(NEXT) | instid1(VALU_DEP_1)
	v_lshrrev_b32_e32 v47, 5, v46
	v_add_lshl_u32 v46, v47, v46, 1
	v_lshlrev_b32_e32 v47, 16, v12
	ds_load_u16 v46, v46
	s_waitcnt lgkmcnt(0)
	v_lshlrev_b32_e32 v48, 16, v46
	s_delay_alu instid0(VALU_DEP_1) | instskip(NEXT) | instid1(VALU_DEP_1)
	v_cmp_lt_f32_e64 s1, v47, v48
	v_cndmask_b32_e64 v12, v12, v46, s1
.LBB138_48:
	s_or_b32 exec_lo, exec_lo, s22
	s_delay_alu instid0(VALU_DEP_1) | instskip(SKIP_4) | instid1(VALU_DEP_1)
	v_lshlrev_b32_e32 v46, 16, v12
	v_mad_i32_i24 v0, 0xffffffd6, v0, v13
	s_barrier
	buffer_gl0_inv
	v_cmp_gt_f32_e64 s1, v17, v46
	v_cndmask_b32_e64 v7, v12, v7, s1
	s_delay_alu instid0(VALU_DEP_1) | instskip(NEXT) | instid1(VALU_DEP_1)
	v_lshlrev_b32_e32 v17, 16, v7
	v_cmp_gt_f32_e64 s1, v15, v17
	s_delay_alu instid0(VALU_DEP_1) | instskip(SKIP_1) | instid1(VALU_DEP_2)
	v_cndmask_b32_e64 v15, v7, v16, s1
	v_perm_b32 v7, v7, v12, 0x5040100
	v_lshlrev_b32_e32 v16, 16, v15
	s_delay_alu instid0(VALU_DEP_1) | instskip(NEXT) | instid1(VALU_DEP_1)
	v_cmp_gt_f32_e64 s1, v18, v16
	v_cndmask_b32_e64 v8, v15, v8, s1
	s_delay_alu instid0(VALU_DEP_1) | instskip(NEXT) | instid1(VALU_DEP_1)
	v_lshlrev_b32_e32 v16, 16, v8
	v_cmp_gt_f32_e64 s1, v19, v16
	s_delay_alu instid0(VALU_DEP_1) | instskip(SKIP_1) | instid1(VALU_DEP_2)
	v_cndmask_b32_e64 v16, v8, v20, s1
	v_perm_b32 v8, v8, v15, 0x5040100
	v_lshlrev_b32_e32 v17, 16, v16
	s_delay_alu instid0(VALU_DEP_1) | instskip(NEXT) | instid1(VALU_DEP_1)
	;; [unrolled: 10-line block ×10, first 2 shown]
	v_cmp_gt_f32_e64 s1, v26, v12
	v_cndmask_b32_e64 v12, v24, v14, s1
	s_delay_alu instid0(VALU_DEP_1)
	v_perm_b32 v12, v12, v24, 0x5040100
	ds_store_2addr_b32 v13, v7, v8 offset1:1
	ds_store_2addr_b32 v13, v5, v6 offset0:2 offset1:3
	ds_store_2addr_b32 v13, v3, v4 offset0:4 offset1:5
	;; [unrolled: 1-line block ×4, first 2 shown]
	ds_store_b32 v13, v12 offset:40
	s_waitcnt lgkmcnt(0)
	s_barrier
	buffer_gl0_inv
	ds_load_u16 v22, v0 offset:256
	ds_load_u16 v21, v0 offset:384
	;; [unrolled: 1-line block ×21, first 2 shown]
	v_add_co_u32 v0, s1, s26, v11
	s_delay_alu instid0(VALU_DEP_1)
	v_add_co_ci_u32_e64 v1, null, s27, 0, s1
	s_and_saveexec_b32 s1, vcc_lo
	s_cbranch_execnz .LBB138_71
; %bb.49:
	s_or_b32 exec_lo, exec_lo, s1
	s_and_saveexec_b32 s1, s2
	s_cbranch_execnz .LBB138_72
.LBB138_50:
	s_or_b32 exec_lo, exec_lo, s1
	s_and_saveexec_b32 s1, s3
	s_cbranch_execnz .LBB138_73
.LBB138_51:
	s_or_b32 exec_lo, exec_lo, s1
	s_and_saveexec_b32 s1, s4
	s_cbranch_execnz .LBB138_74
.LBB138_52:
	s_or_b32 exec_lo, exec_lo, s1
	s_and_saveexec_b32 s1, s5
	s_cbranch_execnz .LBB138_75
.LBB138_53:
	s_or_b32 exec_lo, exec_lo, s1
	s_and_saveexec_b32 s1, s6
	s_cbranch_execnz .LBB138_76
.LBB138_54:
	s_or_b32 exec_lo, exec_lo, s1
	s_and_saveexec_b32 s1, s7
	s_cbranch_execnz .LBB138_77
.LBB138_55:
	s_or_b32 exec_lo, exec_lo, s1
	s_and_saveexec_b32 s1, s8
	s_cbranch_execnz .LBB138_78
.LBB138_56:
	s_or_b32 exec_lo, exec_lo, s1
	s_and_saveexec_b32 s1, s9
	s_cbranch_execnz .LBB138_79
.LBB138_57:
	s_or_b32 exec_lo, exec_lo, s1
	s_and_saveexec_b32 s1, s10
	s_cbranch_execnz .LBB138_80
.LBB138_58:
	s_or_b32 exec_lo, exec_lo, s1
	s_and_saveexec_b32 s1, s11
	s_cbranch_execnz .LBB138_81
.LBB138_59:
	s_or_b32 exec_lo, exec_lo, s1
	s_and_saveexec_b32 s1, s12
	s_cbranch_execnz .LBB138_82
.LBB138_60:
	s_or_b32 exec_lo, exec_lo, s1
	s_and_saveexec_b32 s1, s13
	s_cbranch_execnz .LBB138_83
.LBB138_61:
	s_or_b32 exec_lo, exec_lo, s1
	s_and_saveexec_b32 s1, s14
	s_cbranch_execnz .LBB138_84
.LBB138_62:
	s_or_b32 exec_lo, exec_lo, s1
	s_and_saveexec_b32 s1, s15
	s_cbranch_execnz .LBB138_85
.LBB138_63:
	s_or_b32 exec_lo, exec_lo, s1
	s_and_saveexec_b32 s1, s16
	s_cbranch_execnz .LBB138_86
.LBB138_64:
	s_or_b32 exec_lo, exec_lo, s1
	s_and_saveexec_b32 s1, s17
	s_cbranch_execnz .LBB138_87
.LBB138_65:
	s_or_b32 exec_lo, exec_lo, s1
	s_and_saveexec_b32 s1, s18
	s_cbranch_execnz .LBB138_88
.LBB138_66:
	s_or_b32 exec_lo, exec_lo, s1
	s_and_saveexec_b32 s1, s19
	s_cbranch_execnz .LBB138_89
.LBB138_67:
	s_or_b32 exec_lo, exec_lo, s1
	s_and_saveexec_b32 s1, s20
	s_cbranch_execnz .LBB138_90
.LBB138_68:
	s_or_b32 exec_lo, exec_lo, s1
	s_and_saveexec_b32 s1, s21
	s_cbranch_execnz .LBB138_91
.LBB138_69:
	s_or_b32 exec_lo, exec_lo, s1
	s_and_saveexec_b32 s1, s0
	s_cbranch_execnz .LBB138_92
.LBB138_70:
	s_nop 0
	s_sendmsg sendmsg(MSG_DEALLOC_VGPRS)
	s_endpgm
.LBB138_71:
	ds_load_u16 v11, v11
	s_waitcnt lgkmcnt(0)
	global_store_b16 v[0:1], v11, off
	s_or_b32 exec_lo, exec_lo, s1
	s_and_saveexec_b32 s1, s2
	s_cbranch_execz .LBB138_50
.LBB138_72:
	s_waitcnt lgkmcnt(6)
	global_store_b16 v[0:1], v23, off offset:128
	s_or_b32 exec_lo, exec_lo, s1
	s_and_saveexec_b32 s1, s3
	s_cbranch_execz .LBB138_51
.LBB138_73:
	s_waitcnt lgkmcnt(20)
	global_store_b16 v[0:1], v22, off offset:256
	s_or_b32 exec_lo, exec_lo, s1
	s_and_saveexec_b32 s1, s4
	s_cbranch_execz .LBB138_52
.LBB138_74:
	s_waitcnt lgkmcnt(19)
	global_store_b16 v[0:1], v21, off offset:384
	s_or_b32 exec_lo, exec_lo, s1
	s_and_saveexec_b32 s1, s5
	s_cbranch_execz .LBB138_53
.LBB138_75:
	s_waitcnt lgkmcnt(18)
	global_store_b16 v[0:1], v20, off offset:512
	s_or_b32 exec_lo, exec_lo, s1
	s_and_saveexec_b32 s1, s6
	s_cbranch_execz .LBB138_54
.LBB138_76:
	s_waitcnt lgkmcnt(17)
	global_store_b16 v[0:1], v19, off offset:640
	s_or_b32 exec_lo, exec_lo, s1
	s_and_saveexec_b32 s1, s7
	s_cbranch_execz .LBB138_55
.LBB138_77:
	s_waitcnt lgkmcnt(16)
	global_store_b16 v[0:1], v18, off offset:768
	s_or_b32 exec_lo, exec_lo, s1
	s_and_saveexec_b32 s1, s8
	s_cbranch_execz .LBB138_56
.LBB138_78:
	s_waitcnt lgkmcnt(15)
	global_store_b16 v[0:1], v17, off offset:896
	s_or_b32 exec_lo, exec_lo, s1
	s_and_saveexec_b32 s1, s9
	s_cbranch_execz .LBB138_57
.LBB138_79:
	s_waitcnt lgkmcnt(14)
	global_store_b16 v[0:1], v16, off offset:1024
	s_or_b32 exec_lo, exec_lo, s1
	s_and_saveexec_b32 s1, s10
	s_cbranch_execz .LBB138_58
.LBB138_80:
	s_waitcnt lgkmcnt(13)
	global_store_b16 v[0:1], v15, off offset:1152
	s_or_b32 exec_lo, exec_lo, s1
	s_and_saveexec_b32 s1, s11
	s_cbranch_execz .LBB138_59
.LBB138_81:
	s_waitcnt lgkmcnt(12)
	global_store_b16 v[0:1], v14, off offset:1280
	s_or_b32 exec_lo, exec_lo, s1
	s_and_saveexec_b32 s1, s12
	s_cbranch_execz .LBB138_60
.LBB138_82:
	s_waitcnt lgkmcnt(11)
	global_store_b16 v[0:1], v13, off offset:1408
	s_or_b32 exec_lo, exec_lo, s1
	s_and_saveexec_b32 s1, s13
	s_cbranch_execz .LBB138_61
.LBB138_83:
	s_waitcnt lgkmcnt(10)
	global_store_b16 v[0:1], v12, off offset:1536
	s_or_b32 exec_lo, exec_lo, s1
	s_and_saveexec_b32 s1, s14
	s_cbranch_execz .LBB138_62
.LBB138_84:
	s_waitcnt lgkmcnt(9)
	global_store_b16 v[0:1], v10, off offset:1664
	s_or_b32 exec_lo, exec_lo, s1
	s_and_saveexec_b32 s1, s15
	s_cbranch_execz .LBB138_63
.LBB138_85:
	s_waitcnt lgkmcnt(8)
	global_store_b16 v[0:1], v9, off offset:1792
	s_or_b32 exec_lo, exec_lo, s1
	s_and_saveexec_b32 s1, s16
	s_cbranch_execz .LBB138_64
.LBB138_86:
	s_waitcnt lgkmcnt(7)
	global_store_b16 v[0:1], v8, off offset:1920
	s_or_b32 exec_lo, exec_lo, s1
	s_and_saveexec_b32 s1, s17
	s_cbranch_execz .LBB138_65
.LBB138_87:
	s_waitcnt lgkmcnt(5)
	global_store_b16 v[0:1], v7, off offset:2048
	s_or_b32 exec_lo, exec_lo, s1
	s_and_saveexec_b32 s1, s18
	s_cbranch_execz .LBB138_66
.LBB138_88:
	s_waitcnt lgkmcnt(4)
	global_store_b16 v[0:1], v6, off offset:2176
	s_or_b32 exec_lo, exec_lo, s1
	s_and_saveexec_b32 s1, s19
	s_cbranch_execz .LBB138_67
.LBB138_89:
	s_waitcnt lgkmcnt(3)
	global_store_b16 v[0:1], v5, off offset:2304
	s_or_b32 exec_lo, exec_lo, s1
	s_and_saveexec_b32 s1, s20
	s_cbranch_execz .LBB138_68
.LBB138_90:
	s_waitcnt lgkmcnt(2)
	global_store_b16 v[0:1], v4, off offset:2432
	s_or_b32 exec_lo, exec_lo, s1
	s_and_saveexec_b32 s1, s21
	s_cbranch_execz .LBB138_69
.LBB138_91:
	s_waitcnt lgkmcnt(1)
	global_store_b16 v[0:1], v3, off offset:2560
	s_or_b32 exec_lo, exec_lo, s1
	s_and_saveexec_b32 s1, s0
	s_cbranch_execz .LBB138_70
.LBB138_92:
	s_waitcnt lgkmcnt(0)
	global_store_b16 v[0:1], v2, off offset:2688
	s_nop 0
	s_sendmsg sendmsg(MSG_DEALLOC_VGPRS)
	s_endpgm
	.section	.rodata,"a",@progbits
	.p2align	6, 0x0
	.amdhsa_kernel _ZN7rocprim6detail18single_scan_kernelILb1ENS0_19wrapped_scan_configINS_14default_configE12hip_bfloat16EEN6hipcub22TransformInputIteratorIS4_NS6_6CastOpIS4_EEPS4_lEESA_NS6_3MaxENS_12future_valueIS4_SA_EES4_EEvT1_mT4_T2_T3_
		.amdhsa_group_segment_fixed_size 2816
		.amdhsa_private_segment_fixed_size 0
		.amdhsa_kernarg_size 44
		.amdhsa_user_sgpr_count 15
		.amdhsa_user_sgpr_dispatch_ptr 0
		.amdhsa_user_sgpr_queue_ptr 0
		.amdhsa_user_sgpr_kernarg_segment_ptr 1
		.amdhsa_user_sgpr_dispatch_id 0
		.amdhsa_user_sgpr_private_segment_size 0
		.amdhsa_wavefront_size32 1
		.amdhsa_uses_dynamic_stack 0
		.amdhsa_enable_private_segment 0
		.amdhsa_system_sgpr_workgroup_id_x 1
		.amdhsa_system_sgpr_workgroup_id_y 0
		.amdhsa_system_sgpr_workgroup_id_z 0
		.amdhsa_system_sgpr_workgroup_info 0
		.amdhsa_system_vgpr_workitem_id 0
		.amdhsa_next_free_vgpr 60
		.amdhsa_next_free_sgpr 28
		.amdhsa_reserve_vcc 1
		.amdhsa_float_round_mode_32 0
		.amdhsa_float_round_mode_16_64 0
		.amdhsa_float_denorm_mode_32 3
		.amdhsa_float_denorm_mode_16_64 3
		.amdhsa_dx10_clamp 1
		.amdhsa_ieee_mode 1
		.amdhsa_fp16_overflow 0
		.amdhsa_workgroup_processor_mode 1
		.amdhsa_memory_ordered 1
		.amdhsa_forward_progress 0
		.amdhsa_shared_vgpr_count 0
		.amdhsa_exception_fp_ieee_invalid_op 0
		.amdhsa_exception_fp_denorm_src 0
		.amdhsa_exception_fp_ieee_div_zero 0
		.amdhsa_exception_fp_ieee_overflow 0
		.amdhsa_exception_fp_ieee_underflow 0
		.amdhsa_exception_fp_ieee_inexact 0
		.amdhsa_exception_int_div_zero 0
	.end_amdhsa_kernel
	.section	.text._ZN7rocprim6detail18single_scan_kernelILb1ENS0_19wrapped_scan_configINS_14default_configE12hip_bfloat16EEN6hipcub22TransformInputIteratorIS4_NS6_6CastOpIS4_EEPS4_lEESA_NS6_3MaxENS_12future_valueIS4_SA_EES4_EEvT1_mT4_T2_T3_,"axG",@progbits,_ZN7rocprim6detail18single_scan_kernelILb1ENS0_19wrapped_scan_configINS_14default_configE12hip_bfloat16EEN6hipcub22TransformInputIteratorIS4_NS6_6CastOpIS4_EEPS4_lEESA_NS6_3MaxENS_12future_valueIS4_SA_EES4_EEvT1_mT4_T2_T3_,comdat
.Lfunc_end138:
	.size	_ZN7rocprim6detail18single_scan_kernelILb1ENS0_19wrapped_scan_configINS_14default_configE12hip_bfloat16EEN6hipcub22TransformInputIteratorIS4_NS6_6CastOpIS4_EEPS4_lEESA_NS6_3MaxENS_12future_valueIS4_SA_EES4_EEvT1_mT4_T2_T3_, .Lfunc_end138-_ZN7rocprim6detail18single_scan_kernelILb1ENS0_19wrapped_scan_configINS_14default_configE12hip_bfloat16EEN6hipcub22TransformInputIteratorIS4_NS6_6CastOpIS4_EEPS4_lEESA_NS6_3MaxENS_12future_valueIS4_SA_EES4_EEvT1_mT4_T2_T3_
                                        ; -- End function
	.section	.AMDGPU.csdata,"",@progbits
; Kernel info:
; codeLenInByte = 4520
; NumSgprs: 30
; NumVgprs: 60
; ScratchSize: 0
; MemoryBound: 0
; FloatMode: 240
; IeeeMode: 1
; LDSByteSize: 2816 bytes/workgroup (compile time only)
; SGPRBlocks: 3
; VGPRBlocks: 7
; NumSGPRsForWavesPerEU: 30
; NumVGPRsForWavesPerEU: 60
; Occupancy: 16
; WaveLimiterHint : 0
; COMPUTE_PGM_RSRC2:SCRATCH_EN: 0
; COMPUTE_PGM_RSRC2:USER_SGPR: 15
; COMPUTE_PGM_RSRC2:TRAP_HANDLER: 0
; COMPUTE_PGM_RSRC2:TGID_X_EN: 1
; COMPUTE_PGM_RSRC2:TGID_Y_EN: 0
; COMPUTE_PGM_RSRC2:TGID_Z_EN: 0
; COMPUTE_PGM_RSRC2:TIDIG_COMP_CNT: 0
	.section	.text._ZL18fill_initial_valueI12hip_bfloat16EvPT_S1_,"axG",@progbits,_ZL18fill_initial_valueI12hip_bfloat16EvPT_S1_,comdat
	.globl	_ZL18fill_initial_valueI12hip_bfloat16EvPT_S1_ ; -- Begin function _ZL18fill_initial_valueI12hip_bfloat16EvPT_S1_
	.p2align	8
	.type	_ZL18fill_initial_valueI12hip_bfloat16EvPT_S1_,@function
_ZL18fill_initial_valueI12hip_bfloat16EvPT_S1_: ; @_ZL18fill_initial_valueI12hip_bfloat16EvPT_S1_
; %bb.0:
	s_clause 0x1
	s_load_b32 s2, s[0:1], 0x8
	s_load_b64 s[0:1], s[0:1], 0x0
	s_waitcnt lgkmcnt(0)
	v_dual_mov_b32 v0, 0 :: v_dual_mov_b32 v1, s2
	global_store_b16 v0, v1, s[0:1]
	s_nop 0
	s_sendmsg sendmsg(MSG_DEALLOC_VGPRS)
	s_endpgm
	.section	.rodata,"a",@progbits
	.p2align	6, 0x0
	.amdhsa_kernel _ZL18fill_initial_valueI12hip_bfloat16EvPT_S1_
		.amdhsa_group_segment_fixed_size 0
		.amdhsa_private_segment_fixed_size 0
		.amdhsa_kernarg_size 12
		.amdhsa_user_sgpr_count 15
		.amdhsa_user_sgpr_dispatch_ptr 0
		.amdhsa_user_sgpr_queue_ptr 0
		.amdhsa_user_sgpr_kernarg_segment_ptr 1
		.amdhsa_user_sgpr_dispatch_id 0
		.amdhsa_user_sgpr_private_segment_size 0
		.amdhsa_wavefront_size32 1
		.amdhsa_uses_dynamic_stack 0
		.amdhsa_enable_private_segment 0
		.amdhsa_system_sgpr_workgroup_id_x 1
		.amdhsa_system_sgpr_workgroup_id_y 0
		.amdhsa_system_sgpr_workgroup_id_z 0
		.amdhsa_system_sgpr_workgroup_info 0
		.amdhsa_system_vgpr_workitem_id 0
		.amdhsa_next_free_vgpr 2
		.amdhsa_next_free_sgpr 3
		.amdhsa_reserve_vcc 0
		.amdhsa_float_round_mode_32 0
		.amdhsa_float_round_mode_16_64 0
		.amdhsa_float_denorm_mode_32 3
		.amdhsa_float_denorm_mode_16_64 3
		.amdhsa_dx10_clamp 1
		.amdhsa_ieee_mode 1
		.amdhsa_fp16_overflow 0
		.amdhsa_workgroup_processor_mode 1
		.amdhsa_memory_ordered 1
		.amdhsa_forward_progress 0
		.amdhsa_shared_vgpr_count 0
		.amdhsa_exception_fp_ieee_invalid_op 0
		.amdhsa_exception_fp_denorm_src 0
		.amdhsa_exception_fp_ieee_div_zero 0
		.amdhsa_exception_fp_ieee_overflow 0
		.amdhsa_exception_fp_ieee_underflow 0
		.amdhsa_exception_fp_ieee_inexact 0
		.amdhsa_exception_int_div_zero 0
	.end_amdhsa_kernel
	.section	.text._ZL18fill_initial_valueI12hip_bfloat16EvPT_S1_,"axG",@progbits,_ZL18fill_initial_valueI12hip_bfloat16EvPT_S1_,comdat
.Lfunc_end139:
	.size	_ZL18fill_initial_valueI12hip_bfloat16EvPT_S1_, .Lfunc_end139-_ZL18fill_initial_valueI12hip_bfloat16EvPT_S1_
                                        ; -- End function
	.section	.AMDGPU.csdata,"",@progbits
; Kernel info:
; codeLenInByte = 52
; NumSgprs: 3
; NumVgprs: 2
; ScratchSize: 0
; MemoryBound: 0
; FloatMode: 240
; IeeeMode: 1
; LDSByteSize: 0 bytes/workgroup (compile time only)
; SGPRBlocks: 0
; VGPRBlocks: 0
; NumSGPRsForWavesPerEU: 3
; NumVGPRsForWavesPerEU: 2
; Occupancy: 16
; WaveLimiterHint : 0
; COMPUTE_PGM_RSRC2:SCRATCH_EN: 0
; COMPUTE_PGM_RSRC2:USER_SGPR: 15
; COMPUTE_PGM_RSRC2:TRAP_HANDLER: 0
; COMPUTE_PGM_RSRC2:TGID_X_EN: 1
; COMPUTE_PGM_RSRC2:TGID_Y_EN: 0
; COMPUTE_PGM_RSRC2:TGID_Z_EN: 0
; COMPUTE_PGM_RSRC2:TIDIG_COMP_CNT: 0
	.section	.text._ZN7rocprim6detail31init_lookback_scan_state_kernelINS0_19lookback_scan_stateIdLb1ELb1EEEEEvT_jjPNS4_10value_typeE,"axG",@progbits,_ZN7rocprim6detail31init_lookback_scan_state_kernelINS0_19lookback_scan_stateIdLb1ELb1EEEEEvT_jjPNS4_10value_typeE,comdat
	.protected	_ZN7rocprim6detail31init_lookback_scan_state_kernelINS0_19lookback_scan_stateIdLb1ELb1EEEEEvT_jjPNS4_10value_typeE ; -- Begin function _ZN7rocprim6detail31init_lookback_scan_state_kernelINS0_19lookback_scan_stateIdLb1ELb1EEEEEvT_jjPNS4_10value_typeE
	.globl	_ZN7rocprim6detail31init_lookback_scan_state_kernelINS0_19lookback_scan_stateIdLb1ELb1EEEEEvT_jjPNS4_10value_typeE
	.p2align	8
	.type	_ZN7rocprim6detail31init_lookback_scan_state_kernelINS0_19lookback_scan_stateIdLb1ELb1EEEEEvT_jjPNS4_10value_typeE,@function
_ZN7rocprim6detail31init_lookback_scan_state_kernelINS0_19lookback_scan_stateIdLb1ELb1EEEEEvT_jjPNS4_10value_typeE: ; @_ZN7rocprim6detail31init_lookback_scan_state_kernelINS0_19lookback_scan_stateIdLb1ELb1EEEEEvT_jjPNS4_10value_typeE
; %bb.0:
	s_clause 0x2
	s_load_b32 s6, s[0:1], 0x24
	s_load_b64 s[4:5], s[0:1], 0x10
	s_load_b128 s[0:3], s[0:1], 0x0
	s_waitcnt lgkmcnt(0)
	s_and_b32 s6, s6, 0xffff
	s_cmp_eq_u64 s[4:5], 0
	v_mad_u64_u32 v[1:2], null, s15, s6, v[0:1]
	s_cbranch_scc1 .LBB140_10
; %bb.1:
	s_cmp_lt_u32 s3, s2
	s_mov_b32 s7, 0
	s_cselect_b32 s6, s3, 0
	s_mov_b32 s8, exec_lo
	s_delay_alu instid0(VALU_DEP_1)
	v_cmpx_eq_u32_e64 s6, v1
	s_cbranch_execz .LBB140_9
; %bb.2:
	s_add_i32 s6, s3, 32
	s_mov_b32 s3, exec_lo
	s_lshl_b64 s[6:7], s[6:7], 4
	v_mov_b32_e32 v6, 0
	s_add_u32 s6, s0, s6
	s_addc_u32 s7, s1, s7
	s_delay_alu instid0(SALU_CYCLE_1) | instskip(SKIP_2) | instid1(VALU_DEP_1)
	v_dual_mov_b32 v2, s6 :: v_dual_mov_b32 v3, s7
	;;#ASMSTART
	global_load_dwordx4 v[2:5], v[2:3] off glc	
s_waitcnt vmcnt(0)
	;;#ASMEND
	v_and_b32_e32 v5, 0xff, v4
	v_cmpx_eq_u64_e32 0, v[5:6]
	s_cbranch_execz .LBB140_8
; %bb.3:
	v_dual_mov_b32 v8, s7 :: v_dual_mov_b32 v7, s6
	s_mov_b32 s7, 1
	s_mov_b32 s6, 0
	.p2align	6
.LBB140_4:                              ; =>This Loop Header: Depth=1
                                        ;     Child Loop BB140_5 Depth 2
	s_max_u32 s9, s7, 1
.LBB140_5:                              ;   Parent Loop BB140_4 Depth=1
                                        ; =>  This Inner Loop Header: Depth=2
	s_delay_alu instid0(SALU_CYCLE_1)
	s_add_i32 s9, s9, -1
	s_sleep 1
	s_cmp_eq_u32 s9, 0
	s_cbranch_scc0 .LBB140_5
; %bb.6:                                ;   in Loop: Header=BB140_4 Depth=1
	;;#ASMSTART
	global_load_dwordx4 v[2:5], v[7:8] off glc	
s_waitcnt vmcnt(0)
	;;#ASMEND
	v_and_b32_e32 v5, 0xff, v4
	s_cmp_lt_u32 s7, 32
	s_cselect_b32 s9, -1, 0
	s_delay_alu instid0(SALU_CYCLE_1) | instskip(NEXT) | instid1(VALU_DEP_1)
	s_cmp_lg_u32 s9, 0
	v_cmp_ne_u64_e32 vcc_lo, 0, v[5:6]
	s_addc_u32 s7, s7, 0
	s_or_b32 s6, vcc_lo, s6
	s_delay_alu instid0(SALU_CYCLE_1)
	s_and_not1_b32 exec_lo, exec_lo, s6
	s_cbranch_execnz .LBB140_4
; %bb.7:
	s_or_b32 exec_lo, exec_lo, s6
.LBB140_8:
	s_delay_alu instid0(SALU_CYCLE_1)
	s_or_b32 exec_lo, exec_lo, s3
	v_mov_b32_e32 v0, 0
	global_store_b64 v0, v[2:3], s[4:5]
.LBB140_9:
	s_or_b32 exec_lo, exec_lo, s8
.LBB140_10:
	s_delay_alu instid0(VALU_DEP_1)
	v_cmp_gt_u32_e32 vcc_lo, s2, v1
	s_and_saveexec_b32 s2, vcc_lo
	s_cbranch_execz .LBB140_12
; %bb.11:
	v_dual_mov_b32 v3, 0 :: v_dual_add_nc_u32 v2, 32, v1
	s_delay_alu instid0(VALU_DEP_1) | instskip(SKIP_2) | instid1(VALU_DEP_3)
	v_lshlrev_b64 v[5:6], 4, v[2:3]
	v_mov_b32_e32 v2, v3
	v_mov_b32_e32 v4, v3
	v_add_co_u32 v7, vcc_lo, s0, v5
	s_delay_alu instid0(VALU_DEP_4)
	v_add_co_ci_u32_e32 v8, vcc_lo, s1, v6, vcc_lo
	v_mov_b32_e32 v5, v3
	global_store_b128 v[7:8], v[2:5], off
.LBB140_12:
	s_or_b32 exec_lo, exec_lo, s2
	s_delay_alu instid0(SALU_CYCLE_1)
	s_mov_b32 s2, exec_lo
	v_cmpx_gt_u32_e32 32, v1
	s_cbranch_execz .LBB140_14
; %bb.13:
	v_dual_mov_b32 v2, 0 :: v_dual_mov_b32 v3, 0xff
	s_delay_alu instid0(VALU_DEP_1) | instskip(SKIP_1) | instid1(VALU_DEP_2)
	v_lshlrev_b64 v[4:5], 4, v[1:2]
	v_mov_b32_e32 v1, v2
	v_add_co_u32 v6, vcc_lo, s0, v4
	s_delay_alu instid0(VALU_DEP_3)
	v_add_co_ci_u32_e32 v7, vcc_lo, s1, v5, vcc_lo
	v_mov_b32_e32 v4, v2
	global_store_b128 v[6:7], v[1:4], off
.LBB140_14:
	s_nop 0
	s_sendmsg sendmsg(MSG_DEALLOC_VGPRS)
	s_endpgm
	.section	.rodata,"a",@progbits
	.p2align	6, 0x0
	.amdhsa_kernel _ZN7rocprim6detail31init_lookback_scan_state_kernelINS0_19lookback_scan_stateIdLb1ELb1EEEEEvT_jjPNS4_10value_typeE
		.amdhsa_group_segment_fixed_size 0
		.amdhsa_private_segment_fixed_size 0
		.amdhsa_kernarg_size 280
		.amdhsa_user_sgpr_count 15
		.amdhsa_user_sgpr_dispatch_ptr 0
		.amdhsa_user_sgpr_queue_ptr 0
		.amdhsa_user_sgpr_kernarg_segment_ptr 1
		.amdhsa_user_sgpr_dispatch_id 0
		.amdhsa_user_sgpr_private_segment_size 0
		.amdhsa_wavefront_size32 1
		.amdhsa_uses_dynamic_stack 0
		.amdhsa_enable_private_segment 0
		.amdhsa_system_sgpr_workgroup_id_x 1
		.amdhsa_system_sgpr_workgroup_id_y 0
		.amdhsa_system_sgpr_workgroup_id_z 0
		.amdhsa_system_sgpr_workgroup_info 0
		.amdhsa_system_vgpr_workitem_id 0
		.amdhsa_next_free_vgpr 9
		.amdhsa_next_free_sgpr 16
		.amdhsa_reserve_vcc 1
		.amdhsa_float_round_mode_32 0
		.amdhsa_float_round_mode_16_64 0
		.amdhsa_float_denorm_mode_32 3
		.amdhsa_float_denorm_mode_16_64 3
		.amdhsa_dx10_clamp 1
		.amdhsa_ieee_mode 1
		.amdhsa_fp16_overflow 0
		.amdhsa_workgroup_processor_mode 1
		.amdhsa_memory_ordered 1
		.amdhsa_forward_progress 0
		.amdhsa_shared_vgpr_count 0
		.amdhsa_exception_fp_ieee_invalid_op 0
		.amdhsa_exception_fp_denorm_src 0
		.amdhsa_exception_fp_ieee_div_zero 0
		.amdhsa_exception_fp_ieee_overflow 0
		.amdhsa_exception_fp_ieee_underflow 0
		.amdhsa_exception_fp_ieee_inexact 0
		.amdhsa_exception_int_div_zero 0
	.end_amdhsa_kernel
	.section	.text._ZN7rocprim6detail31init_lookback_scan_state_kernelINS0_19lookback_scan_stateIdLb1ELb1EEEEEvT_jjPNS4_10value_typeE,"axG",@progbits,_ZN7rocprim6detail31init_lookback_scan_state_kernelINS0_19lookback_scan_stateIdLb1ELb1EEEEEvT_jjPNS4_10value_typeE,comdat
.Lfunc_end140:
	.size	_ZN7rocprim6detail31init_lookback_scan_state_kernelINS0_19lookback_scan_stateIdLb1ELb1EEEEEvT_jjPNS4_10value_typeE, .Lfunc_end140-_ZN7rocprim6detail31init_lookback_scan_state_kernelINS0_19lookback_scan_stateIdLb1ELb1EEEEEvT_jjPNS4_10value_typeE
                                        ; -- End function
	.section	.AMDGPU.csdata,"",@progbits
; Kernel info:
; codeLenInByte = 496
; NumSgprs: 18
; NumVgprs: 9
; ScratchSize: 0
; MemoryBound: 0
; FloatMode: 240
; IeeeMode: 1
; LDSByteSize: 0 bytes/workgroup (compile time only)
; SGPRBlocks: 2
; VGPRBlocks: 1
; NumSGPRsForWavesPerEU: 18
; NumVGPRsForWavesPerEU: 9
; Occupancy: 16
; WaveLimiterHint : 0
; COMPUTE_PGM_RSRC2:SCRATCH_EN: 0
; COMPUTE_PGM_RSRC2:USER_SGPR: 15
; COMPUTE_PGM_RSRC2:TRAP_HANDLER: 0
; COMPUTE_PGM_RSRC2:TGID_X_EN: 1
; COMPUTE_PGM_RSRC2:TGID_Y_EN: 0
; COMPUTE_PGM_RSRC2:TGID_Z_EN: 0
; COMPUTE_PGM_RSRC2:TIDIG_COMP_CNT: 0
	.section	.text._ZN7rocprim6detail31init_lookback_scan_state_kernelINS0_19lookback_scan_stateIdLb0ELb1EEEEEvT_jjPNS4_10value_typeE,"axG",@progbits,_ZN7rocprim6detail31init_lookback_scan_state_kernelINS0_19lookback_scan_stateIdLb0ELb1EEEEEvT_jjPNS4_10value_typeE,comdat
	.protected	_ZN7rocprim6detail31init_lookback_scan_state_kernelINS0_19lookback_scan_stateIdLb0ELb1EEEEEvT_jjPNS4_10value_typeE ; -- Begin function _ZN7rocprim6detail31init_lookback_scan_state_kernelINS0_19lookback_scan_stateIdLb0ELb1EEEEEvT_jjPNS4_10value_typeE
	.globl	_ZN7rocprim6detail31init_lookback_scan_state_kernelINS0_19lookback_scan_stateIdLb0ELb1EEEEEvT_jjPNS4_10value_typeE
	.p2align	8
	.type	_ZN7rocprim6detail31init_lookback_scan_state_kernelINS0_19lookback_scan_stateIdLb0ELb1EEEEEvT_jjPNS4_10value_typeE,@function
_ZN7rocprim6detail31init_lookback_scan_state_kernelINS0_19lookback_scan_stateIdLb0ELb1EEEEEvT_jjPNS4_10value_typeE: ; @_ZN7rocprim6detail31init_lookback_scan_state_kernelINS0_19lookback_scan_stateIdLb0ELb1EEEEEvT_jjPNS4_10value_typeE
; %bb.0:
	s_clause 0x2
	s_load_b32 s6, s[0:1], 0x24
	s_load_b64 s[4:5], s[0:1], 0x10
	s_load_b128 s[0:3], s[0:1], 0x0
	s_waitcnt lgkmcnt(0)
	s_and_b32 s6, s6, 0xffff
	s_cmp_eq_u64 s[4:5], 0
	v_mad_u64_u32 v[1:2], null, s15, s6, v[0:1]
	s_cbranch_scc1 .LBB141_8
; %bb.1:
	s_cmp_lt_u32 s3, s2
	s_mov_b32 s7, 0
	s_cselect_b32 s6, s3, 0
	s_mov_b32 s8, exec_lo
	s_delay_alu instid0(VALU_DEP_1)
	v_cmpx_eq_u32_e64 s6, v1
	s_cbranch_execz .LBB141_7
; %bb.2:
	s_add_i32 s6, s3, 32
	s_mov_b32 s3, exec_lo
	s_lshl_b64 s[6:7], s[6:7], 4
	v_mov_b32_e32 v6, 0
	s_add_u32 s6, s0, s6
	s_addc_u32 s7, s1, s7
	s_delay_alu instid0(SALU_CYCLE_1) | instskip(SKIP_2) | instid1(VALU_DEP_1)
	v_dual_mov_b32 v2, s6 :: v_dual_mov_b32 v3, s7
	;;#ASMSTART
	global_load_dwordx4 v[2:5], v[2:3] off glc	
s_waitcnt vmcnt(0)
	;;#ASMEND
	v_and_b32_e32 v5, 0xff, v4
	v_cmpx_eq_u64_e32 0, v[5:6]
	s_cbranch_execz .LBB141_6
; %bb.3:
	v_dual_mov_b32 v8, s7 :: v_dual_mov_b32 v7, s6
	s_mov_b32 s6, 0
.LBB141_4:                              ; =>This Inner Loop Header: Depth=1
	;;#ASMSTART
	global_load_dwordx4 v[2:5], v[7:8] off glc	
s_waitcnt vmcnt(0)
	;;#ASMEND
	v_and_b32_e32 v5, 0xff, v4
	s_delay_alu instid0(VALU_DEP_1) | instskip(SKIP_1) | instid1(SALU_CYCLE_1)
	v_cmp_ne_u64_e32 vcc_lo, 0, v[5:6]
	s_or_b32 s6, vcc_lo, s6
	s_and_not1_b32 exec_lo, exec_lo, s6
	s_cbranch_execnz .LBB141_4
; %bb.5:
	s_or_b32 exec_lo, exec_lo, s6
.LBB141_6:
	s_delay_alu instid0(SALU_CYCLE_1)
	s_or_b32 exec_lo, exec_lo, s3
	v_mov_b32_e32 v0, 0
	global_store_b64 v0, v[2:3], s[4:5]
.LBB141_7:
	s_or_b32 exec_lo, exec_lo, s8
.LBB141_8:
	s_delay_alu instid0(VALU_DEP_1)
	v_cmp_gt_u32_e32 vcc_lo, s2, v1
	s_and_saveexec_b32 s2, vcc_lo
	s_cbranch_execz .LBB141_10
; %bb.9:
	v_dual_mov_b32 v3, 0 :: v_dual_add_nc_u32 v2, 32, v1
	s_delay_alu instid0(VALU_DEP_1) | instskip(SKIP_2) | instid1(VALU_DEP_3)
	v_lshlrev_b64 v[5:6], 4, v[2:3]
	v_mov_b32_e32 v2, v3
	v_mov_b32_e32 v4, v3
	v_add_co_u32 v7, vcc_lo, s0, v5
	s_delay_alu instid0(VALU_DEP_4)
	v_add_co_ci_u32_e32 v8, vcc_lo, s1, v6, vcc_lo
	v_mov_b32_e32 v5, v3
	global_store_b128 v[7:8], v[2:5], off
.LBB141_10:
	s_or_b32 exec_lo, exec_lo, s2
	s_delay_alu instid0(SALU_CYCLE_1)
	s_mov_b32 s2, exec_lo
	v_cmpx_gt_u32_e32 32, v1
	s_cbranch_execz .LBB141_12
; %bb.11:
	v_dual_mov_b32 v2, 0 :: v_dual_mov_b32 v3, 0xff
	s_delay_alu instid0(VALU_DEP_1) | instskip(SKIP_1) | instid1(VALU_DEP_2)
	v_lshlrev_b64 v[4:5], 4, v[1:2]
	v_mov_b32_e32 v1, v2
	v_add_co_u32 v6, vcc_lo, s0, v4
	s_delay_alu instid0(VALU_DEP_3)
	v_add_co_ci_u32_e32 v7, vcc_lo, s1, v5, vcc_lo
	v_mov_b32_e32 v4, v2
	global_store_b128 v[6:7], v[1:4], off
.LBB141_12:
	s_nop 0
	s_sendmsg sendmsg(MSG_DEALLOC_VGPRS)
	s_endpgm
	.section	.rodata,"a",@progbits
	.p2align	6, 0x0
	.amdhsa_kernel _ZN7rocprim6detail31init_lookback_scan_state_kernelINS0_19lookback_scan_stateIdLb0ELb1EEEEEvT_jjPNS4_10value_typeE
		.amdhsa_group_segment_fixed_size 0
		.amdhsa_private_segment_fixed_size 0
		.amdhsa_kernarg_size 280
		.amdhsa_user_sgpr_count 15
		.amdhsa_user_sgpr_dispatch_ptr 0
		.amdhsa_user_sgpr_queue_ptr 0
		.amdhsa_user_sgpr_kernarg_segment_ptr 1
		.amdhsa_user_sgpr_dispatch_id 0
		.amdhsa_user_sgpr_private_segment_size 0
		.amdhsa_wavefront_size32 1
		.amdhsa_uses_dynamic_stack 0
		.amdhsa_enable_private_segment 0
		.amdhsa_system_sgpr_workgroup_id_x 1
		.amdhsa_system_sgpr_workgroup_id_y 0
		.amdhsa_system_sgpr_workgroup_id_z 0
		.amdhsa_system_sgpr_workgroup_info 0
		.amdhsa_system_vgpr_workitem_id 0
		.amdhsa_next_free_vgpr 9
		.amdhsa_next_free_sgpr 16
		.amdhsa_reserve_vcc 1
		.amdhsa_float_round_mode_32 0
		.amdhsa_float_round_mode_16_64 0
		.amdhsa_float_denorm_mode_32 3
		.amdhsa_float_denorm_mode_16_64 3
		.amdhsa_dx10_clamp 1
		.amdhsa_ieee_mode 1
		.amdhsa_fp16_overflow 0
		.amdhsa_workgroup_processor_mode 1
		.amdhsa_memory_ordered 1
		.amdhsa_forward_progress 0
		.amdhsa_shared_vgpr_count 0
		.amdhsa_exception_fp_ieee_invalid_op 0
		.amdhsa_exception_fp_denorm_src 0
		.amdhsa_exception_fp_ieee_div_zero 0
		.amdhsa_exception_fp_ieee_overflow 0
		.amdhsa_exception_fp_ieee_underflow 0
		.amdhsa_exception_fp_ieee_inexact 0
		.amdhsa_exception_int_div_zero 0
	.end_amdhsa_kernel
	.section	.text._ZN7rocprim6detail31init_lookback_scan_state_kernelINS0_19lookback_scan_stateIdLb0ELb1EEEEEvT_jjPNS4_10value_typeE,"axG",@progbits,_ZN7rocprim6detail31init_lookback_scan_state_kernelINS0_19lookback_scan_stateIdLb0ELb1EEEEEvT_jjPNS4_10value_typeE,comdat
.Lfunc_end141:
	.size	_ZN7rocprim6detail31init_lookback_scan_state_kernelINS0_19lookback_scan_stateIdLb0ELb1EEEEEvT_jjPNS4_10value_typeE, .Lfunc_end141-_ZN7rocprim6detail31init_lookback_scan_state_kernelINS0_19lookback_scan_stateIdLb0ELb1EEEEEvT_jjPNS4_10value_typeE
                                        ; -- End function
	.section	.AMDGPU.csdata,"",@progbits
; Kernel info:
; codeLenInByte = 448
; NumSgprs: 18
; NumVgprs: 9
; ScratchSize: 0
; MemoryBound: 0
; FloatMode: 240
; IeeeMode: 1
; LDSByteSize: 0 bytes/workgroup (compile time only)
; SGPRBlocks: 2
; VGPRBlocks: 1
; NumSGPRsForWavesPerEU: 18
; NumVGPRsForWavesPerEU: 9
; Occupancy: 16
; WaveLimiterHint : 0
; COMPUTE_PGM_RSRC2:SCRATCH_EN: 0
; COMPUTE_PGM_RSRC2:USER_SGPR: 15
; COMPUTE_PGM_RSRC2:TRAP_HANDLER: 0
; COMPUTE_PGM_RSRC2:TGID_X_EN: 1
; COMPUTE_PGM_RSRC2:TGID_Y_EN: 0
; COMPUTE_PGM_RSRC2:TGID_Z_EN: 0
; COMPUTE_PGM_RSRC2:TIDIG_COMP_CNT: 0
	.section	.text._ZN7rocprim6detail20lookback_scan_kernelILNS0_25lookback_scan_determinismE0ELb1ENS0_19wrapped_scan_configINS_14default_configEdEEN6hipcub22TransformInputIteratorIiNS6_6CastOpIiEEPilEEPdNS6_3SumENS_12future_valueIdSC_EEdNS0_19lookback_scan_stateIdLb1ELb1EEEEEvT2_T3_mT5_T4_T7_jPT6_SO_bb,"axG",@progbits,_ZN7rocprim6detail20lookback_scan_kernelILNS0_25lookback_scan_determinismE0ELb1ENS0_19wrapped_scan_configINS_14default_configEdEEN6hipcub22TransformInputIteratorIiNS6_6CastOpIiEEPilEEPdNS6_3SumENS_12future_valueIdSC_EEdNS0_19lookback_scan_stateIdLb1ELb1EEEEEvT2_T3_mT5_T4_T7_jPT6_SO_bb,comdat
	.protected	_ZN7rocprim6detail20lookback_scan_kernelILNS0_25lookback_scan_determinismE0ELb1ENS0_19wrapped_scan_configINS_14default_configEdEEN6hipcub22TransformInputIteratorIiNS6_6CastOpIiEEPilEEPdNS6_3SumENS_12future_valueIdSC_EEdNS0_19lookback_scan_stateIdLb1ELb1EEEEEvT2_T3_mT5_T4_T7_jPT6_SO_bb ; -- Begin function _ZN7rocprim6detail20lookback_scan_kernelILNS0_25lookback_scan_determinismE0ELb1ENS0_19wrapped_scan_configINS_14default_configEdEEN6hipcub22TransformInputIteratorIiNS6_6CastOpIiEEPilEEPdNS6_3SumENS_12future_valueIdSC_EEdNS0_19lookback_scan_stateIdLb1ELb1EEEEEvT2_T3_mT5_T4_T7_jPT6_SO_bb
	.globl	_ZN7rocprim6detail20lookback_scan_kernelILNS0_25lookback_scan_determinismE0ELb1ENS0_19wrapped_scan_configINS_14default_configEdEEN6hipcub22TransformInputIteratorIiNS6_6CastOpIiEEPilEEPdNS6_3SumENS_12future_valueIdSC_EEdNS0_19lookback_scan_stateIdLb1ELb1EEEEEvT2_T3_mT5_T4_T7_jPT6_SO_bb
	.p2align	8
	.type	_ZN7rocprim6detail20lookback_scan_kernelILNS0_25lookback_scan_determinismE0ELb1ENS0_19wrapped_scan_configINS_14default_configEdEEN6hipcub22TransformInputIteratorIiNS6_6CastOpIiEEPilEEPdNS6_3SumENS_12future_valueIdSC_EEdNS0_19lookback_scan_stateIdLb1ELb1EEEEEvT2_T3_mT5_T4_T7_jPT6_SO_bb,@function
_ZN7rocprim6detail20lookback_scan_kernelILNS0_25lookback_scan_determinismE0ELb1ENS0_19wrapped_scan_configINS_14default_configEdEEN6hipcub22TransformInputIteratorIiNS6_6CastOpIiEEPilEEPdNS6_3SumENS_12future_valueIdSC_EEdNS0_19lookback_scan_stateIdLb1ELb1EEEEEvT2_T3_mT5_T4_T7_jPT6_SO_bb: ; @_ZN7rocprim6detail20lookback_scan_kernelILNS0_25lookback_scan_determinismE0ELb1ENS0_19wrapped_scan_configINS_14default_configEdEEN6hipcub22TransformInputIteratorIiNS6_6CastOpIiEEPilEEPdNS6_3SumENS_12future_valueIdSC_EEdNS0_19lookback_scan_stateIdLb1ELb1EEEEEvT2_T3_mT5_T4_T7_jPT6_SO_bb
; %bb.0:
	s_endpgm
	.section	.rodata,"a",@progbits
	.p2align	6, 0x0
	.amdhsa_kernel _ZN7rocprim6detail20lookback_scan_kernelILNS0_25lookback_scan_determinismE0ELb1ENS0_19wrapped_scan_configINS_14default_configEdEEN6hipcub22TransformInputIteratorIiNS6_6CastOpIiEEPilEEPdNS6_3SumENS_12future_valueIdSC_EEdNS0_19lookback_scan_stateIdLb1ELb1EEEEEvT2_T3_mT5_T4_T7_jPT6_SO_bb
		.amdhsa_group_segment_fixed_size 0
		.amdhsa_private_segment_fixed_size 0
		.amdhsa_kernarg_size 84
		.amdhsa_user_sgpr_count 15
		.amdhsa_user_sgpr_dispatch_ptr 0
		.amdhsa_user_sgpr_queue_ptr 0
		.amdhsa_user_sgpr_kernarg_segment_ptr 1
		.amdhsa_user_sgpr_dispatch_id 0
		.amdhsa_user_sgpr_private_segment_size 0
		.amdhsa_wavefront_size32 1
		.amdhsa_uses_dynamic_stack 0
		.amdhsa_enable_private_segment 0
		.amdhsa_system_sgpr_workgroup_id_x 1
		.amdhsa_system_sgpr_workgroup_id_y 0
		.amdhsa_system_sgpr_workgroup_id_z 0
		.amdhsa_system_sgpr_workgroup_info 0
		.amdhsa_system_vgpr_workitem_id 0
		.amdhsa_next_free_vgpr 1
		.amdhsa_next_free_sgpr 1
		.amdhsa_reserve_vcc 0
		.amdhsa_float_round_mode_32 0
		.amdhsa_float_round_mode_16_64 0
		.amdhsa_float_denorm_mode_32 3
		.amdhsa_float_denorm_mode_16_64 3
		.amdhsa_dx10_clamp 1
		.amdhsa_ieee_mode 1
		.amdhsa_fp16_overflow 0
		.amdhsa_workgroup_processor_mode 1
		.amdhsa_memory_ordered 1
		.amdhsa_forward_progress 0
		.amdhsa_shared_vgpr_count 0
		.amdhsa_exception_fp_ieee_invalid_op 0
		.amdhsa_exception_fp_denorm_src 0
		.amdhsa_exception_fp_ieee_div_zero 0
		.amdhsa_exception_fp_ieee_overflow 0
		.amdhsa_exception_fp_ieee_underflow 0
		.amdhsa_exception_fp_ieee_inexact 0
		.amdhsa_exception_int_div_zero 0
	.end_amdhsa_kernel
	.section	.text._ZN7rocprim6detail20lookback_scan_kernelILNS0_25lookback_scan_determinismE0ELb1ENS0_19wrapped_scan_configINS_14default_configEdEEN6hipcub22TransformInputIteratorIiNS6_6CastOpIiEEPilEEPdNS6_3SumENS_12future_valueIdSC_EEdNS0_19lookback_scan_stateIdLb1ELb1EEEEEvT2_T3_mT5_T4_T7_jPT6_SO_bb,"axG",@progbits,_ZN7rocprim6detail20lookback_scan_kernelILNS0_25lookback_scan_determinismE0ELb1ENS0_19wrapped_scan_configINS_14default_configEdEEN6hipcub22TransformInputIteratorIiNS6_6CastOpIiEEPilEEPdNS6_3SumENS_12future_valueIdSC_EEdNS0_19lookback_scan_stateIdLb1ELb1EEEEEvT2_T3_mT5_T4_T7_jPT6_SO_bb,comdat
.Lfunc_end142:
	.size	_ZN7rocprim6detail20lookback_scan_kernelILNS0_25lookback_scan_determinismE0ELb1ENS0_19wrapped_scan_configINS_14default_configEdEEN6hipcub22TransformInputIteratorIiNS6_6CastOpIiEEPilEEPdNS6_3SumENS_12future_valueIdSC_EEdNS0_19lookback_scan_stateIdLb1ELb1EEEEEvT2_T3_mT5_T4_T7_jPT6_SO_bb, .Lfunc_end142-_ZN7rocprim6detail20lookback_scan_kernelILNS0_25lookback_scan_determinismE0ELb1ENS0_19wrapped_scan_configINS_14default_configEdEEN6hipcub22TransformInputIteratorIiNS6_6CastOpIiEEPilEEPdNS6_3SumENS_12future_valueIdSC_EEdNS0_19lookback_scan_stateIdLb1ELb1EEEEEvT2_T3_mT5_T4_T7_jPT6_SO_bb
                                        ; -- End function
	.section	.AMDGPU.csdata,"",@progbits
; Kernel info:
; codeLenInByte = 4
; NumSgprs: 0
; NumVgprs: 0
; ScratchSize: 0
; MemoryBound: 0
; FloatMode: 240
; IeeeMode: 1
; LDSByteSize: 0 bytes/workgroup (compile time only)
; SGPRBlocks: 0
; VGPRBlocks: 0
; NumSGPRsForWavesPerEU: 1
; NumVGPRsForWavesPerEU: 1
; Occupancy: 16
; WaveLimiterHint : 0
; COMPUTE_PGM_RSRC2:SCRATCH_EN: 0
; COMPUTE_PGM_RSRC2:USER_SGPR: 15
; COMPUTE_PGM_RSRC2:TRAP_HANDLER: 0
; COMPUTE_PGM_RSRC2:TGID_X_EN: 1
; COMPUTE_PGM_RSRC2:TGID_Y_EN: 0
; COMPUTE_PGM_RSRC2:TGID_Z_EN: 0
; COMPUTE_PGM_RSRC2:TIDIG_COMP_CNT: 0
	.section	.text._ZN7rocprim6detail20lookback_scan_kernelILNS0_25lookback_scan_determinismE0ELb1ENS0_19wrapped_scan_configINS_14default_configEdEEN6hipcub22TransformInputIteratorIiNS6_6CastOpIiEEPilEEPdNS6_3SumENS_12future_valueIdSC_EEdNS0_19lookback_scan_stateIdLb0ELb1EEEEEvT2_T3_mT5_T4_T7_jPT6_SO_bb,"axG",@progbits,_ZN7rocprim6detail20lookback_scan_kernelILNS0_25lookback_scan_determinismE0ELb1ENS0_19wrapped_scan_configINS_14default_configEdEEN6hipcub22TransformInputIteratorIiNS6_6CastOpIiEEPilEEPdNS6_3SumENS_12future_valueIdSC_EEdNS0_19lookback_scan_stateIdLb0ELb1EEEEEvT2_T3_mT5_T4_T7_jPT6_SO_bb,comdat
	.protected	_ZN7rocprim6detail20lookback_scan_kernelILNS0_25lookback_scan_determinismE0ELb1ENS0_19wrapped_scan_configINS_14default_configEdEEN6hipcub22TransformInputIteratorIiNS6_6CastOpIiEEPilEEPdNS6_3SumENS_12future_valueIdSC_EEdNS0_19lookback_scan_stateIdLb0ELb1EEEEEvT2_T3_mT5_T4_T7_jPT6_SO_bb ; -- Begin function _ZN7rocprim6detail20lookback_scan_kernelILNS0_25lookback_scan_determinismE0ELb1ENS0_19wrapped_scan_configINS_14default_configEdEEN6hipcub22TransformInputIteratorIiNS6_6CastOpIiEEPilEEPdNS6_3SumENS_12future_valueIdSC_EEdNS0_19lookback_scan_stateIdLb0ELb1EEEEEvT2_T3_mT5_T4_T7_jPT6_SO_bb
	.globl	_ZN7rocprim6detail20lookback_scan_kernelILNS0_25lookback_scan_determinismE0ELb1ENS0_19wrapped_scan_configINS_14default_configEdEEN6hipcub22TransformInputIteratorIiNS6_6CastOpIiEEPilEEPdNS6_3SumENS_12future_valueIdSC_EEdNS0_19lookback_scan_stateIdLb0ELb1EEEEEvT2_T3_mT5_T4_T7_jPT6_SO_bb
	.p2align	8
	.type	_ZN7rocprim6detail20lookback_scan_kernelILNS0_25lookback_scan_determinismE0ELb1ENS0_19wrapped_scan_configINS_14default_configEdEEN6hipcub22TransformInputIteratorIiNS6_6CastOpIiEEPilEEPdNS6_3SumENS_12future_valueIdSC_EEdNS0_19lookback_scan_stateIdLb0ELb1EEEEEvT2_T3_mT5_T4_T7_jPT6_SO_bb,@function
_ZN7rocprim6detail20lookback_scan_kernelILNS0_25lookback_scan_determinismE0ELb1ENS0_19wrapped_scan_configINS_14default_configEdEEN6hipcub22TransformInputIteratorIiNS6_6CastOpIiEEPilEEPdNS6_3SumENS_12future_valueIdSC_EEdNS0_19lookback_scan_stateIdLb0ELb1EEEEEvT2_T3_mT5_T4_T7_jPT6_SO_bb: ; @_ZN7rocprim6detail20lookback_scan_kernelILNS0_25lookback_scan_determinismE0ELb1ENS0_19wrapped_scan_configINS_14default_configEdEEN6hipcub22TransformInputIteratorIiNS6_6CastOpIiEEPilEEPdNS6_3SumENS_12future_valueIdSC_EEdNS0_19lookback_scan_stateIdLb0ELb1EEEEEvT2_T3_mT5_T4_T7_jPT6_SO_bb
; %bb.0:
	s_clause 0x3
	s_load_b32 s8, s[0:1], 0x38
	s_load_b64 s[2:3], s[0:1], 0x20
	s_load_b128 s[4:7], s[0:1], 0x10
	s_load_b64 s[16:17], s[0:1], 0x0
	s_lshl_b32 s12, s15, 12
	s_mov_b32 s13, 0
	v_lshlrev_b32_e32 v1, 2, v0
	v_lshrrev_b32_e32 v35, 2, v0
	v_lshlrev_b32_e32 v84, 3, v0
	v_or_b32_e32 v83, 0x100, v0
	v_or_b32_e32 v82, 0x200, v0
	;; [unrolled: 1-line block ×11, first 2 shown]
	s_waitcnt lgkmcnt(0)
	s_add_i32 s8, s8, -1
	s_load_b64 s[18:19], s[2:3], 0x0
	s_lshl_b32 s9, s8, 12
	v_or_b32_e32 v72, 0xc00, v0
	s_sub_u32 s14, s6, s9
	s_subb_u32 s20, s7, 0
	s_cmp_lg_u32 s15, s8
	v_or_b32_e32 v71, 0xd00, v0
	s_cselect_b32 s21, -1, 0
	s_lshl_b64 s[2:3], s[12:13], 2
	v_or_b32_e32 v70, 0xe00, v0
	v_or_b32_e32 v69, 0xf00, v0
	s_add_u32 s6, s16, s2
	s_addc_u32 s7, s17, s3
	s_and_b32 vcc_lo, exec_lo, s21
	s_mov_b32 s3, -1
	s_cbranch_vccz .LBB143_2
; %bb.1:
	v_add_co_u32 v6, s2, s6, v1
	s_delay_alu instid0(VALU_DEP_1) | instskip(SKIP_1) | instid1(VALU_DEP_3)
	v_add_co_ci_u32_e64 v7, null, s7, 0, s2
	v_lshrrev_b32_e32 v15, 2, v78
	v_add_co_u32 v2, vcc_lo, 0x1000, v6
	s_delay_alu instid0(VALU_DEP_3)
	v_add_co_ci_u32_e32 v3, vcc_lo, 0, v7, vcc_lo
	v_add_co_u32 v4, vcc_lo, v6, 0x2000
	v_add_co_ci_u32_e32 v5, vcc_lo, 0, v7, vcc_lo
	s_clause 0x7
	global_load_b32 v8, v1, s[6:7]
	global_load_b32 v9, v1, s[6:7] offset:1024
	global_load_b32 v10, v1, s[6:7] offset:2048
	global_load_b32 v11, v1, s[6:7] offset:3072
	global_load_b32 v12, v[4:5], off offset:-4096
	global_load_b32 v13, v[2:3], off offset:1024
	global_load_b32 v14, v[2:3], off offset:2048
	;; [unrolled: 1-line block ×3, first 2 shown]
	v_add_co_u32 v2, vcc_lo, 0x2000, v6
	v_add_co_ci_u32_e32 v3, vcc_lo, 0, v7, vcc_lo
	v_add_co_u32 v6, vcc_lo, 0x3000, v6
	v_add_co_ci_u32_e32 v7, vcc_lo, 0, v7, vcc_lo
	s_clause 0x7
	global_load_b32 v18, v[4:5], off
	global_load_b32 v20, v[2:3], off offset:1024
	global_load_b32 v22, v[2:3], off offset:2048
	;; [unrolled: 1-line block ×3, first 2 shown]
	global_load_b32 v26, v[6:7], off
	global_load_b32 v28, v[6:7], off offset:1024
	global_load_b32 v30, v[6:7], off offset:2048
	global_load_b32 v32, v[6:7], off offset:3072
	v_and_b32_e32 v2, 56, v35
	v_lshrrev_b32_e32 v3, 2, v83
	v_lshrrev_b32_e32 v4, 2, v82
	;; [unrolled: 1-line block ×5, first 2 shown]
	v_add_nc_u32_e32 v42, v2, v84
	v_and_b32_e32 v43, 0x78, v3
	v_and_b32_e32 v44, 0xb8, v4
	;; [unrolled: 1-line block ×3, first 2 shown]
	v_lshrrev_b32_e32 v17, 2, v77
	v_and_b32_e32 v46, 0x138, v6
	v_and_b32_e32 v47, 0x178, v7
	v_lshrrev_b32_e32 v19, 2, v76
	v_and_b32_e32 v48, 0x1b8, v15
	v_and_b32_e32 v49, 0x1f8, v17
	v_lshrrev_b32_e32 v34, 2, v75
	v_lshrrev_b32_e32 v36, 2, v74
	v_and_b32_e32 v50, 0x238, v19
	v_lshrrev_b32_e32 v37, 2, v73
	v_lshrrev_b32_e32 v38, 2, v72
	;; [unrolled: 1-line block ×5, first 2 shown]
	v_and_b32_e32 v34, 0x278, v34
	v_and_b32_e32 v36, 0x2b8, v36
	;; [unrolled: 1-line block ×7, first 2 shown]
	v_add_nc_u32_e32 v43, v43, v84
	v_add_nc_u32_e32 v44, v44, v84
	;; [unrolled: 1-line block ×4, first 2 shown]
	s_mov_b32 s3, s13
	v_add_nc_u32_e32 v47, v47, v84
	v_add_nc_u32_e32 v48, v48, v84
	;; [unrolled: 1-line block ×11, first 2 shown]
	s_waitcnt vmcnt(15)
	v_cvt_f64_i32_e32 v[2:3], v8
	s_waitcnt vmcnt(14)
	v_cvt_f64_i32_e32 v[4:5], v9
	;; [unrolled: 2-line block ×16, first 2 shown]
	ds_store_b64 v42, v[2:3]
	ds_store_b64 v43, v[4:5] offset:2048
	ds_store_b64 v44, v[6:7] offset:4096
	;; [unrolled: 1-line block ×15, first 2 shown]
	s_waitcnt lgkmcnt(0)
	s_barrier
.LBB143_2:
	v_cmp_gt_u32_e64 s2, s14, v0
	s_and_not1_b32 vcc_lo, exec_lo, s3
	s_cbranch_vccnz .LBB143_21
; %bb.3:
	s_load_b32 s3, s[6:7], 0x0
	s_waitcnt lgkmcnt(0)
	v_cvt_f64_i32_e32 v[17:18], s3
	v_add_co_u32 v33, s3, s6, v1
	s_delay_alu instid0(VALU_DEP_1) | instskip(NEXT) | instid1(VALU_DEP_3)
	v_add_co_ci_u32_e64 v34, null, s7, 0, s3
	v_dual_mov_b32 v27, v17 :: v_dual_mov_b32 v28, v18
	v_dual_mov_b32 v29, v17 :: v_dual_mov_b32 v30, v18
	;; [unrolled: 1-line block ×15, first 2 shown]
	s_and_saveexec_b32 s3, s2
	s_cbranch_execnz .LBB143_187
; %bb.4:
	s_or_b32 exec_lo, exec_lo, s3
	s_delay_alu instid0(SALU_CYCLE_1)
	s_mov_b32 s2, exec_lo
	v_cmpx_gt_u32_e64 s14, v83
	s_cbranch_execnz .LBB143_188
.LBB143_5:
	s_or_b32 exec_lo, exec_lo, s2
	s_delay_alu instid0(SALU_CYCLE_1)
	s_mov_b32 s2, exec_lo
	v_cmpx_gt_u32_e64 s14, v82
	s_cbranch_execnz .LBB143_189
.LBB143_6:
	s_or_b32 exec_lo, exec_lo, s2
	s_delay_alu instid0(SALU_CYCLE_1)
	s_mov_b32 s2, exec_lo
	v_cmpx_gt_u32_e64 s14, v81
	s_cbranch_execnz .LBB143_190
.LBB143_7:
	s_or_b32 exec_lo, exec_lo, s2
	s_delay_alu instid0(SALU_CYCLE_1)
	s_mov_b32 s2, exec_lo
	v_cmpx_gt_u32_e64 s14, v80
	s_cbranch_execnz .LBB143_191
.LBB143_8:
	s_or_b32 exec_lo, exec_lo, s2
	s_delay_alu instid0(SALU_CYCLE_1)
	s_mov_b32 s2, exec_lo
	v_cmpx_gt_u32_e64 s14, v79
	s_cbranch_execnz .LBB143_192
.LBB143_9:
	s_or_b32 exec_lo, exec_lo, s2
	s_delay_alu instid0(SALU_CYCLE_1)
	s_mov_b32 s2, exec_lo
	v_cmpx_gt_u32_e64 s14, v78
	s_cbranch_execnz .LBB143_193
.LBB143_10:
	s_or_b32 exec_lo, exec_lo, s2
	s_delay_alu instid0(SALU_CYCLE_1)
	s_mov_b32 s2, exec_lo
	v_cmpx_gt_u32_e64 s14, v77
	s_cbranch_execnz .LBB143_194
.LBB143_11:
	s_or_b32 exec_lo, exec_lo, s2
	s_delay_alu instid0(SALU_CYCLE_1)
	s_mov_b32 s2, exec_lo
	v_cmpx_gt_u32_e64 s14, v76
	s_cbranch_execnz .LBB143_195
.LBB143_12:
	s_or_b32 exec_lo, exec_lo, s2
	s_delay_alu instid0(SALU_CYCLE_1)
	s_mov_b32 s2, exec_lo
	v_cmpx_gt_u32_e64 s14, v75
	s_cbranch_execnz .LBB143_196
.LBB143_13:
	s_or_b32 exec_lo, exec_lo, s2
	s_delay_alu instid0(SALU_CYCLE_1)
	s_mov_b32 s2, exec_lo
	v_cmpx_gt_u32_e64 s14, v74
	s_cbranch_execnz .LBB143_197
.LBB143_14:
	s_or_b32 exec_lo, exec_lo, s2
	s_delay_alu instid0(SALU_CYCLE_1)
	s_mov_b32 s2, exec_lo
	v_cmpx_gt_u32_e64 s14, v73
	s_cbranch_execnz .LBB143_198
.LBB143_15:
	s_or_b32 exec_lo, exec_lo, s2
	s_delay_alu instid0(SALU_CYCLE_1)
	s_mov_b32 s2, exec_lo
	v_cmpx_gt_u32_e64 s14, v72
	s_cbranch_execnz .LBB143_199
.LBB143_16:
	s_or_b32 exec_lo, exec_lo, s2
	s_delay_alu instid0(SALU_CYCLE_1)
	s_mov_b32 s2, exec_lo
	v_cmpx_gt_u32_e64 s14, v71
	s_cbranch_execnz .LBB143_200
.LBB143_17:
	s_or_b32 exec_lo, exec_lo, s2
	s_delay_alu instid0(SALU_CYCLE_1)
	s_mov_b32 s2, exec_lo
	v_cmpx_gt_u32_e64 s14, v70
	s_cbranch_execnz .LBB143_201
.LBB143_18:
	s_or_b32 exec_lo, exec_lo, s2
	s_delay_alu instid0(SALU_CYCLE_1)
	s_mov_b32 s2, exec_lo
	v_cmpx_gt_u32_e64 s14, v69
	s_cbranch_execz .LBB143_20
.LBB143_19:
	v_add_co_u32 v15, vcc_lo, 0x3000, v33
	v_add_co_ci_u32_e32 v16, vcc_lo, 0, v34, vcc_lo
	global_load_b32 v15, v[15:16], off offset:3072
	s_waitcnt vmcnt(0)
	v_cvt_f64_i32_e32 v[15:16], v15
.LBB143_20:
	s_or_b32 exec_lo, exec_lo, s2
	v_lshrrev_b32_e32 v33, 2, v83
	v_lshrrev_b32_e32 v34, 2, v82
	v_lshrrev_b32_e32 v36, 2, v81
	v_and_b32_e32 v35, 56, v35
	v_lshrrev_b32_e32 v37, 2, v80
	v_and_b32_e32 v33, 0x78, v33
	v_and_b32_e32 v34, 0xf8, v34
	;; [unrolled: 1-line block ×3, first 2 shown]
	v_lshrrev_b32_e32 v38, 2, v79
	v_add_nc_u32_e32 v35, v35, v84
	v_lshrrev_b32_e32 v39, 2, v78
	v_add_nc_u32_e32 v33, v33, v84
	;; [unrolled: 2-line block ×3, first 2 shown]
	v_add_nc_u32_e32 v36, v36, v84
	v_and_b32_e32 v37, 0x1f8, v37
	v_and_b32_e32 v38, 0x1f8, v38
	ds_store_b64 v35, v[31:32]
	ds_store_b64 v33, v[17:18] offset:2048
	ds_store_b64 v34, v[27:28] offset:4096
	;; [unrolled: 1-line block ×3, first 2 shown]
	v_and_b32_e32 v27, 0x1f8, v39
	v_and_b32_e32 v28, 0x1f8, v40
	v_add_nc_u32_e32 v17, v37, v84
	v_add_nc_u32_e32 v18, v38, v84
	v_lshrrev_b32_e32 v29, 2, v76
	v_add_nc_u32_e32 v27, v27, v84
	v_lshrrev_b32_e32 v30, 2, v75
	v_add_nc_u32_e32 v28, v28, v84
	v_lshrrev_b32_e32 v31, 2, v74
	ds_store_b64 v17, v[19:20] offset:8192
	ds_store_b64 v18, v[21:22] offset:10240
	;; [unrolled: 1-line block ×4, first 2 shown]
	v_lshrrev_b32_e32 v20, 2, v73
	v_lshrrev_b32_e32 v21, 2, v72
	v_and_b32_e32 v29, 0x3f8, v29
	v_lshrrev_b32_e32 v22, 2, v71
	v_lshrrev_b32_e32 v23, 2, v70
	;; [unrolled: 1-line block ×3, first 2 shown]
	v_and_b32_e32 v30, 0x3f8, v30
	v_and_b32_e32 v31, 0x3f8, v31
	;; [unrolled: 1-line block ×4, first 2 shown]
	v_add_nc_u32_e32 v17, v29, v84
	v_and_b32_e32 v22, 0x3f8, v22
	v_and_b32_e32 v23, 0x3f8, v23
	;; [unrolled: 1-line block ×3, first 2 shown]
	v_add_nc_u32_e32 v18, v30, v84
	v_add_nc_u32_e32 v19, v31, v84
	;; [unrolled: 1-line block ×7, first 2 shown]
	ds_store_b64 v17, v[1:2] offset:16384
	ds_store_b64 v18, v[3:4] offset:18432
	;; [unrolled: 1-line block ×8, first 2 shown]
	s_waitcnt lgkmcnt(0)
	s_barrier
.LBB143_21:
	v_lshlrev_b32_e32 v1, 4, v0
	v_lshrrev_b32_e32 v85, 1, v0
	s_waitcnt lgkmcnt(0)
	buffer_gl0_inv
	s_load_b64 s[6:7], s[0:1], 0x30
	v_mbcnt_lo_u32_b32 v86, -1, 0
	s_cmp_lg_u32 s15, 0
	v_add_lshl_u32 v3, v85, v1, 3
	ds_load_2addr_b64 v[33:36], v3 offset1:1
	ds_load_2addr_b64 v[37:40], v3 offset0:2 offset1:3
	ds_load_2addr_b64 v[61:64], v3 offset0:4 offset1:5
	;; [unrolled: 1-line block ×7, first 2 shown]
	s_waitcnt lgkmcnt(0)
	s_barrier
	buffer_gl0_inv
	v_add_f64 v[1:2], v[33:34], v[35:36]
	s_delay_alu instid0(VALU_DEP_1)
	v_add_f64 v[65:66], v[37:38], v[1:2]
	s_cbranch_scc0 .LBB143_83
; %bb.22:
	s_delay_alu instid0(VALU_DEP_1) | instskip(SKIP_2) | instid1(VALU_DEP_2)
	v_add_f64 v[1:2], v[39:40], v[65:66]
	v_and_b32_e32 v5, 15, v86
	s_mov_b32 s2, exec_lo
	v_add_f64 v[1:2], v[61:62], v[1:2]
	s_delay_alu instid0(VALU_DEP_1) | instskip(NEXT) | instid1(VALU_DEP_1)
	v_add_f64 v[1:2], v[63:64], v[1:2]
	v_add_f64 v[1:2], v[57:58], v[1:2]
	s_delay_alu instid0(VALU_DEP_1) | instskip(NEXT) | instid1(VALU_DEP_1)
	v_add_f64 v[1:2], v[59:60], v[1:2]
	;; [unrolled: 3-line block ×6, first 2 shown]
	v_mov_b32_dpp v3, v1 row_shr:1 row_mask:0xf bank_mask:0xf
	s_delay_alu instid0(VALU_DEP_2)
	v_mov_b32_dpp v4, v2 row_shr:1 row_mask:0xf bank_mask:0xf
	v_cmpx_ne_u32_e32 0, v5
; %bb.23:
	s_delay_alu instid0(VALU_DEP_2)
	v_add_f64 v[1:2], v[1:2], v[3:4]
; %bb.24:
	s_or_b32 exec_lo, exec_lo, s2
	s_delay_alu instid0(VALU_DEP_1) | instskip(NEXT) | instid1(VALU_DEP_2)
	v_mov_b32_dpp v3, v1 row_shr:2 row_mask:0xf bank_mask:0xf
	v_mov_b32_dpp v4, v2 row_shr:2 row_mask:0xf bank_mask:0xf
	s_mov_b32 s2, exec_lo
	v_cmpx_lt_u32_e32 1, v5
; %bb.25:
	s_delay_alu instid0(VALU_DEP_2)
	v_add_f64 v[1:2], v[1:2], v[3:4]
; %bb.26:
	s_or_b32 exec_lo, exec_lo, s2
	s_delay_alu instid0(VALU_DEP_1) | instskip(NEXT) | instid1(VALU_DEP_2)
	v_mov_b32_dpp v3, v1 row_shr:4 row_mask:0xf bank_mask:0xf
	v_mov_b32_dpp v4, v2 row_shr:4 row_mask:0xf bank_mask:0xf
	s_mov_b32 s2, exec_lo
	v_cmpx_lt_u32_e32 3, v5
	;; [unrolled: 10-line block ×3, first 2 shown]
; %bb.29:
	s_delay_alu instid0(VALU_DEP_2)
	v_add_f64 v[1:2], v[1:2], v[3:4]
; %bb.30:
	s_or_b32 exec_lo, exec_lo, s2
	ds_swizzle_b32 v3, v1 offset:swizzle(BROADCAST,32,15)
	ds_swizzle_b32 v4, v2 offset:swizzle(BROADCAST,32,15)
	v_and_b32_e32 v5, 16, v86
	s_mov_b32 s2, exec_lo
	s_delay_alu instid0(VALU_DEP_1)
	v_cmpx_ne_u32_e32 0, v5
	s_cbranch_execz .LBB143_32
; %bb.31:
	s_waitcnt lgkmcnt(0)
	v_add_f64 v[1:2], v[1:2], v[3:4]
.LBB143_32:
	s_or_b32 exec_lo, exec_lo, s2
	s_waitcnt lgkmcnt(1)
	v_or_b32_e32 v3, 31, v0
	v_lshrrev_b32_e32 v9, 5, v0
	s_mov_b32 s2, exec_lo
	s_delay_alu instid0(VALU_DEP_2)
	v_cmpx_eq_u32_e64 v3, v0
	s_cbranch_execz .LBB143_34
; %bb.33:
	s_delay_alu instid0(VALU_DEP_2)
	v_lshlrev_b32_e32 v3, 3, v9
	ds_store_b64 v3, v[1:2]
.LBB143_34:
	s_or_b32 exec_lo, exec_lo, s2
	s_delay_alu instid0(SALU_CYCLE_1)
	s_mov_b32 s2, exec_lo
	s_waitcnt lgkmcnt(0)
	s_barrier
	buffer_gl0_inv
	v_cmpx_gt_u32_e32 8, v0
	s_cbranch_execz .LBB143_42
; %bb.35:
	ds_load_b64 v[3:4], v84
	v_and_b32_e32 v7, 7, v86
	s_mov_b32 s3, exec_lo
	s_waitcnt lgkmcnt(0)
	v_mov_b32_dpp v5, v3 row_shr:1 row_mask:0xf bank_mask:0xf
	v_mov_b32_dpp v6, v4 row_shr:1 row_mask:0xf bank_mask:0xf
	v_cmpx_ne_u32_e32 0, v7
; %bb.36:
	s_delay_alu instid0(VALU_DEP_2)
	v_add_f64 v[3:4], v[3:4], v[5:6]
; %bb.37:
	s_or_b32 exec_lo, exec_lo, s3
	s_delay_alu instid0(VALU_DEP_1) | instskip(NEXT) | instid1(VALU_DEP_2)
	v_mov_b32_dpp v5, v3 row_shr:2 row_mask:0xf bank_mask:0xf
	v_mov_b32_dpp v6, v4 row_shr:2 row_mask:0xf bank_mask:0xf
	s_mov_b32 s3, exec_lo
	v_cmpx_lt_u32_e32 1, v7
; %bb.38:
	s_delay_alu instid0(VALU_DEP_2)
	v_add_f64 v[3:4], v[3:4], v[5:6]
; %bb.39:
	s_or_b32 exec_lo, exec_lo, s3
	s_delay_alu instid0(VALU_DEP_1) | instskip(NEXT) | instid1(VALU_DEP_2)
	v_mov_b32_dpp v5, v3 row_shr:4 row_mask:0xf bank_mask:0xf
	v_mov_b32_dpp v6, v4 row_shr:4 row_mask:0xf bank_mask:0xf
	s_mov_b32 s3, exec_lo
	v_cmpx_lt_u32_e32 3, v7
; %bb.40:
	s_delay_alu instid0(VALU_DEP_2)
	v_add_f64 v[3:4], v[3:4], v[5:6]
; %bb.41:
	s_or_b32 exec_lo, exec_lo, s3
	ds_store_b64 v84, v[3:4]
.LBB143_42:
	s_or_b32 exec_lo, exec_lo, s2
	v_cmp_gt_u32_e32 vcc_lo, 32, v0
	s_mov_b32 s3, exec_lo
	s_waitcnt lgkmcnt(0)
	s_barrier
	buffer_gl0_inv
                                        ; implicit-def: $vgpr7_vgpr8
	v_cmpx_lt_u32_e32 31, v0
	s_cbranch_execz .LBB143_44
; %bb.43:
	v_lshl_add_u32 v3, v9, 3, -8
	ds_load_b64 v[7:8], v3
	s_waitcnt lgkmcnt(0)
	v_add_f64 v[1:2], v[1:2], v[7:8]
.LBB143_44:
	s_or_b32 exec_lo, exec_lo, s3
	v_add_nc_u32_e32 v3, -1, v86
	s_delay_alu instid0(VALU_DEP_1) | instskip(NEXT) | instid1(VALU_DEP_1)
	v_cmp_gt_i32_e64 s2, 0, v3
	v_cndmask_b32_e64 v3, v3, v86, s2
	v_cmp_eq_u32_e64 s2, 0, v86
	s_delay_alu instid0(VALU_DEP_2)
	v_lshlrev_b32_e32 v3, 2, v3
	ds_bpermute_b32 v15, v3, v1
	ds_bpermute_b32 v16, v3, v2
	s_and_saveexec_b32 s3, vcc_lo
	s_cbranch_execz .LBB143_82
; %bb.45:
	v_mov_b32_e32 v4, 0
	ds_load_b64 v[1:2], v4 offset:56
	s_and_saveexec_b32 s8, s2
	s_cbranch_execz .LBB143_47
; %bb.46:
	s_add_i32 s10, s15, 32
	s_mov_b32 s11, 0
	s_delay_alu instid0(SALU_CYCLE_1) | instskip(NEXT) | instid1(SALU_CYCLE_1)
	s_lshl_b64 s[10:11], s[10:11], 4
	s_add_u32 s10, s6, s10
	s_addc_u32 s11, s7, s11
	v_mov_b32_e32 v5, s10
	v_dual_mov_b32 v3, 1 :: v_dual_mov_b32 v6, s11
	s_waitcnt lgkmcnt(0)
	;;#ASMSTART
	global_store_dwordx4 v[5:6], v[1:4] off	
s_waitcnt vmcnt(0)
	;;#ASMEND
.LBB143_47:
	s_or_b32 exec_lo, exec_lo, s8
	v_xad_u32 v9, v86, -1, s15
	s_mov_b32 s9, 0
	s_mov_b32 s8, exec_lo
	s_delay_alu instid0(VALU_DEP_1) | instskip(NEXT) | instid1(VALU_DEP_1)
	v_add_nc_u32_e32 v3, 32, v9
	v_lshlrev_b64 v[3:4], 4, v[3:4]
	s_delay_alu instid0(VALU_DEP_1) | instskip(NEXT) | instid1(VALU_DEP_2)
	v_add_co_u32 v10, vcc_lo, s6, v3
	v_add_co_ci_u32_e32 v11, vcc_lo, s7, v4, vcc_lo
	;;#ASMSTART
	global_load_dwordx4 v[3:6], v[10:11] off glc	
s_waitcnt vmcnt(0)
	;;#ASMEND
	v_and_b32_e32 v6, 0xff, v5
	s_delay_alu instid0(VALU_DEP_1)
	v_cmpx_eq_u16_e32 0, v6
	s_cbranch_execz .LBB143_50
.LBB143_48:                             ; =>This Inner Loop Header: Depth=1
	;;#ASMSTART
	global_load_dwordx4 v[3:6], v[10:11] off glc	
s_waitcnt vmcnt(0)
	;;#ASMEND
	v_and_b32_e32 v6, 0xff, v5
	s_delay_alu instid0(VALU_DEP_1) | instskip(SKIP_1) | instid1(SALU_CYCLE_1)
	v_cmp_ne_u16_e32 vcc_lo, 0, v6
	s_or_b32 s9, vcc_lo, s9
	s_and_not1_b32 exec_lo, exec_lo, s9
	s_cbranch_execnz .LBB143_48
; %bb.49:
	s_or_b32 exec_lo, exec_lo, s9
.LBB143_50:
	s_delay_alu instid0(SALU_CYCLE_1)
	s_or_b32 exec_lo, exec_lo, s8
	v_cmp_ne_u32_e32 vcc_lo, 31, v86
	v_and_b32_e32 v10, 0xff, v5
	v_lshlrev_b32_e64 v18, v86, -1
	v_add_nc_u32_e32 v19, 1, v86
	s_mov_b32 s8, exec_lo
	v_add_co_ci_u32_e32 v6, vcc_lo, 0, v86, vcc_lo
	v_cmp_eq_u16_e32 vcc_lo, 2, v10
	s_delay_alu instid0(VALU_DEP_2) | instskip(SKIP_4) | instid1(VALU_DEP_1)
	v_lshlrev_b32_e32 v17, 2, v6
	v_and_or_b32 v6, vcc_lo, v18, 0x80000000
	ds_bpermute_b32 v10, v17, v3
	ds_bpermute_b32 v11, v17, v4
	v_ctz_i32_b32_e32 v6, v6
	v_cmpx_le_u32_e64 v19, v6
	s_cbranch_execz .LBB143_52
; %bb.51:
	s_waitcnt lgkmcnt(0)
	v_add_f64 v[3:4], v[3:4], v[10:11]
.LBB143_52:
	s_or_b32 exec_lo, exec_lo, s8
	v_cmp_gt_u32_e32 vcc_lo, 30, v86
	v_add_nc_u32_e32 v21, 2, v86
	s_mov_b32 s8, exec_lo
	s_waitcnt lgkmcnt(1)
	v_cndmask_b32_e64 v10, 0, 1, vcc_lo
	s_delay_alu instid0(VALU_DEP_1) | instskip(NEXT) | instid1(VALU_DEP_1)
	v_lshlrev_b32_e32 v10, 1, v10
	v_add_lshl_u32 v20, v10, v86, 2
	ds_bpermute_b32 v10, v20, v3
	s_waitcnt lgkmcnt(1)
	ds_bpermute_b32 v11, v20, v4
	v_cmpx_le_u32_e64 v21, v6
	s_cbranch_execz .LBB143_54
; %bb.53:
	s_waitcnt lgkmcnt(0)
	v_add_f64 v[3:4], v[3:4], v[10:11]
.LBB143_54:
	s_or_b32 exec_lo, exec_lo, s8
	v_cmp_gt_u32_e32 vcc_lo, 28, v86
	v_add_nc_u32_e32 v23, 4, v86
	s_mov_b32 s8, exec_lo
	s_waitcnt lgkmcnt(1)
	v_cndmask_b32_e64 v10, 0, 1, vcc_lo
	s_delay_alu instid0(VALU_DEP_1) | instskip(NEXT) | instid1(VALU_DEP_1)
	v_lshlrev_b32_e32 v10, 2, v10
	v_add_lshl_u32 v22, v10, v86, 2
	ds_bpermute_b32 v10, v22, v3
	s_waitcnt lgkmcnt(1)
	ds_bpermute_b32 v11, v22, v4
	;; [unrolled: 18-line block ×4, first 2 shown]
	v_cmpx_le_u32_e64 v27, v6
	s_cbranch_execz .LBB143_60
; %bb.59:
	s_waitcnt lgkmcnt(0)
	v_add_f64 v[3:4], v[3:4], v[10:11]
.LBB143_60:
	s_or_b32 exec_lo, exec_lo, s8
	s_waitcnt lgkmcnt(1)
	v_mov_b32_e32 v10, 0
	s_branch .LBB143_62
.LBB143_61:                             ;   in Loop: Header=BB143_62 Depth=1
	s_or_b32 exec_lo, exec_lo, s8
	s_delay_alu instid0(VALU_DEP_1)
	v_add_f64 v[3:4], v[11:12], v[3:4]
	v_subrev_nc_u32_e32 v9, 32, v9
.LBB143_62:                             ; =>This Loop Header: Depth=1
                                        ;     Child Loop BB143_65 Depth 2
	s_waitcnt lgkmcnt(0)
	s_delay_alu instid0(VALU_DEP_2) | instskip(NEXT) | instid1(VALU_DEP_3)
	v_dual_mov_b32 v12, v4 :: v_dual_and_b32 v5, 0xff, v5
	v_mov_b32_e32 v11, v3
	s_delay_alu instid0(VALU_DEP_2) | instskip(SKIP_2) | instid1(VALU_DEP_1)
	v_cmp_ne_u16_e32 vcc_lo, 2, v5
	v_cndmask_b32_e64 v5, 0, 1, vcc_lo
	;;#ASMSTART
	;;#ASMEND
	v_cmp_ne_u32_e32 vcc_lo, 0, v5
	s_cmp_lg_u32 vcc_lo, exec_lo
	s_cbranch_scc1 .LBB143_77
; %bb.63:                               ;   in Loop: Header=BB143_62 Depth=1
	v_lshlrev_b64 v[3:4], 4, v[9:10]
	s_mov_b32 s8, exec_lo
	s_delay_alu instid0(VALU_DEP_1) | instskip(NEXT) | instid1(VALU_DEP_2)
	v_add_co_u32 v13, vcc_lo, s6, v3
	v_add_co_ci_u32_e32 v14, vcc_lo, s7, v4, vcc_lo
	;;#ASMSTART
	global_load_dwordx4 v[3:6], v[13:14] off glc	
s_waitcnt vmcnt(0)
	;;#ASMEND
	v_and_b32_e32 v6, 0xff, v5
	s_delay_alu instid0(VALU_DEP_1)
	v_cmpx_eq_u16_e32 0, v6
	s_cbranch_execz .LBB143_67
; %bb.64:                               ;   in Loop: Header=BB143_62 Depth=1
	s_mov_b32 s9, 0
.LBB143_65:                             ;   Parent Loop BB143_62 Depth=1
                                        ; =>  This Inner Loop Header: Depth=2
	;;#ASMSTART
	global_load_dwordx4 v[3:6], v[13:14] off glc	
s_waitcnt vmcnt(0)
	;;#ASMEND
	v_and_b32_e32 v6, 0xff, v5
	s_delay_alu instid0(VALU_DEP_1) | instskip(SKIP_1) | instid1(SALU_CYCLE_1)
	v_cmp_ne_u16_e32 vcc_lo, 0, v6
	s_or_b32 s9, vcc_lo, s9
	s_and_not1_b32 exec_lo, exec_lo, s9
	s_cbranch_execnz .LBB143_65
; %bb.66:                               ;   in Loop: Header=BB143_62 Depth=1
	s_or_b32 exec_lo, exec_lo, s9
.LBB143_67:                             ;   in Loop: Header=BB143_62 Depth=1
	s_delay_alu instid0(SALU_CYCLE_1)
	s_or_b32 exec_lo, exec_lo, s8
	v_and_b32_e32 v6, 0xff, v5
	ds_bpermute_b32 v13, v17, v3
	ds_bpermute_b32 v14, v17, v4
	s_mov_b32 s8, exec_lo
	v_cmp_eq_u16_e32 vcc_lo, 2, v6
	v_and_or_b32 v6, vcc_lo, v18, 0x80000000
	s_delay_alu instid0(VALU_DEP_1) | instskip(NEXT) | instid1(VALU_DEP_1)
	v_ctz_i32_b32_e32 v6, v6
	v_cmpx_le_u32_e64 v19, v6
	s_cbranch_execz .LBB143_69
; %bb.68:                               ;   in Loop: Header=BB143_62 Depth=1
	s_waitcnt lgkmcnt(0)
	v_add_f64 v[3:4], v[3:4], v[13:14]
.LBB143_69:                             ;   in Loop: Header=BB143_62 Depth=1
	s_or_b32 exec_lo, exec_lo, s8
	s_waitcnt lgkmcnt(1)
	ds_bpermute_b32 v13, v20, v3
	s_waitcnt lgkmcnt(1)
	ds_bpermute_b32 v14, v20, v4
	s_mov_b32 s8, exec_lo
	v_cmpx_le_u32_e64 v21, v6
	s_cbranch_execz .LBB143_71
; %bb.70:                               ;   in Loop: Header=BB143_62 Depth=1
	s_waitcnt lgkmcnt(0)
	v_add_f64 v[3:4], v[3:4], v[13:14]
.LBB143_71:                             ;   in Loop: Header=BB143_62 Depth=1
	s_or_b32 exec_lo, exec_lo, s8
	s_waitcnt lgkmcnt(1)
	ds_bpermute_b32 v13, v22, v3
	s_waitcnt lgkmcnt(1)
	ds_bpermute_b32 v14, v22, v4
	s_mov_b32 s8, exec_lo
	;; [unrolled: 12-line block ×4, first 2 shown]
	v_cmpx_le_u32_e64 v27, v6
	s_cbranch_execz .LBB143_61
; %bb.76:                               ;   in Loop: Header=BB143_62 Depth=1
	s_waitcnt lgkmcnt(0)
	v_add_f64 v[3:4], v[3:4], v[13:14]
	s_branch .LBB143_61
.LBB143_77:                             ;   in Loop: Header=BB143_62 Depth=1
                                        ; implicit-def: $vgpr3_vgpr4
	s_cbranch_execz .LBB143_62
; %bb.78:
	s_and_saveexec_b32 s8, s2
	s_cbranch_execz .LBB143_80
; %bb.79:
	s_add_i32 s10, s15, 32
	s_mov_b32 s11, 0
	v_add_f64 v[1:2], v[1:2], v[11:12]
	s_lshl_b64 s[10:11], s[10:11], 4
	v_dual_mov_b32 v3, 2 :: v_dual_mov_b32 v4, 0
	s_add_u32 s10, s6, s10
	s_addc_u32 s11, s7, s11
	s_delay_alu instid0(SALU_CYCLE_1)
	v_dual_mov_b32 v5, s10 :: v_dual_mov_b32 v6, s11
	;;#ASMSTART
	global_store_dwordx4 v[5:6], v[1:4] off	
s_waitcnt vmcnt(0)
	;;#ASMEND
.LBB143_80:
	s_or_b32 exec_lo, exec_lo, s8
	v_cmp_eq_u32_e32 vcc_lo, 0, v0
	s_and_b32 exec_lo, exec_lo, vcc_lo
	s_cbranch_execz .LBB143_82
; %bb.81:
	v_mov_b32_e32 v1, 0
	ds_store_b64 v1, v[11:12] offset:56
.LBB143_82:
	s_or_b32 exec_lo, exec_lo, s3
	v_cmp_eq_u32_e32 vcc_lo, 0, v0
	v_mov_b32_e32 v1, 0
	s_waitcnt lgkmcnt(0)
	s_barrier
	buffer_gl0_inv
	v_cndmask_b32_e64 v4, v16, v8, s2
	ds_load_b64 v[1:2], v1 offset:56
	v_cndmask_b32_e64 v3, v15, v7, s2
	s_waitcnt lgkmcnt(0)
	s_delay_alu instid0(VALU_DEP_1) | instskip(NEXT) | instid1(VALU_DEP_1)
	v_add_f64 v[3:4], v[3:4], v[1:2]
	v_dual_cndmask_b32 v2, v4, v2 :: v_dual_cndmask_b32 v1, v3, v1
	s_delay_alu instid0(VALU_DEP_1) | instskip(NEXT) | instid1(VALU_DEP_1)
	v_add_f64 v[3:4], v[33:34], v[1:2]
	v_add_f64 v[5:6], v[35:36], v[3:4]
	s_delay_alu instid0(VALU_DEP_1) | instskip(NEXT) | instid1(VALU_DEP_1)
	v_add_f64 v[7:8], v[37:38], v[5:6]
	v_add_f64 v[9:10], v[39:40], v[7:8]
	;; [unrolled: 3-line block ×7, first 2 shown]
	s_delay_alu instid0(VALU_DEP_1)
	v_add_f64 v[31:32], v[41:42], v[29:30]
	s_load_b128 s[8:11], s[0:1], 0x40
	s_branch .LBB143_111
.LBB143_83:
                                        ; implicit-def: $vgpr1_vgpr2_vgpr3_vgpr4_vgpr5_vgpr6_vgpr7_vgpr8_vgpr9_vgpr10_vgpr11_vgpr12_vgpr13_vgpr14_vgpr15_vgpr16_vgpr17_vgpr18_vgpr19_vgpr20_vgpr21_vgpr22_vgpr23_vgpr24_vgpr25_vgpr26_vgpr27_vgpr28_vgpr29_vgpr30_vgpr31_vgpr32
	s_load_b128 s[8:11], s[0:1], 0x40
	s_cbranch_execz .LBB143_111
; %bb.84:
	s_load_b32 s2, s[0:1], 0x50
	v_dual_mov_b32 v68, s19 :: v_dual_mov_b32 v67, s18
	s_waitcnt lgkmcnt(0)
	s_bitcmp0_b32 s2, 0
	s_cbranch_scc1 .LBB143_86
; %bb.85:
	v_mov_b32_e32 v1, 0
	s_load_b64 s[2:3], s[8:9], 0x0
	global_load_b32 v1, v1, s[16:17] offset:-4
	s_waitcnt vmcnt(0)
	v_cvt_f64_i32_e32 v[1:2], v1
	s_waitcnt lgkmcnt(0)
	s_delay_alu instid0(VALU_DEP_1)
	v_add_f64 v[67:68], s[2:3], v[1:2]
.LBB143_86:
	s_delay_alu instid0(VALU_DEP_2) | instskip(SKIP_2) | instid1(VALU_DEP_2)
	v_add_f64 v[1:2], v[39:40], v[65:66]
	v_and_b32_e32 v5, 15, v86
	s_mov_b32 s2, exec_lo
	v_add_f64 v[1:2], v[61:62], v[1:2]
	s_delay_alu instid0(VALU_DEP_1) | instskip(NEXT) | instid1(VALU_DEP_1)
	v_add_f64 v[1:2], v[63:64], v[1:2]
	v_add_f64 v[1:2], v[57:58], v[1:2]
	s_delay_alu instid0(VALU_DEP_1) | instskip(NEXT) | instid1(VALU_DEP_1)
	v_add_f64 v[1:2], v[59:60], v[1:2]
	;; [unrolled: 3-line block ×6, first 2 shown]
	v_mov_b32_dpp v3, v1 row_shr:1 row_mask:0xf bank_mask:0xf
	s_delay_alu instid0(VALU_DEP_2)
	v_mov_b32_dpp v4, v2 row_shr:1 row_mask:0xf bank_mask:0xf
	v_cmpx_ne_u32_e32 0, v5
; %bb.87:
	s_delay_alu instid0(VALU_DEP_2)
	v_add_f64 v[1:2], v[1:2], v[3:4]
; %bb.88:
	s_or_b32 exec_lo, exec_lo, s2
	s_delay_alu instid0(VALU_DEP_1) | instskip(NEXT) | instid1(VALU_DEP_2)
	v_mov_b32_dpp v3, v1 row_shr:2 row_mask:0xf bank_mask:0xf
	v_mov_b32_dpp v4, v2 row_shr:2 row_mask:0xf bank_mask:0xf
	s_mov_b32 s2, exec_lo
	v_cmpx_lt_u32_e32 1, v5
; %bb.89:
	s_delay_alu instid0(VALU_DEP_2)
	v_add_f64 v[1:2], v[1:2], v[3:4]
; %bb.90:
	s_or_b32 exec_lo, exec_lo, s2
	s_delay_alu instid0(VALU_DEP_1) | instskip(NEXT) | instid1(VALU_DEP_2)
	v_mov_b32_dpp v3, v1 row_shr:4 row_mask:0xf bank_mask:0xf
	v_mov_b32_dpp v4, v2 row_shr:4 row_mask:0xf bank_mask:0xf
	s_mov_b32 s2, exec_lo
	v_cmpx_lt_u32_e32 3, v5
	;; [unrolled: 10-line block ×3, first 2 shown]
; %bb.93:
	s_delay_alu instid0(VALU_DEP_2)
	v_add_f64 v[1:2], v[1:2], v[3:4]
; %bb.94:
	s_or_b32 exec_lo, exec_lo, s2
	ds_swizzle_b32 v3, v1 offset:swizzle(BROADCAST,32,15)
	ds_swizzle_b32 v4, v2 offset:swizzle(BROADCAST,32,15)
	v_and_b32_e32 v5, 16, v86
	s_mov_b32 s2, exec_lo
	s_delay_alu instid0(VALU_DEP_1)
	v_cmpx_ne_u32_e32 0, v5
	s_cbranch_execz .LBB143_96
; %bb.95:
	s_waitcnt lgkmcnt(0)
	v_add_f64 v[1:2], v[1:2], v[3:4]
.LBB143_96:
	s_or_b32 exec_lo, exec_lo, s2
	s_waitcnt lgkmcnt(1)
	v_or_b32_e32 v3, 31, v0
	v_lshrrev_b32_e32 v7, 5, v0
	s_mov_b32 s2, exec_lo
	s_delay_alu instid0(VALU_DEP_2)
	v_cmpx_eq_u32_e64 v3, v0
	s_cbranch_execz .LBB143_98
; %bb.97:
	s_delay_alu instid0(VALU_DEP_2)
	v_lshlrev_b32_e32 v3, 3, v7
	ds_store_b64 v3, v[1:2]
.LBB143_98:
	s_or_b32 exec_lo, exec_lo, s2
	s_delay_alu instid0(SALU_CYCLE_1)
	s_mov_b32 s2, exec_lo
	s_waitcnt lgkmcnt(0)
	s_barrier
	buffer_gl0_inv
	v_cmpx_gt_u32_e32 8, v0
	s_cbranch_execz .LBB143_106
; %bb.99:
	ds_load_b64 v[3:4], v84
	v_and_b32_e32 v8, 7, v86
	s_mov_b32 s3, exec_lo
	s_waitcnt lgkmcnt(0)
	v_mov_b32_dpp v5, v3 row_shr:1 row_mask:0xf bank_mask:0xf
	v_mov_b32_dpp v6, v4 row_shr:1 row_mask:0xf bank_mask:0xf
	v_cmpx_ne_u32_e32 0, v8
; %bb.100:
	s_delay_alu instid0(VALU_DEP_2)
	v_add_f64 v[3:4], v[3:4], v[5:6]
; %bb.101:
	s_or_b32 exec_lo, exec_lo, s3
	s_delay_alu instid0(VALU_DEP_1) | instskip(NEXT) | instid1(VALU_DEP_2)
	v_mov_b32_dpp v5, v3 row_shr:2 row_mask:0xf bank_mask:0xf
	v_mov_b32_dpp v6, v4 row_shr:2 row_mask:0xf bank_mask:0xf
	s_mov_b32 s3, exec_lo
	v_cmpx_lt_u32_e32 1, v8
; %bb.102:
	s_delay_alu instid0(VALU_DEP_2)
	v_add_f64 v[3:4], v[3:4], v[5:6]
; %bb.103:
	s_or_b32 exec_lo, exec_lo, s3
	s_delay_alu instid0(VALU_DEP_1) | instskip(NEXT) | instid1(VALU_DEP_2)
	v_mov_b32_dpp v5, v3 row_shr:4 row_mask:0xf bank_mask:0xf
	v_mov_b32_dpp v6, v4 row_shr:4 row_mask:0xf bank_mask:0xf
	s_mov_b32 s3, exec_lo
	v_cmpx_lt_u32_e32 3, v8
; %bb.104:
	s_delay_alu instid0(VALU_DEP_2)
	v_add_f64 v[3:4], v[3:4], v[5:6]
; %bb.105:
	s_or_b32 exec_lo, exec_lo, s3
	ds_store_b64 v84, v[3:4]
.LBB143_106:
	s_or_b32 exec_lo, exec_lo, s2
	v_dual_mov_b32 v3, v67 :: v_dual_mov_b32 v4, v68
	s_mov_b32 s2, exec_lo
	s_waitcnt lgkmcnt(0)
	s_barrier
	buffer_gl0_inv
	v_cmpx_lt_u32_e32 31, v0
	s_cbranch_execz .LBB143_108
; %bb.107:
	v_lshl_add_u32 v3, v7, 3, -8
	ds_load_b64 v[3:4], v3
	s_waitcnt lgkmcnt(0)
	v_add_f64 v[3:4], v[67:68], v[3:4]
.LBB143_108:
	s_or_b32 exec_lo, exec_lo, s2
	s_delay_alu instid0(VALU_DEP_1) | instskip(SKIP_1) | instid1(VALU_DEP_1)
	v_add_f64 v[1:2], v[1:2], v[3:4]
	v_add_nc_u32_e32 v5, -1, v86
	v_cmp_gt_i32_e32 vcc_lo, 0, v5
	v_cndmask_b32_e32 v5, v5, v86, vcc_lo
	v_cmp_eq_u32_e32 vcc_lo, 0, v86
	s_delay_alu instid0(VALU_DEP_2)
	v_lshlrev_b32_e32 v5, 2, v5
	ds_bpermute_b32 v1, v5, v1
	ds_bpermute_b32 v2, v5, v2
	s_waitcnt lgkmcnt(0)
	v_dual_cndmask_b32 v1, v1, v3 :: v_dual_cndmask_b32 v2, v2, v4
	v_cmp_eq_u32_e32 vcc_lo, 0, v0
	s_delay_alu instid0(VALU_DEP_2) | instskip(NEXT) | instid1(VALU_DEP_1)
	v_dual_cndmask_b32 v2, v2, v68 :: v_dual_cndmask_b32 v1, v1, v67
	v_add_f64 v[3:4], v[33:34], v[1:2]
	s_delay_alu instid0(VALU_DEP_1) | instskip(NEXT) | instid1(VALU_DEP_1)
	v_add_f64 v[5:6], v[35:36], v[3:4]
	v_add_f64 v[7:8], v[37:38], v[5:6]
	s_delay_alu instid0(VALU_DEP_1) | instskip(NEXT) | instid1(VALU_DEP_1)
	v_add_f64 v[9:10], v[39:40], v[7:8]
	;; [unrolled: 3-line block ×7, first 2 shown]
	v_add_f64 v[31:32], v[41:42], v[29:30]
	s_and_saveexec_b32 s2, vcc_lo
	s_cbranch_execz .LBB143_110
; %bb.109:
	v_dual_mov_b32 v36, 0 :: v_dual_mov_b32 v35, 2
	s_add_u32 s6, s6, 0x200
	s_addc_u32 s7, s7, 0
	s_delay_alu instid0(SALU_CYCLE_1)
	v_dual_mov_b32 v38, s7 :: v_dual_mov_b32 v37, s6
	ds_load_b64 v[33:34], v36 offset:56
	s_waitcnt lgkmcnt(0)
	v_add_f64 v[33:34], v[67:68], v[33:34]
	;;#ASMSTART
	global_store_dwordx4 v[37:38], v[33:36] off	
s_waitcnt vmcnt(0)
	;;#ASMEND
.LBB143_110:
	s_or_b32 exec_lo, exec_lo, s2
.LBB143_111:
	s_lshl_b64 s[2:3], s[12:13], 3
	v_lshlrev_b32_e32 v34, 7, v0
	v_lshrrev_b32_e32 v33, 5, v0
	s_add_u32 s2, s4, s2
	s_addc_u32 s3, s5, s3
	s_and_b32 vcc_lo, exec_lo, s21
	s_mov_b32 s4, -1
	s_waitcnt lgkmcnt(0)
	s_barrier
	buffer_gl0_inv
	s_cbranch_vccz .LBB143_113
; %bb.112:
	v_lshl_add_u32 v35, v85, 3, v34
	v_lshrrev_b32_e32 v36, 5, v82
	v_lshrrev_b32_e32 v37, 5, v81
	v_add_lshl_u32 v38, v33, v0, 3
	v_lshrrev_b32_e32 v43, 5, v80
	ds_store_2addr_b64 v35, v[1:2], v[3:4] offset1:1
	ds_store_2addr_b64 v35, v[5:6], v[7:8] offset0:2 offset1:3
	ds_store_2addr_b64 v35, v[9:10], v[11:12] offset0:4 offset1:5
	;; [unrolled: 1-line block ×7, first 2 shown]
	v_lshrrev_b32_e32 v35, 5, v83
	v_add_lshl_u32 v40, v36, v0, 3
	v_add_lshl_u32 v41, v37, v0, 3
	s_waitcnt lgkmcnt(0)
	s_barrier
	v_add_lshl_u32 v39, v35, v0, 3
	buffer_gl0_inv
	v_lshrrev_b32_e32 v52, 5, v75
	ds_load_b64 v[35:36], v38
	ds_load_b64 v[37:38], v39 offset:2048
	ds_load_b64 v[39:40], v40 offset:4096
	;; [unrolled: 1-line block ×3, first 2 shown]
	v_lshrrev_b32_e32 v44, 5, v79
	v_lshrrev_b32_e32 v53, 5, v74
	;; [unrolled: 1-line block ×5, first 2 shown]
	v_add_lshl_u32 v43, v43, v0, 3
	v_add_lshl_u32 v54, v52, v0, 3
	v_lshrrev_b32_e32 v52, 5, v73
	v_add_lshl_u32 v47, v44, v0, 3
	v_add_lshl_u32 v55, v53, v0, 3
	v_lshrrev_b32_e32 v53, 5, v72
	v_lshrrev_b32_e32 v56, 5, v71
	;; [unrolled: 1-line block ×4, first 2 shown]
	v_add_lshl_u32 v48, v45, v0, 3
	v_add_lshl_u32 v51, v51, v0, 3
	v_add_co_u32 v94, s5, s2, v84
	v_add_lshl_u32 v49, v46, v0, 3
	v_add_co_ci_u32_e64 v95, null, s3, 0, s5
	ds_load_b64 v[43:44], v43 offset:8192
	ds_load_b64 v[45:46], v47 offset:10240
	;; [unrolled: 1-line block ×4, first 2 shown]
	v_add_lshl_u32 v59, v52, v0, 3
	v_add_lshl_u32 v60, v53, v0, 3
	;; [unrolled: 1-line block ×5, first 2 shown]
	ds_load_b64 v[51:52], v51 offset:16384
	ds_load_b64 v[53:54], v54 offset:18432
	;; [unrolled: 1-line block ×8, first 2 shown]
	s_waitcnt lgkmcnt(14)
	global_store_b64 v84, v[37:38], s[2:3] offset:2048
	v_add_co_u32 v37, vcc_lo, 0x1000, v94
	v_add_co_ci_u32_e32 v38, vcc_lo, 0, v95, vcc_lo
	v_add_co_u32 v67, vcc_lo, v94, 0x2000
	v_add_co_ci_u32_e32 v68, vcc_lo, 0, v95, vcc_lo
	;; [unrolled: 2-line block ×6, first 2 shown]
	s_waitcnt lgkmcnt(13)
	global_store_b64 v[67:68], v[39:40], off offset:-4096
	s_waitcnt lgkmcnt(11)
	global_store_b64 v[67:68], v[43:44], off
	s_waitcnt lgkmcnt(9)
	global_store_b64 v[90:91], v[47:48], off offset:-4096
	s_waitcnt lgkmcnt(7)
	s_clause 0x3
	global_store_b64 v[90:91], v[51:52], off
	global_store_b64 v[37:38], v[41:42], off offset:2048
	global_store_b64 v[86:87], v[45:46], off offset:2048
	;; [unrolled: 1-line block ×3, first 2 shown]
	s_waitcnt lgkmcnt(6)
	global_store_b64 v[92:93], v[53:54], off offset:2048
	v_add_co_u32 v37, vcc_lo, v94, 0x6000
	v_add_co_ci_u32_e32 v38, vcc_lo, 0, v95, vcc_lo
	v_add_co_u32 v39, vcc_lo, 0x5000, v94
	v_add_co_ci_u32_e32 v40, vcc_lo, 0, v95, vcc_lo
	;; [unrolled: 2-line block ×4, first 2 shown]
	s_mov_b32 s4, 0
	s_waitcnt lgkmcnt(5)
	s_clause 0x1
	global_store_b64 v[37:38], v[55:56], off offset:-4096
	global_store_b64 v84, v[35:36], s[2:3]
	s_waitcnt lgkmcnt(3)
	s_clause 0x1
	global_store_b64 v[37:38], v[59:60], off
	global_store_b64 v[39:40], v[57:58], off offset:2048
	s_waitcnt lgkmcnt(2)
	global_store_b64 v[41:42], v[61:62], off offset:2048
	s_waitcnt lgkmcnt(1)
	global_store_b64 v[43:44], v[63:64], off
	s_waitcnt lgkmcnt(0)
	global_store_b64 v[43:44], v[65:66], off offset:2048
.LBB143_113:
	s_and_not1_b32 vcc_lo, exec_lo, s4
	s_cbranch_vccnz .LBB143_186
; %bb.114:
	v_lshl_add_u32 v34, v85, 3, v34
	ds_store_2addr_b64 v34, v[1:2], v[3:4] offset1:1
	ds_store_2addr_b64 v34, v[5:6], v[7:8] offset0:2 offset1:3
	ds_store_2addr_b64 v34, v[9:10], v[11:12] offset0:4 offset1:5
	;; [unrolled: 1-line block ×7, first 2 shown]
	v_lshrrev_b32_e32 v1, 5, v83
	v_lshrrev_b32_e32 v2, 5, v82
	;; [unrolled: 1-line block ×3, first 2 shown]
	v_add_lshl_u32 v4, v33, v0, 3
	v_lshrrev_b32_e32 v10, 5, v80
	v_add_lshl_u32 v1, v1, v0, 3
	v_lshrrev_b32_e32 v11, 5, v79
	;; [unrolled: 2-line block ×4, first 2 shown]
	s_waitcnt lgkmcnt(0)
	s_waitcnt_vscnt null, 0x0
	s_barrier
	buffer_gl0_inv
	ds_load_b64 v[4:5], v4
	ds_load_b64 v[2:3], v1 offset:2048
	ds_load_b64 v[6:7], v6 offset:4096
	;; [unrolled: 1-line block ×3, first 2 shown]
	v_add_lshl_u32 v1, v10, v0, 3
	v_lshrrev_b32_e32 v18, 5, v76
	v_add_lshl_u32 v14, v11, v0, 3
	v_lshrrev_b32_e32 v19, 5, v75
	v_lshrrev_b32_e32 v20, 5, v74
	v_add_lshl_u32 v15, v12, v0, 3
	v_add_lshl_u32 v16, v13, v0, 3
	ds_load_b64 v[10:11], v1 offset:8192
	ds_load_b64 v[12:13], v14 offset:10240
	;; [unrolled: 1-line block ×4, first 2 shown]
	v_add_lshl_u32 v1, v18, v0, 3
	v_lshrrev_b32_e32 v18, 5, v73
	v_add_lshl_u32 v21, v19, v0, 3
	v_add_lshl_u32 v22, v20, v0, 3
	v_lshrrev_b32_e32 v19, 5, v72
	v_lshrrev_b32_e32 v20, 5, v71
	;; [unrolled: 1-line block ×4, first 2 shown]
	v_add_lshl_u32 v25, v18, v0, 3
	v_add_lshl_u32 v26, v19, v0, 3
	;; [unrolled: 1-line block ×5, first 2 shown]
	ds_load_b64 v[18:19], v1 offset:16384
	ds_load_b64 v[20:21], v21 offset:18432
	;; [unrolled: 1-line block ×8, first 2 shown]
	v_add_co_u32 v34, s2, s2, v84
	v_mov_b32_e32 v1, 0
	v_add_co_ci_u32_e64 v35, null, s3, 0, s2
	s_mov_b32 s2, exec_lo
	v_cmpx_gt_u32_e64 s14, v0
	s_cbranch_execnz .LBB143_202
; %bb.115:
	s_or_b32 exec_lo, exec_lo, s2
	s_delay_alu instid0(SALU_CYCLE_1)
	s_mov_b32 s2, exec_lo
	v_cmpx_gt_u32_e64 s14, v83
	s_cbranch_execnz .LBB143_203
.LBB143_116:
	s_or_b32 exec_lo, exec_lo, s2
	s_delay_alu instid0(SALU_CYCLE_1)
	s_mov_b32 s2, exec_lo
	v_cmpx_gt_u32_e64 s14, v82
	s_cbranch_execnz .LBB143_204
.LBB143_117:
	s_or_b32 exec_lo, exec_lo, s2
	s_delay_alu instid0(SALU_CYCLE_1)
	s_mov_b32 s2, exec_lo
	v_cmpx_gt_u32_e64 s14, v81
	s_cbranch_execnz .LBB143_205
.LBB143_118:
	s_or_b32 exec_lo, exec_lo, s2
	s_delay_alu instid0(SALU_CYCLE_1)
	s_mov_b32 s2, exec_lo
	v_cmpx_gt_u32_e64 s14, v80
	s_cbranch_execnz .LBB143_206
.LBB143_119:
	s_or_b32 exec_lo, exec_lo, s2
	s_delay_alu instid0(SALU_CYCLE_1)
	s_mov_b32 s2, exec_lo
	v_cmpx_gt_u32_e64 s14, v79
	s_cbranch_execnz .LBB143_207
.LBB143_120:
	s_or_b32 exec_lo, exec_lo, s2
	s_delay_alu instid0(SALU_CYCLE_1)
	s_mov_b32 s2, exec_lo
	v_cmpx_gt_u32_e64 s14, v78
	s_cbranch_execnz .LBB143_208
.LBB143_121:
	s_or_b32 exec_lo, exec_lo, s2
	s_delay_alu instid0(SALU_CYCLE_1)
	s_mov_b32 s2, exec_lo
	v_cmpx_gt_u32_e64 s14, v77
	s_cbranch_execnz .LBB143_209
.LBB143_122:
	s_or_b32 exec_lo, exec_lo, s2
	s_delay_alu instid0(SALU_CYCLE_1)
	s_mov_b32 s2, exec_lo
	v_cmpx_gt_u32_e64 s14, v76
	s_cbranch_execnz .LBB143_210
.LBB143_123:
	s_or_b32 exec_lo, exec_lo, s2
	s_delay_alu instid0(SALU_CYCLE_1)
	s_mov_b32 s2, exec_lo
	v_cmpx_gt_u32_e64 s14, v75
	s_cbranch_execnz .LBB143_211
.LBB143_124:
	s_or_b32 exec_lo, exec_lo, s2
	s_delay_alu instid0(SALU_CYCLE_1)
	s_mov_b32 s2, exec_lo
	v_cmpx_gt_u32_e64 s14, v74
	s_cbranch_execnz .LBB143_212
.LBB143_125:
	s_or_b32 exec_lo, exec_lo, s2
	s_delay_alu instid0(SALU_CYCLE_1)
	s_mov_b32 s2, exec_lo
	v_cmpx_gt_u32_e64 s14, v73
	s_cbranch_execnz .LBB143_213
.LBB143_126:
	s_or_b32 exec_lo, exec_lo, s2
	s_delay_alu instid0(SALU_CYCLE_1)
	s_mov_b32 s2, exec_lo
	v_cmpx_gt_u32_e64 s14, v72
	s_cbranch_execnz .LBB143_214
.LBB143_127:
	s_or_b32 exec_lo, exec_lo, s2
	s_delay_alu instid0(SALU_CYCLE_1)
	s_mov_b32 s2, exec_lo
	v_cmpx_gt_u32_e64 s14, v71
	s_cbranch_execnz .LBB143_215
.LBB143_128:
	s_or_b32 exec_lo, exec_lo, s2
	s_delay_alu instid0(SALU_CYCLE_1)
	s_mov_b32 s2, exec_lo
	v_cmpx_gt_u32_e64 s14, v70
	s_cbranch_execnz .LBB143_216
.LBB143_129:
	s_or_b32 exec_lo, exec_lo, s2
	s_delay_alu instid0(SALU_CYCLE_1)
	s_mov_b32 s2, exec_lo
	v_cmpx_gt_u32_e64 s14, v69
	s_cbranch_execz .LBB143_131
.LBB143_130:
	v_add_co_u32 v34, vcc_lo, 0x7000, v34
	v_add_co_ci_u32_e32 v35, vcc_lo, 0, v35, vcc_lo
	s_waitcnt lgkmcnt(0)
	global_store_b64 v[34:35], v[32:33], off offset:2048
.LBB143_131:
	s_or_b32 exec_lo, exec_lo, s2
	s_load_b32 s0, s[0:1], 0x50
	s_waitcnt lgkmcnt(0)
	s_bfe_u32 s0, s0, 0x10008
	s_delay_alu instid0(SALU_CYCLE_1)
	s_cmp_eq_u32 s0, 0
	s_cbranch_scc1 .LBB143_186
; %bb.132:
	s_add_u32 s0, s14, -1
	s_addc_u32 s1, s20, -1
	s_delay_alu instid0(SALU_CYCLE_1)
	s_lshr_b64 s[2:3], s[0:1], 4
	s_mov_b32 s1, exec_lo
	v_cmpx_eq_u64_e64 s[2:3], v[0:1]
	s_cbranch_execz .LBB143_186
; %bb.133:
	s_and_b32 s0, s0, 15
	s_mov_b32 s1, 0
	s_delay_alu instid0(SALU_CYCLE_1) | instskip(NEXT) | instid1(VALU_DEP_1)
	v_cmp_lt_i64_e64 s2, s[0:1], 8
	s_and_b32 vcc_lo, exec_lo, s2
	s_mov_b32 s2, -1
	s_cbranch_vccnz .LBB143_160
; %bb.134:
	v_cmp_lt_i64_e64 s2, s[0:1], 12
	s_delay_alu instid0(VALU_DEP_1)
	s_and_b32 vcc_lo, exec_lo, s2
	s_mov_b32 s2, -1
	s_cbranch_vccnz .LBB143_147
; %bb.135:
	v_cmp_lt_i64_e64 s2, s[0:1], 14
	s_delay_alu instid0(VALU_DEP_1)
	s_and_b32 vcc_lo, exec_lo, s2
	s_mov_b32 s2, -1
	s_cbranch_vccnz .LBB143_141
; %bb.136:
	v_cmp_gt_i64_e64 s2, s[0:1], 14
	s_delay_alu instid0(VALU_DEP_1)
	s_and_b32 vcc_lo, exec_lo, s2
	s_mov_b32 s2, -1
	s_cbranch_vccz .LBB143_138
; %bb.137:
	v_mov_b32_e32 v0, 0
	s_mov_b32 s2, 0
	global_store_b64 v0, v[32:33], s[10:11]
.LBB143_138:
	s_and_not1_b32 vcc_lo, exec_lo, s2
	s_cbranch_vccnz .LBB143_140
; %bb.139:
	v_mov_b32_e32 v0, 0
	global_store_b64 v0, v[30:31], s[10:11]
.LBB143_140:
	s_mov_b32 s2, 0
.LBB143_141:
	s_delay_alu instid0(SALU_CYCLE_1)
	s_and_not1_b32 vcc_lo, exec_lo, s2
	s_cbranch_vccnz .LBB143_146
; %bb.142:
	v_cmp_gt_i64_e64 s2, s[0:1], 12
	s_delay_alu instid0(VALU_DEP_1)
	s_and_b32 vcc_lo, exec_lo, s2
	s_mov_b32 s2, -1
	s_cbranch_vccz .LBB143_144
; %bb.143:
	v_mov_b32_e32 v0, 0
	s_mov_b32 s2, 0
	global_store_b64 v0, v[28:29], s[10:11]
.LBB143_144:
	s_and_not1_b32 vcc_lo, exec_lo, s2
	s_cbranch_vccnz .LBB143_146
; %bb.145:
	v_mov_b32_e32 v0, 0
	global_store_b64 v0, v[26:27], s[10:11]
.LBB143_146:
	s_mov_b32 s2, 0
.LBB143_147:
	s_delay_alu instid0(SALU_CYCLE_1)
	s_and_not1_b32 vcc_lo, exec_lo, s2
	s_cbranch_vccnz .LBB143_159
; %bb.148:
	v_cmp_lt_i64_e64 s2, s[0:1], 10
	s_delay_alu instid0(VALU_DEP_1)
	s_and_b32 vcc_lo, exec_lo, s2
	s_mov_b32 s2, -1
	s_cbranch_vccnz .LBB143_154
; %bb.149:
	v_cmp_gt_i64_e64 s2, s[0:1], 10
	s_delay_alu instid0(VALU_DEP_1)
	s_and_b32 vcc_lo, exec_lo, s2
	s_mov_b32 s2, -1
	s_cbranch_vccz .LBB143_151
; %bb.150:
	v_mov_b32_e32 v0, 0
	s_mov_b32 s2, 0
	global_store_b64 v0, v[24:25], s[10:11]
.LBB143_151:
	s_and_not1_b32 vcc_lo, exec_lo, s2
	s_cbranch_vccnz .LBB143_153
; %bb.152:
	v_mov_b32_e32 v0, 0
	global_store_b64 v0, v[22:23], s[10:11]
.LBB143_153:
	s_mov_b32 s2, 0
.LBB143_154:
	s_delay_alu instid0(SALU_CYCLE_1)
	s_and_not1_b32 vcc_lo, exec_lo, s2
	s_cbranch_vccnz .LBB143_159
; %bb.155:
	v_cmp_gt_i64_e64 s2, s[0:1], 8
	s_delay_alu instid0(VALU_DEP_1)
	s_and_b32 vcc_lo, exec_lo, s2
	s_mov_b32 s2, -1
	s_cbranch_vccz .LBB143_157
; %bb.156:
	v_mov_b32_e32 v0, 0
	s_mov_b32 s2, 0
	global_store_b64 v0, v[20:21], s[10:11]
.LBB143_157:
	s_and_not1_b32 vcc_lo, exec_lo, s2
	s_cbranch_vccnz .LBB143_159
; %bb.158:
	v_mov_b32_e32 v0, 0
	global_store_b64 v0, v[18:19], s[10:11]
.LBB143_159:
	s_mov_b32 s2, 0
.LBB143_160:
	s_delay_alu instid0(SALU_CYCLE_1)
	s_and_not1_b32 vcc_lo, exec_lo, s2
	s_cbranch_vccnz .LBB143_186
; %bb.161:
	v_cmp_lt_i64_e64 s2, s[0:1], 4
	s_delay_alu instid0(VALU_DEP_1)
	s_and_b32 vcc_lo, exec_lo, s2
	s_mov_b32 s2, -1
	s_cbranch_vccnz .LBB143_174
; %bb.162:
	v_cmp_lt_i64_e64 s2, s[0:1], 6
	s_delay_alu instid0(VALU_DEP_1)
	s_and_b32 vcc_lo, exec_lo, s2
	s_mov_b32 s2, -1
	s_cbranch_vccnz .LBB143_168
; %bb.163:
	v_cmp_gt_i64_e64 s2, s[0:1], 6
	s_delay_alu instid0(VALU_DEP_1)
	s_and_b32 vcc_lo, exec_lo, s2
	s_mov_b32 s2, -1
	s_cbranch_vccz .LBB143_165
; %bb.164:
	v_mov_b32_e32 v0, 0
	s_mov_b32 s2, 0
	global_store_b64 v0, v[16:17], s[10:11]
.LBB143_165:
	s_and_not1_b32 vcc_lo, exec_lo, s2
	s_cbranch_vccnz .LBB143_167
; %bb.166:
	v_mov_b32_e32 v0, 0
	global_store_b64 v0, v[14:15], s[10:11]
.LBB143_167:
	s_mov_b32 s2, 0
.LBB143_168:
	s_delay_alu instid0(SALU_CYCLE_1)
	s_and_not1_b32 vcc_lo, exec_lo, s2
	s_cbranch_vccnz .LBB143_173
; %bb.169:
	v_cmp_gt_i64_e64 s2, s[0:1], 4
	s_delay_alu instid0(VALU_DEP_1)
	s_and_b32 vcc_lo, exec_lo, s2
	s_mov_b32 s2, -1
	s_cbranch_vccz .LBB143_171
; %bb.170:
	v_mov_b32_e32 v0, 0
	s_mov_b32 s2, 0
	global_store_b64 v0, v[12:13], s[10:11]
.LBB143_171:
	s_and_not1_b32 vcc_lo, exec_lo, s2
	s_cbranch_vccnz .LBB143_173
; %bb.172:
	v_mov_b32_e32 v0, 0
	global_store_b64 v0, v[10:11], s[10:11]
.LBB143_173:
	s_mov_b32 s2, 0
.LBB143_174:
	s_delay_alu instid0(SALU_CYCLE_1)
	s_and_not1_b32 vcc_lo, exec_lo, s2
	s_cbranch_vccnz .LBB143_186
; %bb.175:
	v_cmp_lt_i64_e64 s2, s[0:1], 2
	s_delay_alu instid0(VALU_DEP_1)
	s_and_b32 vcc_lo, exec_lo, s2
	s_mov_b32 s2, -1
	s_cbranch_vccnz .LBB143_181
; %bb.176:
	v_cmp_gt_i64_e64 s2, s[0:1], 2
	s_delay_alu instid0(VALU_DEP_1)
	s_and_b32 vcc_lo, exec_lo, s2
	s_mov_b32 s2, -1
	s_cbranch_vccz .LBB143_178
; %bb.177:
	v_mov_b32_e32 v0, 0
	s_mov_b32 s2, 0
	global_store_b64 v0, v[8:9], s[10:11]
.LBB143_178:
	s_and_not1_b32 vcc_lo, exec_lo, s2
	s_cbranch_vccnz .LBB143_180
; %bb.179:
	v_mov_b32_e32 v0, 0
	global_store_b64 v0, v[6:7], s[10:11]
.LBB143_180:
	s_mov_b32 s2, 0
.LBB143_181:
	s_delay_alu instid0(SALU_CYCLE_1)
	s_and_not1_b32 vcc_lo, exec_lo, s2
	s_cbranch_vccnz .LBB143_186
; %bb.182:
	s_cmp_eq_u64 s[0:1], 1
	s_mov_b32 s0, -1
	s_cbranch_scc1 .LBB143_184
; %bb.183:
	v_mov_b32_e32 v0, 0
	s_mov_b32 s0, 0
	global_store_b64 v0, v[4:5], s[10:11]
.LBB143_184:
	s_and_not1_b32 vcc_lo, exec_lo, s0
	s_cbranch_vccnz .LBB143_186
; %bb.185:
	v_mov_b32_e32 v0, 0
	global_store_b64 v0, v[2:3], s[10:11]
.LBB143_186:
	s_nop 0
	s_sendmsg sendmsg(MSG_DEALLOC_VGPRS)
	s_endpgm
.LBB143_187:
	global_load_b32 v31, v[33:34], off
	s_waitcnt vmcnt(0)
	v_cvt_f64_i32_e32 v[31:32], v31
	s_or_b32 exec_lo, exec_lo, s3
	s_delay_alu instid0(SALU_CYCLE_1)
	s_mov_b32 s2, exec_lo
	v_cmpx_gt_u32_e64 s14, v83
	s_cbranch_execz .LBB143_5
.LBB143_188:
	global_load_b32 v17, v[33:34], off offset:1024
	s_waitcnt vmcnt(0)
	v_cvt_f64_i32_e32 v[17:18], v17
	s_or_b32 exec_lo, exec_lo, s2
	s_delay_alu instid0(SALU_CYCLE_1)
	s_mov_b32 s2, exec_lo
	v_cmpx_gt_u32_e64 s14, v82
	s_cbranch_execz .LBB143_6
.LBB143_189:
	global_load_b32 v27, v[33:34], off offset:2048
	s_waitcnt vmcnt(0)
	v_cvt_f64_i32_e32 v[27:28], v27
	s_or_b32 exec_lo, exec_lo, s2
	s_delay_alu instid0(SALU_CYCLE_1)
	s_mov_b32 s2, exec_lo
	v_cmpx_gt_u32_e64 s14, v81
	s_cbranch_execz .LBB143_7
.LBB143_190:
	global_load_b32 v29, v[33:34], off offset:3072
	s_waitcnt vmcnt(0)
	v_cvt_f64_i32_e32 v[29:30], v29
	s_or_b32 exec_lo, exec_lo, s2
	s_delay_alu instid0(SALU_CYCLE_1)
	s_mov_b32 s2, exec_lo
	v_cmpx_gt_u32_e64 s14, v80
	s_cbranch_execz .LBB143_8
.LBB143_191:
	v_add_co_u32 v19, vcc_lo, 0x1000, v33
	v_add_co_ci_u32_e32 v20, vcc_lo, 0, v34, vcc_lo
	global_load_b32 v19, v[19:20], off
	s_waitcnt vmcnt(0)
	v_cvt_f64_i32_e32 v[19:20], v19
	s_or_b32 exec_lo, exec_lo, s2
	s_delay_alu instid0(SALU_CYCLE_1)
	s_mov_b32 s2, exec_lo
	v_cmpx_gt_u32_e64 s14, v79
	s_cbranch_execz .LBB143_9
.LBB143_192:
	v_add_co_u32 v21, vcc_lo, 0x1000, v33
	v_add_co_ci_u32_e32 v22, vcc_lo, 0, v34, vcc_lo
	global_load_b32 v21, v[21:22], off offset:1024
	s_waitcnt vmcnt(0)
	v_cvt_f64_i32_e32 v[21:22], v21
	s_or_b32 exec_lo, exec_lo, s2
	s_delay_alu instid0(SALU_CYCLE_1)
	s_mov_b32 s2, exec_lo
	v_cmpx_gt_u32_e64 s14, v78
	s_cbranch_execz .LBB143_10
.LBB143_193:
	v_add_co_u32 v23, vcc_lo, 0x1000, v33
	v_add_co_ci_u32_e32 v24, vcc_lo, 0, v34, vcc_lo
	global_load_b32 v23, v[23:24], off offset:2048
	s_waitcnt vmcnt(0)
	v_cvt_f64_i32_e32 v[23:24], v23
	s_or_b32 exec_lo, exec_lo, s2
	s_delay_alu instid0(SALU_CYCLE_1)
	s_mov_b32 s2, exec_lo
	v_cmpx_gt_u32_e64 s14, v77
	s_cbranch_execz .LBB143_11
.LBB143_194:
	v_add_co_u32 v25, vcc_lo, 0x1000, v33
	v_add_co_ci_u32_e32 v26, vcc_lo, 0, v34, vcc_lo
	global_load_b32 v25, v[25:26], off offset:3072
	s_waitcnt vmcnt(0)
	v_cvt_f64_i32_e32 v[25:26], v25
	s_or_b32 exec_lo, exec_lo, s2
	s_delay_alu instid0(SALU_CYCLE_1)
	s_mov_b32 s2, exec_lo
	v_cmpx_gt_u32_e64 s14, v76
	s_cbranch_execz .LBB143_12
.LBB143_195:
	v_add_co_u32 v1, vcc_lo, 0x2000, v33
	v_add_co_ci_u32_e32 v2, vcc_lo, 0, v34, vcc_lo
	global_load_b32 v1, v[1:2], off
	s_waitcnt vmcnt(0)
	v_cvt_f64_i32_e32 v[1:2], v1
	s_or_b32 exec_lo, exec_lo, s2
	s_delay_alu instid0(SALU_CYCLE_1)
	s_mov_b32 s2, exec_lo
	v_cmpx_gt_u32_e64 s14, v75
	s_cbranch_execz .LBB143_13
.LBB143_196:
	v_add_co_u32 v3, vcc_lo, 0x2000, v33
	v_add_co_ci_u32_e32 v4, vcc_lo, 0, v34, vcc_lo
	global_load_b32 v3, v[3:4], off offset:1024
	s_waitcnt vmcnt(0)
	v_cvt_f64_i32_e32 v[3:4], v3
	s_or_b32 exec_lo, exec_lo, s2
	s_delay_alu instid0(SALU_CYCLE_1)
	s_mov_b32 s2, exec_lo
	v_cmpx_gt_u32_e64 s14, v74
	s_cbranch_execz .LBB143_14
.LBB143_197:
	v_add_co_u32 v5, vcc_lo, 0x2000, v33
	v_add_co_ci_u32_e32 v6, vcc_lo, 0, v34, vcc_lo
	global_load_b32 v5, v[5:6], off offset:2048
	s_waitcnt vmcnt(0)
	v_cvt_f64_i32_e32 v[5:6], v5
	s_or_b32 exec_lo, exec_lo, s2
	s_delay_alu instid0(SALU_CYCLE_1)
	s_mov_b32 s2, exec_lo
	v_cmpx_gt_u32_e64 s14, v73
	s_cbranch_execz .LBB143_15
.LBB143_198:
	v_add_co_u32 v7, vcc_lo, 0x2000, v33
	v_add_co_ci_u32_e32 v8, vcc_lo, 0, v34, vcc_lo
	global_load_b32 v7, v[7:8], off offset:3072
	s_waitcnt vmcnt(0)
	v_cvt_f64_i32_e32 v[7:8], v7
	s_or_b32 exec_lo, exec_lo, s2
	s_delay_alu instid0(SALU_CYCLE_1)
	s_mov_b32 s2, exec_lo
	v_cmpx_gt_u32_e64 s14, v72
	s_cbranch_execz .LBB143_16
.LBB143_199:
	v_add_co_u32 v9, vcc_lo, 0x3000, v33
	v_add_co_ci_u32_e32 v10, vcc_lo, 0, v34, vcc_lo
	global_load_b32 v9, v[9:10], off
	s_waitcnt vmcnt(0)
	v_cvt_f64_i32_e32 v[9:10], v9
	s_or_b32 exec_lo, exec_lo, s2
	s_delay_alu instid0(SALU_CYCLE_1)
	s_mov_b32 s2, exec_lo
	v_cmpx_gt_u32_e64 s14, v71
	s_cbranch_execz .LBB143_17
.LBB143_200:
	v_add_co_u32 v11, vcc_lo, 0x3000, v33
	v_add_co_ci_u32_e32 v12, vcc_lo, 0, v34, vcc_lo
	global_load_b32 v11, v[11:12], off offset:1024
	s_waitcnt vmcnt(0)
	v_cvt_f64_i32_e32 v[11:12], v11
	s_or_b32 exec_lo, exec_lo, s2
	s_delay_alu instid0(SALU_CYCLE_1)
	s_mov_b32 s2, exec_lo
	v_cmpx_gt_u32_e64 s14, v70
	s_cbranch_execz .LBB143_18
.LBB143_201:
	v_add_co_u32 v13, vcc_lo, 0x3000, v33
	v_add_co_ci_u32_e32 v14, vcc_lo, 0, v34, vcc_lo
	global_load_b32 v13, v[13:14], off offset:2048
	s_waitcnt vmcnt(0)
	v_cvt_f64_i32_e32 v[13:14], v13
	s_or_b32 exec_lo, exec_lo, s2
	s_delay_alu instid0(SALU_CYCLE_1)
	s_mov_b32 s2, exec_lo
	v_cmpx_gt_u32_e64 s14, v69
	s_cbranch_execnz .LBB143_19
	s_branch .LBB143_20
.LBB143_202:
	s_waitcnt lgkmcnt(15)
	global_store_b64 v[34:35], v[4:5], off
	s_or_b32 exec_lo, exec_lo, s2
	s_delay_alu instid0(SALU_CYCLE_1)
	s_mov_b32 s2, exec_lo
	v_cmpx_gt_u32_e64 s14, v83
	s_cbranch_execz .LBB143_116
.LBB143_203:
	s_waitcnt lgkmcnt(14)
	global_store_b64 v[34:35], v[2:3], off offset:2048
	s_or_b32 exec_lo, exec_lo, s2
	s_delay_alu instid0(SALU_CYCLE_1)
	s_mov_b32 s2, exec_lo
	v_cmpx_gt_u32_e64 s14, v82
	s_cbranch_execz .LBB143_117
.LBB143_204:
	v_add_co_u32 v36, vcc_lo, 0x1000, v34
	v_add_co_ci_u32_e32 v37, vcc_lo, 0, v35, vcc_lo
	s_waitcnt lgkmcnt(13)
	global_store_b64 v[36:37], v[6:7], off
	s_or_b32 exec_lo, exec_lo, s2
	s_delay_alu instid0(SALU_CYCLE_1)
	s_mov_b32 s2, exec_lo
	v_cmpx_gt_u32_e64 s14, v81
	s_cbranch_execz .LBB143_118
.LBB143_205:
	v_add_co_u32 v36, vcc_lo, 0x1000, v34
	v_add_co_ci_u32_e32 v37, vcc_lo, 0, v35, vcc_lo
	s_waitcnt lgkmcnt(12)
	global_store_b64 v[36:37], v[8:9], off offset:2048
	s_or_b32 exec_lo, exec_lo, s2
	s_delay_alu instid0(SALU_CYCLE_1)
	s_mov_b32 s2, exec_lo
	v_cmpx_gt_u32_e64 s14, v80
	s_cbranch_execz .LBB143_119
.LBB143_206:
	v_add_co_u32 v36, vcc_lo, 0x2000, v34
	v_add_co_ci_u32_e32 v37, vcc_lo, 0, v35, vcc_lo
	s_waitcnt lgkmcnt(11)
	global_store_b64 v[36:37], v[10:11], off
	s_or_b32 exec_lo, exec_lo, s2
	s_delay_alu instid0(SALU_CYCLE_1)
	s_mov_b32 s2, exec_lo
	v_cmpx_gt_u32_e64 s14, v79
	s_cbranch_execz .LBB143_120
.LBB143_207:
	v_add_co_u32 v36, vcc_lo, 0x2000, v34
	v_add_co_ci_u32_e32 v37, vcc_lo, 0, v35, vcc_lo
	s_waitcnt lgkmcnt(10)
	global_store_b64 v[36:37], v[12:13], off offset:2048
	s_or_b32 exec_lo, exec_lo, s2
	s_delay_alu instid0(SALU_CYCLE_1)
	s_mov_b32 s2, exec_lo
	v_cmpx_gt_u32_e64 s14, v78
	s_cbranch_execz .LBB143_121
.LBB143_208:
	v_add_co_u32 v36, vcc_lo, 0x3000, v34
	v_add_co_ci_u32_e32 v37, vcc_lo, 0, v35, vcc_lo
	s_waitcnt lgkmcnt(9)
	global_store_b64 v[36:37], v[14:15], off
	s_or_b32 exec_lo, exec_lo, s2
	s_delay_alu instid0(SALU_CYCLE_1)
	s_mov_b32 s2, exec_lo
	v_cmpx_gt_u32_e64 s14, v77
	s_cbranch_execz .LBB143_122
.LBB143_209:
	v_add_co_u32 v36, vcc_lo, 0x3000, v34
	v_add_co_ci_u32_e32 v37, vcc_lo, 0, v35, vcc_lo
	s_waitcnt lgkmcnt(8)
	global_store_b64 v[36:37], v[16:17], off offset:2048
	s_or_b32 exec_lo, exec_lo, s2
	s_delay_alu instid0(SALU_CYCLE_1)
	s_mov_b32 s2, exec_lo
	v_cmpx_gt_u32_e64 s14, v76
	s_cbranch_execz .LBB143_123
.LBB143_210:
	v_add_co_u32 v36, vcc_lo, 0x4000, v34
	v_add_co_ci_u32_e32 v37, vcc_lo, 0, v35, vcc_lo
	s_waitcnt lgkmcnt(7)
	global_store_b64 v[36:37], v[18:19], off
	s_or_b32 exec_lo, exec_lo, s2
	s_delay_alu instid0(SALU_CYCLE_1)
	s_mov_b32 s2, exec_lo
	v_cmpx_gt_u32_e64 s14, v75
	s_cbranch_execz .LBB143_124
.LBB143_211:
	v_add_co_u32 v36, vcc_lo, 0x4000, v34
	v_add_co_ci_u32_e32 v37, vcc_lo, 0, v35, vcc_lo
	s_waitcnt lgkmcnt(6)
	global_store_b64 v[36:37], v[20:21], off offset:2048
	s_or_b32 exec_lo, exec_lo, s2
	s_delay_alu instid0(SALU_CYCLE_1)
	s_mov_b32 s2, exec_lo
	v_cmpx_gt_u32_e64 s14, v74
	s_cbranch_execz .LBB143_125
.LBB143_212:
	v_add_co_u32 v36, vcc_lo, 0x5000, v34
	v_add_co_ci_u32_e32 v37, vcc_lo, 0, v35, vcc_lo
	s_waitcnt lgkmcnt(5)
	global_store_b64 v[36:37], v[22:23], off
	s_or_b32 exec_lo, exec_lo, s2
	s_delay_alu instid0(SALU_CYCLE_1)
	s_mov_b32 s2, exec_lo
	v_cmpx_gt_u32_e64 s14, v73
	s_cbranch_execz .LBB143_126
.LBB143_213:
	v_add_co_u32 v36, vcc_lo, 0x5000, v34
	v_add_co_ci_u32_e32 v37, vcc_lo, 0, v35, vcc_lo
	s_waitcnt lgkmcnt(4)
	global_store_b64 v[36:37], v[24:25], off offset:2048
	s_or_b32 exec_lo, exec_lo, s2
	s_delay_alu instid0(SALU_CYCLE_1)
	s_mov_b32 s2, exec_lo
	v_cmpx_gt_u32_e64 s14, v72
	s_cbranch_execz .LBB143_127
.LBB143_214:
	v_add_co_u32 v36, vcc_lo, 0x6000, v34
	v_add_co_ci_u32_e32 v37, vcc_lo, 0, v35, vcc_lo
	s_waitcnt lgkmcnt(3)
	global_store_b64 v[36:37], v[26:27], off
	s_or_b32 exec_lo, exec_lo, s2
	s_delay_alu instid0(SALU_CYCLE_1)
	s_mov_b32 s2, exec_lo
	v_cmpx_gt_u32_e64 s14, v71
	s_cbranch_execz .LBB143_128
.LBB143_215:
	v_add_co_u32 v36, vcc_lo, 0x6000, v34
	v_add_co_ci_u32_e32 v37, vcc_lo, 0, v35, vcc_lo
	s_waitcnt lgkmcnt(2)
	global_store_b64 v[36:37], v[28:29], off offset:2048
	s_or_b32 exec_lo, exec_lo, s2
	s_delay_alu instid0(SALU_CYCLE_1)
	s_mov_b32 s2, exec_lo
	v_cmpx_gt_u32_e64 s14, v70
	s_cbranch_execz .LBB143_129
.LBB143_216:
	v_add_co_u32 v36, vcc_lo, 0x7000, v34
	v_add_co_ci_u32_e32 v37, vcc_lo, 0, v35, vcc_lo
	s_waitcnt lgkmcnt(1)
	global_store_b64 v[36:37], v[30:31], off
	s_or_b32 exec_lo, exec_lo, s2
	s_delay_alu instid0(SALU_CYCLE_1)
	s_mov_b32 s2, exec_lo
	v_cmpx_gt_u32_e64 s14, v69
	s_cbranch_execnz .LBB143_130
	s_branch .LBB143_131
	.section	.rodata,"a",@progbits
	.p2align	6, 0x0
	.amdhsa_kernel _ZN7rocprim6detail20lookback_scan_kernelILNS0_25lookback_scan_determinismE0ELb1ENS0_19wrapped_scan_configINS_14default_configEdEEN6hipcub22TransformInputIteratorIiNS6_6CastOpIiEEPilEEPdNS6_3SumENS_12future_valueIdSC_EEdNS0_19lookback_scan_stateIdLb0ELb1EEEEEvT2_T3_mT5_T4_T7_jPT6_SO_bb
		.amdhsa_group_segment_fixed_size 33792
		.amdhsa_private_segment_fixed_size 0
		.amdhsa_kernarg_size 84
		.amdhsa_user_sgpr_count 15
		.amdhsa_user_sgpr_dispatch_ptr 0
		.amdhsa_user_sgpr_queue_ptr 0
		.amdhsa_user_sgpr_kernarg_segment_ptr 1
		.amdhsa_user_sgpr_dispatch_id 0
		.amdhsa_user_sgpr_private_segment_size 0
		.amdhsa_wavefront_size32 1
		.amdhsa_uses_dynamic_stack 0
		.amdhsa_enable_private_segment 0
		.amdhsa_system_sgpr_workgroup_id_x 1
		.amdhsa_system_sgpr_workgroup_id_y 0
		.amdhsa_system_sgpr_workgroup_id_z 0
		.amdhsa_system_sgpr_workgroup_info 0
		.amdhsa_system_vgpr_workitem_id 0
		.amdhsa_next_free_vgpr 96
		.amdhsa_next_free_sgpr 22
		.amdhsa_reserve_vcc 1
		.amdhsa_float_round_mode_32 0
		.amdhsa_float_round_mode_16_64 0
		.amdhsa_float_denorm_mode_32 3
		.amdhsa_float_denorm_mode_16_64 3
		.amdhsa_dx10_clamp 1
		.amdhsa_ieee_mode 1
		.amdhsa_fp16_overflow 0
		.amdhsa_workgroup_processor_mode 1
		.amdhsa_memory_ordered 1
		.amdhsa_forward_progress 0
		.amdhsa_shared_vgpr_count 0
		.amdhsa_exception_fp_ieee_invalid_op 0
		.amdhsa_exception_fp_denorm_src 0
		.amdhsa_exception_fp_ieee_div_zero 0
		.amdhsa_exception_fp_ieee_overflow 0
		.amdhsa_exception_fp_ieee_underflow 0
		.amdhsa_exception_fp_ieee_inexact 0
		.amdhsa_exception_int_div_zero 0
	.end_amdhsa_kernel
	.section	.text._ZN7rocprim6detail20lookback_scan_kernelILNS0_25lookback_scan_determinismE0ELb1ENS0_19wrapped_scan_configINS_14default_configEdEEN6hipcub22TransformInputIteratorIiNS6_6CastOpIiEEPilEEPdNS6_3SumENS_12future_valueIdSC_EEdNS0_19lookback_scan_stateIdLb0ELb1EEEEEvT2_T3_mT5_T4_T7_jPT6_SO_bb,"axG",@progbits,_ZN7rocprim6detail20lookback_scan_kernelILNS0_25lookback_scan_determinismE0ELb1ENS0_19wrapped_scan_configINS_14default_configEdEEN6hipcub22TransformInputIteratorIiNS6_6CastOpIiEEPilEEPdNS6_3SumENS_12future_valueIdSC_EEdNS0_19lookback_scan_stateIdLb0ELb1EEEEEvT2_T3_mT5_T4_T7_jPT6_SO_bb,comdat
.Lfunc_end143:
	.size	_ZN7rocprim6detail20lookback_scan_kernelILNS0_25lookback_scan_determinismE0ELb1ENS0_19wrapped_scan_configINS_14default_configEdEEN6hipcub22TransformInputIteratorIiNS6_6CastOpIiEEPilEEPdNS6_3SumENS_12future_valueIdSC_EEdNS0_19lookback_scan_stateIdLb0ELb1EEEEEvT2_T3_mT5_T4_T7_jPT6_SO_bb, .Lfunc_end143-_ZN7rocprim6detail20lookback_scan_kernelILNS0_25lookback_scan_determinismE0ELb1ENS0_19wrapped_scan_configINS_14default_configEdEEN6hipcub22TransformInputIteratorIiNS6_6CastOpIiEEPilEEPdNS6_3SumENS_12future_valueIdSC_EEdNS0_19lookback_scan_stateIdLb0ELb1EEEEEvT2_T3_mT5_T4_T7_jPT6_SO_bb
                                        ; -- End function
	.section	.AMDGPU.csdata,"",@progbits
; Kernel info:
; codeLenInByte = 9608
; NumSgprs: 24
; NumVgprs: 96
; ScratchSize: 0
; MemoryBound: 0
; FloatMode: 240
; IeeeMode: 1
; LDSByteSize: 33792 bytes/workgroup (compile time only)
; SGPRBlocks: 2
; VGPRBlocks: 11
; NumSGPRsForWavesPerEU: 24
; NumVGPRsForWavesPerEU: 96
; Occupancy: 6
; WaveLimiterHint : 1
; COMPUTE_PGM_RSRC2:SCRATCH_EN: 0
; COMPUTE_PGM_RSRC2:USER_SGPR: 15
; COMPUTE_PGM_RSRC2:TRAP_HANDLER: 0
; COMPUTE_PGM_RSRC2:TGID_X_EN: 1
; COMPUTE_PGM_RSRC2:TGID_Y_EN: 0
; COMPUTE_PGM_RSRC2:TGID_Z_EN: 0
; COMPUTE_PGM_RSRC2:TIDIG_COMP_CNT: 0
	.section	.text._ZN7rocprim6detail16transform_kernelINS0_24wrapped_transform_configINS_14default_configEdEEdPdS5_NS_8identityIdEEEEvT1_mT2_T3_,"axG",@progbits,_ZN7rocprim6detail16transform_kernelINS0_24wrapped_transform_configINS_14default_configEdEEdPdS5_NS_8identityIdEEEEvT1_mT2_T3_,comdat
	.protected	_ZN7rocprim6detail16transform_kernelINS0_24wrapped_transform_configINS_14default_configEdEEdPdS5_NS_8identityIdEEEEvT1_mT2_T3_ ; -- Begin function _ZN7rocprim6detail16transform_kernelINS0_24wrapped_transform_configINS_14default_configEdEEdPdS5_NS_8identityIdEEEEvT1_mT2_T3_
	.globl	_ZN7rocprim6detail16transform_kernelINS0_24wrapped_transform_configINS_14default_configEdEEdPdS5_NS_8identityIdEEEEvT1_mT2_T3_
	.p2align	8
	.type	_ZN7rocprim6detail16transform_kernelINS0_24wrapped_transform_configINS_14default_configEdEEdPdS5_NS_8identityIdEEEEvT1_mT2_T3_,@function
_ZN7rocprim6detail16transform_kernelINS0_24wrapped_transform_configINS_14default_configEdEEdPdS5_NS_8identityIdEEEEvT1_mT2_T3_: ; @_ZN7rocprim6detail16transform_kernelINS0_24wrapped_transform_configINS_14default_configEdEEdPdS5_NS_8identityIdEEEEvT1_mT2_T3_
; %bb.0:
	s_clause 0x2
	s_load_b32 s3, s[0:1], 0x20
	s_load_b128 s[4:7], s[0:1], 0x0
	s_load_b64 s[0:1], s[0:1], 0x10
	v_lshlrev_b32_e32 v2, 3, v0
	s_lshl_b32 s2, s15, 9
	s_waitcnt lgkmcnt(0)
	s_add_i32 s7, s3, -1
	s_mov_b32 s3, 0
	s_cmp_lg_u32 s15, s7
	s_mov_b32 s7, -1
	s_cbranch_scc0 .LBB144_2
; %bb.1:
	s_lshl_b64 s[8:9], s[2:3], 3
	s_mov_b32 s7, s3
	s_add_u32 s10, s4, s8
	s_addc_u32 s11, s5, s9
	s_add_u32 s8, s0, s8
	global_load_b64 v[3:4], v2, s[10:11]
	s_addc_u32 s9, s1, s9
	s_waitcnt vmcnt(0)
	global_store_b64 v2, v[3:4], s[8:9]
.LBB144_2:
	s_and_not1_b32 vcc_lo, exec_lo, s7
	s_cbranch_vccnz .LBB144_7
; %bb.3:
	s_sub_i32 s6, s6, s2
	s_delay_alu instid0(SALU_CYCLE_1)
	v_cmp_gt_u32_e32 vcc_lo, s6, v0
                                        ; implicit-def: $vgpr0_vgpr1
	s_and_saveexec_b32 s6, vcc_lo
	s_cbranch_execz .LBB144_5
; %bb.4:
	s_lshl_b64 s[8:9], s[2:3], 3
	s_delay_alu instid0(SALU_CYCLE_1)
	s_add_u32 s4, s4, s8
	s_addc_u32 s5, s5, s9
	global_load_b64 v[0:1], v2, s[4:5]
.LBB144_5:
	s_or_b32 exec_lo, exec_lo, s6
	s_and_saveexec_b32 s4, vcc_lo
	s_cbranch_execz .LBB144_7
; %bb.6:
	s_lshl_b64 s[2:3], s[2:3], 3
	s_delay_alu instid0(SALU_CYCLE_1)
	s_add_u32 s0, s0, s2
	s_addc_u32 s1, s1, s3
	s_waitcnt vmcnt(0)
	global_store_b64 v2, v[0:1], s[0:1]
.LBB144_7:
	s_nop 0
	s_sendmsg sendmsg(MSG_DEALLOC_VGPRS)
	s_endpgm
	.section	.rodata,"a",@progbits
	.p2align	6, 0x0
	.amdhsa_kernel _ZN7rocprim6detail16transform_kernelINS0_24wrapped_transform_configINS_14default_configEdEEdPdS5_NS_8identityIdEEEEvT1_mT2_T3_
		.amdhsa_group_segment_fixed_size 0
		.amdhsa_private_segment_fixed_size 0
		.amdhsa_kernarg_size 288
		.amdhsa_user_sgpr_count 15
		.amdhsa_user_sgpr_dispatch_ptr 0
		.amdhsa_user_sgpr_queue_ptr 0
		.amdhsa_user_sgpr_kernarg_segment_ptr 1
		.amdhsa_user_sgpr_dispatch_id 0
		.amdhsa_user_sgpr_private_segment_size 0
		.amdhsa_wavefront_size32 1
		.amdhsa_uses_dynamic_stack 0
		.amdhsa_enable_private_segment 0
		.amdhsa_system_sgpr_workgroup_id_x 1
		.amdhsa_system_sgpr_workgroup_id_y 0
		.amdhsa_system_sgpr_workgroup_id_z 0
		.amdhsa_system_sgpr_workgroup_info 0
		.amdhsa_system_vgpr_workitem_id 0
		.amdhsa_next_free_vgpr 5
		.amdhsa_next_free_sgpr 16
		.amdhsa_reserve_vcc 1
		.amdhsa_float_round_mode_32 0
		.amdhsa_float_round_mode_16_64 0
		.amdhsa_float_denorm_mode_32 3
		.amdhsa_float_denorm_mode_16_64 3
		.amdhsa_dx10_clamp 1
		.amdhsa_ieee_mode 1
		.amdhsa_fp16_overflow 0
		.amdhsa_workgroup_processor_mode 1
		.amdhsa_memory_ordered 1
		.amdhsa_forward_progress 0
		.amdhsa_shared_vgpr_count 0
		.amdhsa_exception_fp_ieee_invalid_op 0
		.amdhsa_exception_fp_denorm_src 0
		.amdhsa_exception_fp_ieee_div_zero 0
		.amdhsa_exception_fp_ieee_overflow 0
		.amdhsa_exception_fp_ieee_underflow 0
		.amdhsa_exception_fp_ieee_inexact 0
		.amdhsa_exception_int_div_zero 0
	.end_amdhsa_kernel
	.section	.text._ZN7rocprim6detail16transform_kernelINS0_24wrapped_transform_configINS_14default_configEdEEdPdS5_NS_8identityIdEEEEvT1_mT2_T3_,"axG",@progbits,_ZN7rocprim6detail16transform_kernelINS0_24wrapped_transform_configINS_14default_configEdEEdPdS5_NS_8identityIdEEEEvT1_mT2_T3_,comdat
.Lfunc_end144:
	.size	_ZN7rocprim6detail16transform_kernelINS0_24wrapped_transform_configINS_14default_configEdEEdPdS5_NS_8identityIdEEEEvT1_mT2_T3_, .Lfunc_end144-_ZN7rocprim6detail16transform_kernelINS0_24wrapped_transform_configINS_14default_configEdEEdPdS5_NS_8identityIdEEEEvT1_mT2_T3_
                                        ; -- End function
	.section	.AMDGPU.csdata,"",@progbits
; Kernel info:
; codeLenInByte = 208
; NumSgprs: 18
; NumVgprs: 5
; ScratchSize: 0
; MemoryBound: 0
; FloatMode: 240
; IeeeMode: 1
; LDSByteSize: 0 bytes/workgroup (compile time only)
; SGPRBlocks: 2
; VGPRBlocks: 0
; NumSGPRsForWavesPerEU: 18
; NumVGPRsForWavesPerEU: 5
; Occupancy: 16
; WaveLimiterHint : 0
; COMPUTE_PGM_RSRC2:SCRATCH_EN: 0
; COMPUTE_PGM_RSRC2:USER_SGPR: 15
; COMPUTE_PGM_RSRC2:TRAP_HANDLER: 0
; COMPUTE_PGM_RSRC2:TGID_X_EN: 1
; COMPUTE_PGM_RSRC2:TGID_Y_EN: 0
; COMPUTE_PGM_RSRC2:TGID_Z_EN: 0
; COMPUTE_PGM_RSRC2:TIDIG_COMP_CNT: 0
	.section	.text._ZN7rocprim6detail18single_scan_kernelILb1ENS0_19wrapped_scan_configINS_14default_configEdEEN6hipcub22TransformInputIteratorIiNS5_6CastOpIiEEPilEEPdNS5_3SumENS_12future_valueIdSB_EEdEEvT1_mT4_T2_T3_,"axG",@progbits,_ZN7rocprim6detail18single_scan_kernelILb1ENS0_19wrapped_scan_configINS_14default_configEdEEN6hipcub22TransformInputIteratorIiNS5_6CastOpIiEEPilEEPdNS5_3SumENS_12future_valueIdSB_EEdEEvT1_mT4_T2_T3_,comdat
	.protected	_ZN7rocprim6detail18single_scan_kernelILb1ENS0_19wrapped_scan_configINS_14default_configEdEEN6hipcub22TransformInputIteratorIiNS5_6CastOpIiEEPilEEPdNS5_3SumENS_12future_valueIdSB_EEdEEvT1_mT4_T2_T3_ ; -- Begin function _ZN7rocprim6detail18single_scan_kernelILb1ENS0_19wrapped_scan_configINS_14default_configEdEEN6hipcub22TransformInputIteratorIiNS5_6CastOpIiEEPilEEPdNS5_3SumENS_12future_valueIdSB_EEdEEvT1_mT4_T2_T3_
	.globl	_ZN7rocprim6detail18single_scan_kernelILb1ENS0_19wrapped_scan_configINS_14default_configEdEEN6hipcub22TransformInputIteratorIiNS5_6CastOpIiEEPilEEPdNS5_3SumENS_12future_valueIdSB_EEdEEvT1_mT4_T2_T3_
	.p2align	8
	.type	_ZN7rocprim6detail18single_scan_kernelILb1ENS0_19wrapped_scan_configINS_14default_configEdEEN6hipcub22TransformInputIteratorIiNS5_6CastOpIiEEPilEEPdNS5_3SumENS_12future_valueIdSB_EEdEEvT1_mT4_T2_T3_,@function
_ZN7rocprim6detail18single_scan_kernelILb1ENS0_19wrapped_scan_configINS_14default_configEdEEN6hipcub22TransformInputIteratorIiNS5_6CastOpIiEEPilEEPdNS5_3SumENS_12future_valueIdSB_EEdEEvT1_mT4_T2_T3_: ; @_ZN7rocprim6detail18single_scan_kernelILb1ENS0_19wrapped_scan_configINS_14default_configEdEEN6hipcub22TransformInputIteratorIiNS5_6CastOpIiEEPilEEPdNS5_3SumENS_12future_valueIdSB_EEdEEvT1_mT4_T2_T3_
; %bb.0:
	s_clause 0x1
	s_load_b64 s[2:3], s[0:1], 0x0
	s_load_b128 s[20:23], s[0:1], 0x10
	s_waitcnt lgkmcnt(0)
	s_load_b32 s4, s[2:3], 0x0
	v_cmp_gt_u32_e32 vcc_lo, s20, v0
	s_waitcnt lgkmcnt(0)
	v_cvt_f64_i32_e32 v[21:22], s4
	s_delay_alu instid0(VALU_DEP_1) | instskip(NEXT) | instid1(VALU_DEP_1)
	v_dual_mov_b32 v28, v22 :: v_dual_lshlrev_b32 v1, 2, v0
	v_add_co_u32 v33, s2, s2, v1
	s_delay_alu instid0(VALU_DEP_3)
	v_dual_mov_b32 v5, v21 :: v_dual_mov_b32 v32, v22
	v_add_co_ci_u32_e64 v34, null, s3, 0, s2
	v_dual_mov_b32 v27, v21 :: v_dual_mov_b32 v26, v22
	v_dual_mov_b32 v25, v21 :: v_dual_mov_b32 v30, v22
	;; [unrolled: 1-line block ×13, first 2 shown]
	v_mov_b32_e32 v31, v21
	s_and_saveexec_b32 s2, vcc_lo
	s_cbranch_execz .LBB145_2
; %bb.1:
	global_load_b32 v31, v[33:34], off
	s_waitcnt vmcnt(0)
	v_cvt_f64_i32_e32 v[31:32], v31
.LBB145_2:
	s_or_b32 exec_lo, exec_lo, s2
	v_or_b32_e32 v35, 0x100, v0
	s_delay_alu instid0(VALU_DEP_1) | instskip(NEXT) | instid1(VALU_DEP_1)
	v_cmp_gt_u32_e64 s2, s20, v35
	s_and_saveexec_b32 s3, s2
	s_cbranch_execz .LBB145_4
; %bb.3:
	global_load_b32 v21, v[33:34], off offset:1024
	s_waitcnt vmcnt(0)
	v_cvt_f64_i32_e32 v[21:22], v21
.LBB145_4:
	s_or_b32 exec_lo, exec_lo, s3
	v_or_b32_e32 v36, 0x200, v0
	s_delay_alu instid0(VALU_DEP_1) | instskip(NEXT) | instid1(VALU_DEP_1)
	v_cmp_gt_u32_e64 s3, s20, v36
	s_and_saveexec_b32 s4, s3
	s_cbranch_execz .LBB145_6
; %bb.5:
	global_load_b32 v27, v[33:34], off offset:2048
	s_waitcnt vmcnt(0)
	v_cvt_f64_i32_e32 v[27:28], v27
.LBB145_6:
	;; [unrolled: 11-line block ×3, first 2 shown]
	s_or_b32 exec_lo, exec_lo, s5
	v_or_b32_e32 v39, 0x400, v0
	s_delay_alu instid0(VALU_DEP_1) | instskip(NEXT) | instid1(VALU_DEP_1)
	v_cmp_gt_u32_e64 s5, s20, v39
	s_and_saveexec_b32 s7, s5
	s_cbranch_execz .LBB145_10
; %bb.9:
	v_add_co_u32 v29, s6, 0x1000, v33
	s_delay_alu instid0(VALU_DEP_1)
	v_add_co_ci_u32_e64 v30, s6, 0, v34, s6
	global_load_b32 v29, v[29:30], off
	s_waitcnt vmcnt(0)
	v_cvt_f64_i32_e32 v[29:30], v29
.LBB145_10:
	s_or_b32 exec_lo, exec_lo, s7
	v_or_b32_e32 v40, 0x500, v0
	s_delay_alu instid0(VALU_DEP_1) | instskip(NEXT) | instid1(VALU_DEP_1)
	v_cmp_gt_u32_e64 s6, s20, v40
	s_and_saveexec_b32 s8, s6
	s_cbranch_execz .LBB145_12
; %bb.11:
	v_add_co_u32 v23, s7, 0x1000, v33
	s_delay_alu instid0(VALU_DEP_1)
	v_add_co_ci_u32_e64 v24, s7, 0, v34, s7
	global_load_b32 v23, v[23:24], off offset:1024
	s_waitcnt vmcnt(0)
	v_cvt_f64_i32_e32 v[23:24], v23
.LBB145_12:
	s_or_b32 exec_lo, exec_lo, s8
	v_or_b32_e32 v43, 0x600, v0
	s_delay_alu instid0(VALU_DEP_1) | instskip(NEXT) | instid1(VALU_DEP_1)
	v_cmp_gt_u32_e64 s7, s20, v43
	s_and_saveexec_b32 s9, s7
	s_cbranch_execz .LBB145_14
; %bb.13:
	v_add_co_u32 v19, s8, 0x1000, v33
	s_delay_alu instid0(VALU_DEP_1)
	v_add_co_ci_u32_e64 v20, s8, 0, v34, s8
	global_load_b32 v19, v[19:20], off offset:2048
	s_waitcnt vmcnt(0)
	v_cvt_f64_i32_e32 v[19:20], v19
.LBB145_14:
	s_or_b32 exec_lo, exec_lo, s9
	v_or_b32_e32 v44, 0x700, v0
	s_delay_alu instid0(VALU_DEP_1) | instskip(NEXT) | instid1(VALU_DEP_1)
	v_cmp_gt_u32_e64 s8, s20, v44
	s_and_saveexec_b32 s10, s8
	s_cbranch_execz .LBB145_16
; %bb.15:
	v_add_co_u32 v15, s9, 0x1000, v33
	s_delay_alu instid0(VALU_DEP_1)
	v_add_co_ci_u32_e64 v16, s9, 0, v34, s9
	global_load_b32 v15, v[15:16], off offset:3072
	s_waitcnt vmcnt(0)
	v_cvt_f64_i32_e32 v[15:16], v15
.LBB145_16:
	s_or_b32 exec_lo, exec_lo, s10
	v_or_b32_e32 v45, 0x800, v0
	s_delay_alu instid0(VALU_DEP_1) | instskip(NEXT) | instid1(VALU_DEP_1)
	v_cmp_gt_u32_e64 s9, s20, v45
	s_and_saveexec_b32 s11, s9
	s_cbranch_execz .LBB145_18
; %bb.17:
	v_add_co_u32 v13, s10, 0x2000, v33
	s_delay_alu instid0(VALU_DEP_1)
	v_add_co_ci_u32_e64 v14, s10, 0, v34, s10
	global_load_b32 v13, v[13:14], off
	s_waitcnt vmcnt(0)
	v_cvt_f64_i32_e32 v[13:14], v13
.LBB145_18:
	s_or_b32 exec_lo, exec_lo, s11
	v_or_b32_e32 v46, 0x900, v0
	s_delay_alu instid0(VALU_DEP_1) | instskip(NEXT) | instid1(VALU_DEP_1)
	v_cmp_gt_u32_e64 s10, s20, v46
	s_and_saveexec_b32 s12, s10
	s_cbranch_execz .LBB145_20
; %bb.19:
	v_add_co_u32 v17, s11, 0x2000, v33
	s_delay_alu instid0(VALU_DEP_1)
	v_add_co_ci_u32_e64 v18, s11, 0, v34, s11
	global_load_b32 v17, v[17:18], off offset:1024
	s_waitcnt vmcnt(0)
	v_cvt_f64_i32_e32 v[17:18], v17
.LBB145_20:
	s_or_b32 exec_lo, exec_lo, s12
	v_or_b32_e32 v47, 0xa00, v0
	s_delay_alu instid0(VALU_DEP_1) | instskip(NEXT) | instid1(VALU_DEP_1)
	v_cmp_gt_u32_e64 s11, s20, v47
	s_and_saveexec_b32 s13, s11
	s_cbranch_execz .LBB145_22
; %bb.21:
	v_add_co_u32 v11, s12, 0x2000, v33
	s_delay_alu instid0(VALU_DEP_1)
	v_add_co_ci_u32_e64 v12, s12, 0, v34, s12
	global_load_b32 v11, v[11:12], off offset:2048
	s_waitcnt vmcnt(0)
	v_cvt_f64_i32_e32 v[11:12], v11
.LBB145_22:
	s_or_b32 exec_lo, exec_lo, s13
	v_or_b32_e32 v48, 0xb00, v0
	s_delay_alu instid0(VALU_DEP_1) | instskip(NEXT) | instid1(VALU_DEP_1)
	v_cmp_gt_u32_e64 s12, s20, v48
	s_and_saveexec_b32 s14, s12
	s_cbranch_execz .LBB145_24
; %bb.23:
	v_add_co_u32 v9, s13, 0x2000, v33
	s_delay_alu instid0(VALU_DEP_1)
	v_add_co_ci_u32_e64 v10, s13, 0, v34, s13
	global_load_b32 v9, v[9:10], off offset:3072
	s_waitcnt vmcnt(0)
	v_cvt_f64_i32_e32 v[9:10], v9
.LBB145_24:
	;; [unrolled: 56-line block ×3, first 2 shown]
	s_or_b32 exec_lo, exec_lo, s18
	v_lshrrev_b32_e32 v33, 2, v0
	v_lshrrev_b32_e32 v34, 2, v35
	v_lshlrev_b32_e32 v37, 3, v0
	v_lshrrev_b32_e32 v35, 2, v36
	v_lshrrev_b32_e32 v41, 2, v40
	v_and_b32_e32 v49, 56, v33
	v_and_b32_e32 v33, 0x78, v34
	v_lshrrev_b32_e32 v34, 2, v38
	v_lshrrev_b32_e32 v36, 2, v39
	s_load_b64 s[18:19], s[22:23], 0x0
	v_add_nc_u32_e32 v38, v49, v37
	v_add_nc_u32_e32 v39, v33, v37
	v_and_b32_e32 v33, 0xf8, v35
	v_and_b32_e32 v34, 0xf8, v34
	;; [unrolled: 1-line block ×3, first 2 shown]
	ds_store_b64 v38, v[31:32]
	ds_store_b64 v39, v[21:22] offset:2048
	v_and_b32_e32 v21, 0x1f8, v41
	v_lshrrev_b32_e32 v22, 2, v43
	v_add_nc_u32_e32 v40, v33, v37
	v_add_nc_u32_e32 v41, v34, v37
	;; [unrolled: 1-line block ×4, first 2 shown]
	v_and_b32_e32 v21, 0x1f8, v22
	v_lshrrev_b32_e32 v22, 2, v44
	ds_store_b64 v40, v[27:28] offset:4096
	ds_store_b64 v41, v[25:26] offset:6144
	;; [unrolled: 1-line block ×4, first 2 shown]
	v_lshrrev_b32_e32 v23, 2, v45
	v_add_nc_u32_e32 v44, v21, v37
	v_and_b32_e32 v21, 0x1f8, v22
	v_lshrrev_b32_e32 v22, 2, v47
	v_lshrrev_b32_e32 v24, 2, v46
	v_and_b32_e32 v23, 0x3f8, v23
	ds_store_b64 v44, v[19:20] offset:12288
	v_add_nc_u32_e32 v45, v21, v37
	v_and_b32_e32 v19, 0x3f8, v22
	v_and_b32_e32 v24, 0x3f8, v24
	v_add_nc_u32_e32 v46, v23, v37
	v_lshrrev_b32_e32 v20, 2, v48
	ds_store_b64 v45, v[15:16] offset:14336
	v_add_nc_u32_e32 v48, v19, v37
	v_add_nc_u32_e32 v47, v24, v37
	ds_store_b64 v46, v[13:14] offset:16384
	ds_store_b64 v47, v[17:18] offset:18432
	v_and_b32_e32 v13, 0x3f8, v20
	v_lshrrev_b32_e32 v14, 2, v50
	ds_store_b64 v48, v[11:12] offset:20480
	v_lshrrev_b32_e32 v11, 2, v51
	v_lshrrev_b32_e32 v12, 2, v52
	v_add_nc_u32_e32 v50, v13, v37
	v_and_b32_e32 v13, 0x3f8, v14
	v_lshrrev_b32_e32 v14, 2, v53
	v_and_b32_e32 v11, 0x3f8, v11
	v_and_b32_e32 v12, 0x3f8, v12
	ds_store_b64 v50, v[9:10] offset:22528
	v_lshlrev_b32_e32 v10, 4, v0
	v_and_b32_e32 v9, 0x3f8, v14
	v_add_nc_u32_e32 v52, v11, v37
	v_lshrrev_b32_e32 v11, 1, v0
	v_add_nc_u32_e32 v51, v13, v37
	v_add_nc_u32_e32 v53, v12, v37
	;; [unrolled: 1-line block ×3, first 2 shown]
	ds_store_b64 v51, v[1:2] offset:24576
	ds_store_b64 v52, v[3:4] offset:26624
	ds_store_b64 v53, v[7:8] offset:28672
	v_add_lshl_u32 v55, v11, v10, 3
	ds_store_b64 v54, v[5:6] offset:30720
	s_waitcnt lgkmcnt(0)
	s_barrier
	buffer_gl0_inv
	ds_load_2addr_b64 v[1:4], v55 offset1:1
	ds_load_2addr_b64 v[5:8], v55 offset0:2 offset1:3
	ds_load_2addr_b64 v[29:32], v55 offset0:4 offset1:5
	;; [unrolled: 1-line block ×5, first 2 shown]
	v_mbcnt_lo_u32_b32 v56, -1, 0
	s_mov_b32 s20, exec_lo
	s_delay_alu instid0(VALU_DEP_1) | instskip(SKIP_3) | instid1(VALU_DEP_1)
	v_and_b32_e32 v35, 15, v56
	s_waitcnt lgkmcnt(5)
	v_add_f64 v[9:10], v[1:2], v[3:4]
	s_waitcnt lgkmcnt(4)
	v_add_f64 v[9:10], v[9:10], v[5:6]
	s_delay_alu instid0(VALU_DEP_1) | instskip(SKIP_1) | instid1(VALU_DEP_1)
	v_add_f64 v[9:10], v[9:10], v[7:8]
	s_waitcnt lgkmcnt(3)
	v_add_f64 v[9:10], v[9:10], v[29:30]
	s_delay_alu instid0(VALU_DEP_1) | instskip(SKIP_1) | instid1(VALU_DEP_1)
	;; [unrolled: 4-line block ×4, first 2 shown]
	v_add_f64 v[9:10], v[9:10], v[23:24]
	s_waitcnt lgkmcnt(0)
	v_add_f64 v[9:10], v[9:10], v[17:18]
	s_delay_alu instid0(VALU_DEP_1)
	v_add_f64 v[33:34], v[9:10], v[19:20]
	ds_load_2addr_b64 v[13:16], v55 offset0:12 offset1:13
	ds_load_2addr_b64 v[9:12], v55 offset0:14 offset1:15
	s_waitcnt lgkmcnt(0)
	s_barrier
	buffer_gl0_inv
	v_add_f64 v[33:34], v[33:34], v[13:14]
	s_delay_alu instid0(VALU_DEP_1) | instskip(NEXT) | instid1(VALU_DEP_1)
	v_add_f64 v[33:34], v[33:34], v[15:16]
	v_add_f64 v[33:34], v[33:34], v[9:10]
	s_delay_alu instid0(VALU_DEP_1) | instskip(NEXT) | instid1(VALU_DEP_1)
	v_add_f64 v[11:12], v[33:34], v[11:12]
	v_mov_b32_dpp v33, v11 row_shr:1 row_mask:0xf bank_mask:0xf
	s_delay_alu instid0(VALU_DEP_2)
	v_mov_b32_dpp v34, v12 row_shr:1 row_mask:0xf bank_mask:0xf
	v_cmpx_ne_u32_e32 0, v35
; %bb.33:
	s_delay_alu instid0(VALU_DEP_2)
	v_add_f64 v[11:12], v[11:12], v[33:34]
; %bb.34:
	s_or_b32 exec_lo, exec_lo, s20
	s_delay_alu instid0(VALU_DEP_1) | instskip(NEXT) | instid1(VALU_DEP_2)
	v_mov_b32_dpp v33, v11 row_shr:2 row_mask:0xf bank_mask:0xf
	v_mov_b32_dpp v34, v12 row_shr:2 row_mask:0xf bank_mask:0xf
	s_mov_b32 s20, exec_lo
	v_cmpx_lt_u32_e32 1, v35
; %bb.35:
	s_delay_alu instid0(VALU_DEP_2)
	v_add_f64 v[11:12], v[11:12], v[33:34]
; %bb.36:
	s_or_b32 exec_lo, exec_lo, s20
	s_delay_alu instid0(VALU_DEP_1) | instskip(NEXT) | instid1(VALU_DEP_2)
	v_mov_b32_dpp v33, v11 row_shr:4 row_mask:0xf bank_mask:0xf
	v_mov_b32_dpp v34, v12 row_shr:4 row_mask:0xf bank_mask:0xf
	s_mov_b32 s20, exec_lo
	v_cmpx_lt_u32_e32 3, v35
	;; [unrolled: 10-line block ×3, first 2 shown]
; %bb.39:
	s_delay_alu instid0(VALU_DEP_2)
	v_add_f64 v[11:12], v[11:12], v[33:34]
; %bb.40:
	s_or_b32 exec_lo, exec_lo, s20
	ds_swizzle_b32 v33, v11 offset:swizzle(BROADCAST,32,15)
	ds_swizzle_b32 v34, v12 offset:swizzle(BROADCAST,32,15)
	v_and_b32_e32 v35, 16, v56
	s_mov_b32 s20, exec_lo
	s_delay_alu instid0(VALU_DEP_1)
	v_cmpx_ne_u32_e32 0, v35
	s_cbranch_execz .LBB145_42
; %bb.41:
	s_waitcnt lgkmcnt(0)
	v_add_f64 v[11:12], v[11:12], v[33:34]
.LBB145_42:
	s_or_b32 exec_lo, exec_lo, s20
	s_load_b64 s[20:21], s[0:1], 0x20
	s_waitcnt lgkmcnt(0)
	v_or_b32_e32 v33, 31, v0
	s_mov_b32 s1, exec_lo
	s_delay_alu instid0(VALU_DEP_1)
	v_cmpx_eq_u32_e64 v33, v0
	s_cbranch_execz .LBB145_44
; %bb.43:
	ds_store_b64 v49, v[11:12]
.LBB145_44:
	s_or_b32 exec_lo, exec_lo, s1
	s_delay_alu instid0(SALU_CYCLE_1)
	s_mov_b32 s1, exec_lo
	s_waitcnt lgkmcnt(0)
	s_barrier
	buffer_gl0_inv
	v_cmpx_gt_u32_e32 8, v0
	s_cbranch_execz .LBB145_52
; %bb.45:
	ds_load_b64 v[33:34], v37
	v_and_b32_e32 v57, 7, v56
	s_mov_b32 s17, exec_lo
	s_waitcnt lgkmcnt(0)
	v_mov_b32_dpp v35, v33 row_shr:1 row_mask:0xf bank_mask:0xf
	v_mov_b32_dpp v36, v34 row_shr:1 row_mask:0xf bank_mask:0xf
	v_cmpx_ne_u32_e32 0, v57
; %bb.46:
	s_delay_alu instid0(VALU_DEP_2)
	v_add_f64 v[33:34], v[33:34], v[35:36]
; %bb.47:
	s_or_b32 exec_lo, exec_lo, s17
	s_delay_alu instid0(VALU_DEP_1) | instskip(NEXT) | instid1(VALU_DEP_2)
	v_mov_b32_dpp v35, v33 row_shr:2 row_mask:0xf bank_mask:0xf
	v_mov_b32_dpp v36, v34 row_shr:2 row_mask:0xf bank_mask:0xf
	s_mov_b32 s17, exec_lo
	v_cmpx_lt_u32_e32 1, v57
; %bb.48:
	s_delay_alu instid0(VALU_DEP_2)
	v_add_f64 v[33:34], v[33:34], v[35:36]
; %bb.49:
	s_or_b32 exec_lo, exec_lo, s17
	s_delay_alu instid0(VALU_DEP_1) | instskip(NEXT) | instid1(VALU_DEP_2)
	v_mov_b32_dpp v35, v33 row_shr:4 row_mask:0xf bank_mask:0xf
	v_mov_b32_dpp v36, v34 row_shr:4 row_mask:0xf bank_mask:0xf
	s_mov_b32 s17, exec_lo
	v_cmpx_lt_u32_e32 3, v57
; %bb.50:
	s_delay_alu instid0(VALU_DEP_2)
	v_add_f64 v[33:34], v[33:34], v[35:36]
; %bb.51:
	s_or_b32 exec_lo, exec_lo, s17
	ds_store_b64 v37, v[33:34]
.LBB145_52:
	s_or_b32 exec_lo, exec_lo, s1
	v_dual_mov_b32 v34, s19 :: v_dual_mov_b32 v33, s18
	s_mov_b32 s1, exec_lo
	s_waitcnt lgkmcnt(0)
	s_barrier
	buffer_gl0_inv
	v_cmpx_lt_u32_e32 31, v0
	s_cbranch_execz .LBB145_54
; %bb.53:
	v_add_nc_u32_e32 v33, -8, v49
	ds_load_b64 v[33:34], v33
	s_waitcnt lgkmcnt(0)
	v_add_f64 v[33:34], s[18:19], v[33:34]
.LBB145_54:
	s_or_b32 exec_lo, exec_lo, s1
	s_delay_alu instid0(VALU_DEP_1) | instskip(SKIP_4) | instid1(VALU_DEP_1)
	v_add_f64 v[11:12], v[11:12], v[33:34]
	v_add_nc_u32_e32 v35, -1, v56
	s_barrier
	buffer_gl0_inv
	v_cmp_gt_i32_e64 s0, 0, v35
	v_cndmask_b32_e64 v35, v35, v56, s0
	v_cmp_eq_u32_e64 s0, 0, v56
	s_delay_alu instid0(VALU_DEP_2)
	v_lshlrev_b32_e32 v35, 2, v35
	ds_bpermute_b32 v11, v35, v11
	ds_bpermute_b32 v12, v35, v12
	s_waitcnt lgkmcnt(1)
	v_cndmask_b32_e64 v11, v11, v33, s0
	s_waitcnt lgkmcnt(0)
	v_cndmask_b32_e64 v12, v12, v34, s0
	v_cmp_eq_u32_e64 s0, 0, v0
	s_delay_alu instid0(VALU_DEP_1) | instskip(SKIP_1) | instid1(VALU_DEP_1)
	v_cndmask_b32_e64 v12, v12, s19, s0
	v_cndmask_b32_e64 v11, v11, s18, s0
	v_add_f64 v[0:1], v[1:2], v[11:12]
	s_delay_alu instid0(VALU_DEP_1) | instskip(NEXT) | instid1(VALU_DEP_1)
	v_add_f64 v[2:3], v[3:4], v[0:1]
	v_add_f64 v[4:5], v[5:6], v[2:3]
	s_delay_alu instid0(VALU_DEP_1) | instskip(NEXT) | instid1(VALU_DEP_1)
	v_add_f64 v[6:7], v[7:8], v[4:5]
	;; [unrolled: 3-line block ×7, first 2 shown]
	v_add_f64 v[8:9], v[9:10], v[15:16]
	ds_store_2addr_b64 v55, v[11:12], v[0:1] offset1:1
	ds_store_2addr_b64 v55, v[2:3], v[4:5] offset0:2 offset1:3
	ds_store_2addr_b64 v55, v[6:7], v[29:30] offset0:4 offset1:5
	;; [unrolled: 1-line block ×7, first 2 shown]
	s_waitcnt lgkmcnt(0)
	s_barrier
	buffer_gl0_inv
	ds_load_b64 v[30:31], v39 offset:2048
	ds_load_b64 v[28:29], v40 offset:4096
	;; [unrolled: 1-line block ×15, first 2 shown]
	v_add_co_u32 v2, s0, s20, v37
	s_delay_alu instid0(VALU_DEP_1)
	v_add_co_ci_u32_e64 v3, null, s21, 0, s0
	s_and_saveexec_b32 s0, vcc_lo
	s_cbranch_execnz .LBB145_71
; %bb.55:
	s_or_b32 exec_lo, exec_lo, s0
	s_and_saveexec_b32 s0, s2
	s_cbranch_execnz .LBB145_72
.LBB145_56:
	s_or_b32 exec_lo, exec_lo, s0
	s_and_saveexec_b32 s0, s3
	s_cbranch_execnz .LBB145_73
.LBB145_57:
	s_or_b32 exec_lo, exec_lo, s0
	s_and_saveexec_b32 s0, s4
	s_cbranch_execnz .LBB145_74
.LBB145_58:
	s_or_b32 exec_lo, exec_lo, s0
	s_and_saveexec_b32 s0, s5
	s_cbranch_execnz .LBB145_75
.LBB145_59:
	s_or_b32 exec_lo, exec_lo, s0
	s_and_saveexec_b32 s0, s6
	s_cbranch_execnz .LBB145_76
.LBB145_60:
	s_or_b32 exec_lo, exec_lo, s0
	s_and_saveexec_b32 s0, s7
	s_cbranch_execnz .LBB145_77
.LBB145_61:
	s_or_b32 exec_lo, exec_lo, s0
	s_and_saveexec_b32 s0, s8
	s_cbranch_execnz .LBB145_78
.LBB145_62:
	s_or_b32 exec_lo, exec_lo, s0
	s_and_saveexec_b32 s0, s9
	s_cbranch_execnz .LBB145_79
.LBB145_63:
	s_or_b32 exec_lo, exec_lo, s0
	s_and_saveexec_b32 s0, s10
	s_cbranch_execnz .LBB145_80
.LBB145_64:
	s_or_b32 exec_lo, exec_lo, s0
	s_and_saveexec_b32 s0, s11
	s_cbranch_execnz .LBB145_81
.LBB145_65:
	s_or_b32 exec_lo, exec_lo, s0
	s_and_saveexec_b32 s0, s12
	s_cbranch_execnz .LBB145_82
.LBB145_66:
	s_or_b32 exec_lo, exec_lo, s0
	s_and_saveexec_b32 s0, s13
	s_cbranch_execnz .LBB145_83
.LBB145_67:
	s_or_b32 exec_lo, exec_lo, s0
	s_and_saveexec_b32 s0, s14
	s_cbranch_execnz .LBB145_84
.LBB145_68:
	s_or_b32 exec_lo, exec_lo, s0
	s_and_saveexec_b32 s0, s15
	s_cbranch_execnz .LBB145_85
.LBB145_69:
	s_or_b32 exec_lo, exec_lo, s0
	s_and_saveexec_b32 s0, s16
	s_cbranch_execnz .LBB145_86
.LBB145_70:
	s_nop 0
	s_sendmsg sendmsg(MSG_DEALLOC_VGPRS)
	s_endpgm
.LBB145_71:
	ds_load_b64 v[32:33], v38
	s_waitcnt lgkmcnt(0)
	global_store_b64 v[2:3], v[32:33], off
	s_or_b32 exec_lo, exec_lo, s0
	s_and_saveexec_b32 s0, s2
	s_cbranch_execz .LBB145_56
.LBB145_72:
	s_waitcnt lgkmcnt(14)
	global_store_b64 v[2:3], v[30:31], off offset:2048
	s_or_b32 exec_lo, exec_lo, s0
	s_and_saveexec_b32 s0, s3
	s_cbranch_execz .LBB145_57
.LBB145_73:
	s_waitcnt lgkmcnt(14)
	v_add_co_u32 v30, vcc_lo, 0x1000, v2
	v_add_co_ci_u32_e32 v31, vcc_lo, 0, v3, vcc_lo
	s_waitcnt lgkmcnt(13)
	global_store_b64 v[30:31], v[28:29], off
	s_or_b32 exec_lo, exec_lo, s0
	s_and_saveexec_b32 s0, s4
	s_cbranch_execz .LBB145_58
.LBB145_74:
	s_waitcnt lgkmcnt(13)
	v_add_co_u32 v28, vcc_lo, 0x1000, v2
	v_add_co_ci_u32_e32 v29, vcc_lo, 0, v3, vcc_lo
	s_waitcnt lgkmcnt(12)
	global_store_b64 v[28:29], v[26:27], off offset:2048
	s_or_b32 exec_lo, exec_lo, s0
	s_and_saveexec_b32 s0, s5
	s_cbranch_execz .LBB145_59
.LBB145_75:
	s_waitcnt lgkmcnt(12)
	v_add_co_u32 v26, vcc_lo, 0x2000, v2
	v_add_co_ci_u32_e32 v27, vcc_lo, 0, v3, vcc_lo
	s_waitcnt lgkmcnt(11)
	global_store_b64 v[26:27], v[24:25], off
	s_or_b32 exec_lo, exec_lo, s0
	s_and_saveexec_b32 s0, s6
	s_cbranch_execz .LBB145_60
.LBB145_76:
	s_waitcnt lgkmcnt(11)
	v_add_co_u32 v24, vcc_lo, 0x2000, v2
	v_add_co_ci_u32_e32 v25, vcc_lo, 0, v3, vcc_lo
	s_waitcnt lgkmcnt(10)
	global_store_b64 v[24:25], v[22:23], off offset:2048
	s_or_b32 exec_lo, exec_lo, s0
	s_and_saveexec_b32 s0, s7
	s_cbranch_execz .LBB145_61
.LBB145_77:
	s_waitcnt lgkmcnt(10)
	v_add_co_u32 v22, vcc_lo, 0x3000, v2
	v_add_co_ci_u32_e32 v23, vcc_lo, 0, v3, vcc_lo
	s_waitcnt lgkmcnt(9)
	global_store_b64 v[22:23], v[20:21], off
	s_or_b32 exec_lo, exec_lo, s0
	s_and_saveexec_b32 s0, s8
	s_cbranch_execz .LBB145_62
.LBB145_78:
	s_waitcnt lgkmcnt(9)
	v_add_co_u32 v20, vcc_lo, 0x3000, v2
	v_add_co_ci_u32_e32 v21, vcc_lo, 0, v3, vcc_lo
	s_waitcnt lgkmcnt(8)
	global_store_b64 v[20:21], v[18:19], off offset:2048
	s_or_b32 exec_lo, exec_lo, s0
	s_and_saveexec_b32 s0, s9
	s_cbranch_execz .LBB145_63
.LBB145_79:
	s_waitcnt lgkmcnt(8)
	v_add_co_u32 v18, vcc_lo, 0x4000, v2
	v_add_co_ci_u32_e32 v19, vcc_lo, 0, v3, vcc_lo
	s_waitcnt lgkmcnt(7)
	global_store_b64 v[18:19], v[16:17], off
	s_or_b32 exec_lo, exec_lo, s0
	s_and_saveexec_b32 s0, s10
	s_cbranch_execz .LBB145_64
.LBB145_80:
	s_waitcnt lgkmcnt(7)
	v_add_co_u32 v16, vcc_lo, 0x4000, v2
	v_add_co_ci_u32_e32 v17, vcc_lo, 0, v3, vcc_lo
	s_waitcnt lgkmcnt(6)
	global_store_b64 v[16:17], v[14:15], off offset:2048
	s_or_b32 exec_lo, exec_lo, s0
	s_and_saveexec_b32 s0, s11
	s_cbranch_execz .LBB145_65
.LBB145_81:
	s_waitcnt lgkmcnt(6)
	v_add_co_u32 v14, vcc_lo, 0x5000, v2
	v_add_co_ci_u32_e32 v15, vcc_lo, 0, v3, vcc_lo
	s_waitcnt lgkmcnt(5)
	global_store_b64 v[14:15], v[12:13], off
	s_or_b32 exec_lo, exec_lo, s0
	s_and_saveexec_b32 s0, s12
	s_cbranch_execz .LBB145_66
.LBB145_82:
	s_waitcnt lgkmcnt(5)
	v_add_co_u32 v12, vcc_lo, 0x5000, v2
	v_add_co_ci_u32_e32 v13, vcc_lo, 0, v3, vcc_lo
	s_waitcnt lgkmcnt(4)
	global_store_b64 v[12:13], v[10:11], off offset:2048
	s_or_b32 exec_lo, exec_lo, s0
	s_and_saveexec_b32 s0, s13
	s_cbranch_execz .LBB145_67
.LBB145_83:
	s_waitcnt lgkmcnt(4)
	v_add_co_u32 v10, vcc_lo, 0x6000, v2
	v_add_co_ci_u32_e32 v11, vcc_lo, 0, v3, vcc_lo
	s_waitcnt lgkmcnt(3)
	global_store_b64 v[10:11], v[8:9], off
	s_or_b32 exec_lo, exec_lo, s0
	s_and_saveexec_b32 s0, s14
	s_cbranch_execz .LBB145_68
.LBB145_84:
	s_waitcnt lgkmcnt(3)
	v_add_co_u32 v8, vcc_lo, 0x6000, v2
	v_add_co_ci_u32_e32 v9, vcc_lo, 0, v3, vcc_lo
	s_waitcnt lgkmcnt(2)
	global_store_b64 v[8:9], v[6:7], off offset:2048
	s_or_b32 exec_lo, exec_lo, s0
	s_and_saveexec_b32 s0, s15
	s_cbranch_execz .LBB145_69
.LBB145_85:
	s_waitcnt lgkmcnt(2)
	v_add_co_u32 v6, vcc_lo, 0x7000, v2
	v_add_co_ci_u32_e32 v7, vcc_lo, 0, v3, vcc_lo
	s_waitcnt lgkmcnt(1)
	global_store_b64 v[6:7], v[4:5], off
	s_or_b32 exec_lo, exec_lo, s0
	s_and_saveexec_b32 s0, s16
	s_cbranch_execz .LBB145_70
.LBB145_86:
	v_add_co_u32 v2, vcc_lo, 0x7000, v2
	v_add_co_ci_u32_e32 v3, vcc_lo, 0, v3, vcc_lo
	s_waitcnt lgkmcnt(0)
	global_store_b64 v[2:3], v[0:1], off offset:2048
	s_nop 0
	s_sendmsg sendmsg(MSG_DEALLOC_VGPRS)
	s_endpgm
	.section	.rodata,"a",@progbits
	.p2align	6, 0x0
	.amdhsa_kernel _ZN7rocprim6detail18single_scan_kernelILb1ENS0_19wrapped_scan_configINS_14default_configEdEEN6hipcub22TransformInputIteratorIiNS5_6CastOpIiEEPilEEPdNS5_3SumENS_12future_valueIdSB_EEdEEvT1_mT4_T2_T3_
		.amdhsa_group_segment_fixed_size 33792
		.amdhsa_private_segment_fixed_size 0
		.amdhsa_kernarg_size 44
		.amdhsa_user_sgpr_count 15
		.amdhsa_user_sgpr_dispatch_ptr 0
		.amdhsa_user_sgpr_queue_ptr 0
		.amdhsa_user_sgpr_kernarg_segment_ptr 1
		.amdhsa_user_sgpr_dispatch_id 0
		.amdhsa_user_sgpr_private_segment_size 0
		.amdhsa_wavefront_size32 1
		.amdhsa_uses_dynamic_stack 0
		.amdhsa_enable_private_segment 0
		.amdhsa_system_sgpr_workgroup_id_x 1
		.amdhsa_system_sgpr_workgroup_id_y 0
		.amdhsa_system_sgpr_workgroup_id_z 0
		.amdhsa_system_sgpr_workgroup_info 0
		.amdhsa_system_vgpr_workitem_id 0
		.amdhsa_next_free_vgpr 58
		.amdhsa_next_free_sgpr 24
		.amdhsa_reserve_vcc 1
		.amdhsa_float_round_mode_32 0
		.amdhsa_float_round_mode_16_64 0
		.amdhsa_float_denorm_mode_32 3
		.amdhsa_float_denorm_mode_16_64 3
		.amdhsa_dx10_clamp 1
		.amdhsa_ieee_mode 1
		.amdhsa_fp16_overflow 0
		.amdhsa_workgroup_processor_mode 1
		.amdhsa_memory_ordered 1
		.amdhsa_forward_progress 0
		.amdhsa_shared_vgpr_count 0
		.amdhsa_exception_fp_ieee_invalid_op 0
		.amdhsa_exception_fp_denorm_src 0
		.amdhsa_exception_fp_ieee_div_zero 0
		.amdhsa_exception_fp_ieee_overflow 0
		.amdhsa_exception_fp_ieee_underflow 0
		.amdhsa_exception_fp_ieee_inexact 0
		.amdhsa_exception_int_div_zero 0
	.end_amdhsa_kernel
	.section	.text._ZN7rocprim6detail18single_scan_kernelILb1ENS0_19wrapped_scan_configINS_14default_configEdEEN6hipcub22TransformInputIteratorIiNS5_6CastOpIiEEPilEEPdNS5_3SumENS_12future_valueIdSB_EEdEEvT1_mT4_T2_T3_,"axG",@progbits,_ZN7rocprim6detail18single_scan_kernelILb1ENS0_19wrapped_scan_configINS_14default_configEdEEN6hipcub22TransformInputIteratorIiNS5_6CastOpIiEEPilEEPdNS5_3SumENS_12future_valueIdSB_EEdEEvT1_mT4_T2_T3_,comdat
.Lfunc_end145:
	.size	_ZN7rocprim6detail18single_scan_kernelILb1ENS0_19wrapped_scan_configINS_14default_configEdEEN6hipcub22TransformInputIteratorIiNS5_6CastOpIiEEPilEEPdNS5_3SumENS_12future_valueIdSB_EEdEEvT1_mT4_T2_T3_, .Lfunc_end145-_ZN7rocprim6detail18single_scan_kernelILb1ENS0_19wrapped_scan_configINS_14default_configEdEEN6hipcub22TransformInputIteratorIiNS5_6CastOpIiEEPilEEPdNS5_3SumENS_12future_valueIdSB_EEdEEvT1_mT4_T2_T3_
                                        ; -- End function
	.section	.AMDGPU.csdata,"",@progbits
; Kernel info:
; codeLenInByte = 3812
; NumSgprs: 26
; NumVgprs: 58
; ScratchSize: 0
; MemoryBound: 0
; FloatMode: 240
; IeeeMode: 1
; LDSByteSize: 33792 bytes/workgroup (compile time only)
; SGPRBlocks: 3
; VGPRBlocks: 7
; NumSGPRsForWavesPerEU: 26
; NumVGPRsForWavesPerEU: 58
; Occupancy: 6
; WaveLimiterHint : 0
; COMPUTE_PGM_RSRC2:SCRATCH_EN: 0
; COMPUTE_PGM_RSRC2:USER_SGPR: 15
; COMPUTE_PGM_RSRC2:TRAP_HANDLER: 0
; COMPUTE_PGM_RSRC2:TGID_X_EN: 1
; COMPUTE_PGM_RSRC2:TGID_Y_EN: 0
; COMPUTE_PGM_RSRC2:TGID_Z_EN: 0
; COMPUTE_PGM_RSRC2:TIDIG_COMP_CNT: 0
	.section	.text._ZL18fill_initial_valueIdEvPT_S0_,"axG",@progbits,_ZL18fill_initial_valueIdEvPT_S0_,comdat
	.globl	_ZL18fill_initial_valueIdEvPT_S0_ ; -- Begin function _ZL18fill_initial_valueIdEvPT_S0_
	.p2align	8
	.type	_ZL18fill_initial_valueIdEvPT_S0_,@function
_ZL18fill_initial_valueIdEvPT_S0_:      ; @_ZL18fill_initial_valueIdEvPT_S0_
; %bb.0:
	s_load_b128 s[0:3], s[0:1], 0x0
	s_waitcnt lgkmcnt(0)
	v_dual_mov_b32 v2, 0 :: v_dual_mov_b32 v1, s3
	v_mov_b32_e32 v0, s2
	global_store_b64 v2, v[0:1], s[0:1]
	s_nop 0
	s_sendmsg sendmsg(MSG_DEALLOC_VGPRS)
	s_endpgm
	.section	.rodata,"a",@progbits
	.p2align	6, 0x0
	.amdhsa_kernel _ZL18fill_initial_valueIdEvPT_S0_
		.amdhsa_group_segment_fixed_size 0
		.amdhsa_private_segment_fixed_size 0
		.amdhsa_kernarg_size 16
		.amdhsa_user_sgpr_count 15
		.amdhsa_user_sgpr_dispatch_ptr 0
		.amdhsa_user_sgpr_queue_ptr 0
		.amdhsa_user_sgpr_kernarg_segment_ptr 1
		.amdhsa_user_sgpr_dispatch_id 0
		.amdhsa_user_sgpr_private_segment_size 0
		.amdhsa_wavefront_size32 1
		.amdhsa_uses_dynamic_stack 0
		.amdhsa_enable_private_segment 0
		.amdhsa_system_sgpr_workgroup_id_x 1
		.amdhsa_system_sgpr_workgroup_id_y 0
		.amdhsa_system_sgpr_workgroup_id_z 0
		.amdhsa_system_sgpr_workgroup_info 0
		.amdhsa_system_vgpr_workitem_id 0
		.amdhsa_next_free_vgpr 3
		.amdhsa_next_free_sgpr 4
		.amdhsa_reserve_vcc 0
		.amdhsa_float_round_mode_32 0
		.amdhsa_float_round_mode_16_64 0
		.amdhsa_float_denorm_mode_32 3
		.amdhsa_float_denorm_mode_16_64 3
		.amdhsa_dx10_clamp 1
		.amdhsa_ieee_mode 1
		.amdhsa_fp16_overflow 0
		.amdhsa_workgroup_processor_mode 1
		.amdhsa_memory_ordered 1
		.amdhsa_forward_progress 0
		.amdhsa_shared_vgpr_count 0
		.amdhsa_exception_fp_ieee_invalid_op 0
		.amdhsa_exception_fp_denorm_src 0
		.amdhsa_exception_fp_ieee_div_zero 0
		.amdhsa_exception_fp_ieee_overflow 0
		.amdhsa_exception_fp_ieee_underflow 0
		.amdhsa_exception_fp_ieee_inexact 0
		.amdhsa_exception_int_div_zero 0
	.end_amdhsa_kernel
	.section	.text._ZL18fill_initial_valueIdEvPT_S0_,"axG",@progbits,_ZL18fill_initial_valueIdEvPT_S0_,comdat
.Lfunc_end146:
	.size	_ZL18fill_initial_valueIdEvPT_S0_, .Lfunc_end146-_ZL18fill_initial_valueIdEvPT_S0_
                                        ; -- End function
	.section	.AMDGPU.csdata,"",@progbits
; Kernel info:
; codeLenInByte = 44
; NumSgprs: 4
; NumVgprs: 3
; ScratchSize: 0
; MemoryBound: 0
; FloatMode: 240
; IeeeMode: 1
; LDSByteSize: 0 bytes/workgroup (compile time only)
; SGPRBlocks: 0
; VGPRBlocks: 0
; NumSGPRsForWavesPerEU: 4
; NumVGPRsForWavesPerEU: 3
; Occupancy: 16
; WaveLimiterHint : 0
; COMPUTE_PGM_RSRC2:SCRATCH_EN: 0
; COMPUTE_PGM_RSRC2:USER_SGPR: 15
; COMPUTE_PGM_RSRC2:TRAP_HANDLER: 0
; COMPUTE_PGM_RSRC2:TGID_X_EN: 1
; COMPUTE_PGM_RSRC2:TGID_Y_EN: 0
; COMPUTE_PGM_RSRC2:TGID_Z_EN: 0
; COMPUTE_PGM_RSRC2:TIDIG_COMP_CNT: 0
	.section	.text._ZN7rocprim6detail31init_lookback_scan_state_kernelINS0_19lookback_scan_stateIfLb1ELb1EEEEEvT_jjPNS4_10value_typeE,"axG",@progbits,_ZN7rocprim6detail31init_lookback_scan_state_kernelINS0_19lookback_scan_stateIfLb1ELb1EEEEEvT_jjPNS4_10value_typeE,comdat
	.protected	_ZN7rocprim6detail31init_lookback_scan_state_kernelINS0_19lookback_scan_stateIfLb1ELb1EEEEEvT_jjPNS4_10value_typeE ; -- Begin function _ZN7rocprim6detail31init_lookback_scan_state_kernelINS0_19lookback_scan_stateIfLb1ELb1EEEEEvT_jjPNS4_10value_typeE
	.globl	_ZN7rocprim6detail31init_lookback_scan_state_kernelINS0_19lookback_scan_stateIfLb1ELb1EEEEEvT_jjPNS4_10value_typeE
	.p2align	8
	.type	_ZN7rocprim6detail31init_lookback_scan_state_kernelINS0_19lookback_scan_stateIfLb1ELb1EEEEEvT_jjPNS4_10value_typeE,@function
_ZN7rocprim6detail31init_lookback_scan_state_kernelINS0_19lookback_scan_stateIfLb1ELb1EEEEEvT_jjPNS4_10value_typeE: ; @_ZN7rocprim6detail31init_lookback_scan_state_kernelINS0_19lookback_scan_stateIfLb1ELb1EEEEEvT_jjPNS4_10value_typeE
; %bb.0:
	s_clause 0x2
	s_load_b32 s6, s[0:1], 0x24
	s_load_b64 s[4:5], s[0:1], 0x10
	s_load_b128 s[0:3], s[0:1], 0x0
	s_waitcnt lgkmcnt(0)
	s_and_b32 s6, s6, 0xffff
	s_cmp_eq_u64 s[4:5], 0
	v_mad_u64_u32 v[1:2], null, s15, s6, v[0:1]
	s_cbranch_scc1 .LBB147_9
; %bb.1:
	s_cmp_lt_u32 s3, s2
	s_mov_b32 s7, 0
	s_cselect_b32 s6, s3, 0
	s_mov_b32 s8, exec_lo
	s_delay_alu instid0(VALU_DEP_1)
	v_cmpx_eq_u32_e64 s6, v1
	s_cbranch_execz .LBB147_8
; %bb.2:
	s_add_i32 s6, s3, 32
	v_mov_b32_e32 v2, 0
	s_lshl_b64 s[6:7], s[6:7], 3
	s_delay_alu instid0(SALU_CYCLE_1) | instskip(SKIP_4) | instid1(VALU_DEP_1)
	s_add_u32 s6, s0, s6
	s_addc_u32 s7, s1, s7
	global_load_b64 v[4:5], v2, s[6:7] glc
	s_waitcnt vmcnt(0)
	v_and_b32_e32 v3, 0xff, v5
	v_cmp_ne_u64_e32 vcc_lo, 0, v[2:3]
	s_cbranch_vccnz .LBB147_7
; %bb.3:
	s_mov_b32 s3, 1
.LBB147_4:                              ; =>This Loop Header: Depth=1
                                        ;     Child Loop BB147_5 Depth 2
	s_delay_alu instid0(SALU_CYCLE_1)
	s_max_u32 s9, s3, 1
.LBB147_5:                              ;   Parent Loop BB147_4 Depth=1
                                        ; =>  This Inner Loop Header: Depth=2
	s_delay_alu instid0(SALU_CYCLE_1)
	s_add_i32 s9, s9, -1
	s_sleep 1
	s_cmp_eq_u32 s9, 0
	s_cbranch_scc0 .LBB147_5
; %bb.6:                                ;   in Loop: Header=BB147_4 Depth=1
	global_load_b64 v[4:5], v2, s[6:7] glc
	s_cmp_lt_u32 s3, 32
	s_cselect_b32 s9, -1, 0
	s_delay_alu instid0(SALU_CYCLE_1) | instskip(SKIP_3) | instid1(VALU_DEP_1)
	s_cmp_lg_u32 s9, 0
	s_addc_u32 s3, s3, 0
	s_waitcnt vmcnt(0)
	v_and_b32_e32 v3, 0xff, v5
	v_cmp_ne_u64_e32 vcc_lo, 0, v[2:3]
	s_cbranch_vccz .LBB147_4
.LBB147_7:
	v_mov_b32_e32 v0, 0
	global_store_b32 v0, v4, s[4:5]
.LBB147_8:
	s_or_b32 exec_lo, exec_lo, s8
.LBB147_9:
	s_delay_alu instid0(VALU_DEP_1)
	v_cmp_gt_u32_e32 vcc_lo, s2, v1
	s_and_saveexec_b32 s2, vcc_lo
	s_cbranch_execz .LBB147_11
; %bb.10:
	v_dual_mov_b32 v3, 0 :: v_dual_add_nc_u32 v2, 32, v1
	s_delay_alu instid0(VALU_DEP_1) | instskip(SKIP_1) | instid1(VALU_DEP_2)
	v_lshlrev_b64 v[4:5], 3, v[2:3]
	v_mov_b32_e32 v2, v3
	v_add_co_u32 v4, vcc_lo, s0, v4
	s_delay_alu instid0(VALU_DEP_3)
	v_add_co_ci_u32_e32 v5, vcc_lo, s1, v5, vcc_lo
	global_store_b64 v[4:5], v[2:3], off
.LBB147_11:
	s_or_b32 exec_lo, exec_lo, s2
	s_delay_alu instid0(SALU_CYCLE_1)
	s_mov_b32 s2, exec_lo
	v_cmpx_gt_u32_e32 32, v1
	s_cbranch_execz .LBB147_13
; %bb.12:
	v_dual_mov_b32 v2, 0 :: v_dual_mov_b32 v3, 0xff
	s_delay_alu instid0(VALU_DEP_1) | instskip(NEXT) | instid1(VALU_DEP_1)
	v_lshlrev_b64 v[0:1], 3, v[1:2]
	v_add_co_u32 v0, vcc_lo, s0, v0
	s_delay_alu instid0(VALU_DEP_2)
	v_add_co_ci_u32_e32 v1, vcc_lo, s1, v1, vcc_lo
	global_store_b64 v[0:1], v[2:3], off
.LBB147_13:
	s_nop 0
	s_sendmsg sendmsg(MSG_DEALLOC_VGPRS)
	s_endpgm
	.section	.rodata,"a",@progbits
	.p2align	6, 0x0
	.amdhsa_kernel _ZN7rocprim6detail31init_lookback_scan_state_kernelINS0_19lookback_scan_stateIfLb1ELb1EEEEEvT_jjPNS4_10value_typeE
		.amdhsa_group_segment_fixed_size 0
		.amdhsa_private_segment_fixed_size 0
		.amdhsa_kernarg_size 280
		.amdhsa_user_sgpr_count 15
		.amdhsa_user_sgpr_dispatch_ptr 0
		.amdhsa_user_sgpr_queue_ptr 0
		.amdhsa_user_sgpr_kernarg_segment_ptr 1
		.amdhsa_user_sgpr_dispatch_id 0
		.amdhsa_user_sgpr_private_segment_size 0
		.amdhsa_wavefront_size32 1
		.amdhsa_uses_dynamic_stack 0
		.amdhsa_enable_private_segment 0
		.amdhsa_system_sgpr_workgroup_id_x 1
		.amdhsa_system_sgpr_workgroup_id_y 0
		.amdhsa_system_sgpr_workgroup_id_z 0
		.amdhsa_system_sgpr_workgroup_info 0
		.amdhsa_system_vgpr_workitem_id 0
		.amdhsa_next_free_vgpr 6
		.amdhsa_next_free_sgpr 16
		.amdhsa_reserve_vcc 1
		.amdhsa_float_round_mode_32 0
		.amdhsa_float_round_mode_16_64 0
		.amdhsa_float_denorm_mode_32 3
		.amdhsa_float_denorm_mode_16_64 3
		.amdhsa_dx10_clamp 1
		.amdhsa_ieee_mode 1
		.amdhsa_fp16_overflow 0
		.amdhsa_workgroup_processor_mode 1
		.amdhsa_memory_ordered 1
		.amdhsa_forward_progress 0
		.amdhsa_shared_vgpr_count 0
		.amdhsa_exception_fp_ieee_invalid_op 0
		.amdhsa_exception_fp_denorm_src 0
		.amdhsa_exception_fp_ieee_div_zero 0
		.amdhsa_exception_fp_ieee_overflow 0
		.amdhsa_exception_fp_ieee_underflow 0
		.amdhsa_exception_fp_ieee_inexact 0
		.amdhsa_exception_int_div_zero 0
	.end_amdhsa_kernel
	.section	.text._ZN7rocprim6detail31init_lookback_scan_state_kernelINS0_19lookback_scan_stateIfLb1ELb1EEEEEvT_jjPNS4_10value_typeE,"axG",@progbits,_ZN7rocprim6detail31init_lookback_scan_state_kernelINS0_19lookback_scan_stateIfLb1ELb1EEEEEvT_jjPNS4_10value_typeE,comdat
.Lfunc_end147:
	.size	_ZN7rocprim6detail31init_lookback_scan_state_kernelINS0_19lookback_scan_stateIfLb1ELb1EEEEEvT_jjPNS4_10value_typeE, .Lfunc_end147-_ZN7rocprim6detail31init_lookback_scan_state_kernelINS0_19lookback_scan_stateIfLb1ELb1EEEEEvT_jjPNS4_10value_typeE
                                        ; -- End function
	.section	.AMDGPU.csdata,"",@progbits
; Kernel info:
; codeLenInByte = 380
; NumSgprs: 18
; NumVgprs: 6
; ScratchSize: 0
; MemoryBound: 0
; FloatMode: 240
; IeeeMode: 1
; LDSByteSize: 0 bytes/workgroup (compile time only)
; SGPRBlocks: 2
; VGPRBlocks: 0
; NumSGPRsForWavesPerEU: 18
; NumVGPRsForWavesPerEU: 6
; Occupancy: 16
; WaveLimiterHint : 0
; COMPUTE_PGM_RSRC2:SCRATCH_EN: 0
; COMPUTE_PGM_RSRC2:USER_SGPR: 15
; COMPUTE_PGM_RSRC2:TRAP_HANDLER: 0
; COMPUTE_PGM_RSRC2:TGID_X_EN: 1
; COMPUTE_PGM_RSRC2:TGID_Y_EN: 0
; COMPUTE_PGM_RSRC2:TGID_Z_EN: 0
; COMPUTE_PGM_RSRC2:TIDIG_COMP_CNT: 0
	.section	.text._ZN7rocprim6detail31init_lookback_scan_state_kernelINS0_19lookback_scan_stateIfLb0ELb1EEEEEvT_jjPNS4_10value_typeE,"axG",@progbits,_ZN7rocprim6detail31init_lookback_scan_state_kernelINS0_19lookback_scan_stateIfLb0ELb1EEEEEvT_jjPNS4_10value_typeE,comdat
	.protected	_ZN7rocprim6detail31init_lookback_scan_state_kernelINS0_19lookback_scan_stateIfLb0ELb1EEEEEvT_jjPNS4_10value_typeE ; -- Begin function _ZN7rocprim6detail31init_lookback_scan_state_kernelINS0_19lookback_scan_stateIfLb0ELb1EEEEEvT_jjPNS4_10value_typeE
	.globl	_ZN7rocprim6detail31init_lookback_scan_state_kernelINS0_19lookback_scan_stateIfLb0ELb1EEEEEvT_jjPNS4_10value_typeE
	.p2align	8
	.type	_ZN7rocprim6detail31init_lookback_scan_state_kernelINS0_19lookback_scan_stateIfLb0ELb1EEEEEvT_jjPNS4_10value_typeE,@function
_ZN7rocprim6detail31init_lookback_scan_state_kernelINS0_19lookback_scan_stateIfLb0ELb1EEEEEvT_jjPNS4_10value_typeE: ; @_ZN7rocprim6detail31init_lookback_scan_state_kernelINS0_19lookback_scan_stateIfLb0ELb1EEEEEvT_jjPNS4_10value_typeE
; %bb.0:
	s_clause 0x2
	s_load_b32 s6, s[0:1], 0x24
	s_load_b64 s[4:5], s[0:1], 0x10
	s_load_b128 s[0:3], s[0:1], 0x0
	s_waitcnt lgkmcnt(0)
	s_and_b32 s6, s6, 0xffff
	s_cmp_eq_u64 s[4:5], 0
	v_mad_u64_u32 v[1:2], null, s15, s6, v[0:1]
	s_cbranch_scc1 .LBB148_6
; %bb.1:
	s_cmp_lt_u32 s3, s2
	s_mov_b32 s7, 0
	s_cselect_b32 s6, s3, 0
	s_mov_b32 s8, exec_lo
	s_delay_alu instid0(VALU_DEP_1)
	v_cmpx_eq_u32_e64 s6, v1
	s_cbranch_execz .LBB148_5
; %bb.2:
	s_add_i32 s6, s3, 32
	v_mov_b32_e32 v4, 0
	s_lshl_b64 s[6:7], s[6:7], 3
	s_delay_alu instid0(SALU_CYCLE_1) | instskip(SKIP_4) | instid1(VALU_DEP_1)
	s_add_u32 s6, s0, s6
	s_addc_u32 s7, s1, s7
	global_load_b64 v[2:3], v4, s[6:7] glc
	s_waitcnt vmcnt(0)
	v_and_b32_e32 v5, 0xff, v3
	v_cmp_ne_u64_e32 vcc_lo, 0, v[4:5]
	s_cbranch_vccnz .LBB148_4
.LBB148_3:                              ; =>This Inner Loop Header: Depth=1
	global_load_b64 v[2:3], v4, s[6:7] glc
	s_waitcnt vmcnt(0)
	v_and_b32_e32 v5, 0xff, v3
	s_delay_alu instid0(VALU_DEP_1)
	v_cmp_eq_u64_e32 vcc_lo, 0, v[4:5]
	s_cbranch_vccnz .LBB148_3
.LBB148_4:
	v_mov_b32_e32 v0, 0
	global_store_b32 v0, v2, s[4:5]
.LBB148_5:
	s_or_b32 exec_lo, exec_lo, s8
.LBB148_6:
	s_delay_alu instid0(VALU_DEP_1)
	v_cmp_gt_u32_e32 vcc_lo, s2, v1
	s_and_saveexec_b32 s2, vcc_lo
	s_cbranch_execz .LBB148_8
; %bb.7:
	v_dual_mov_b32 v3, 0 :: v_dual_add_nc_u32 v2, 32, v1
	s_delay_alu instid0(VALU_DEP_1) | instskip(SKIP_1) | instid1(VALU_DEP_2)
	v_lshlrev_b64 v[4:5], 3, v[2:3]
	v_mov_b32_e32 v2, v3
	v_add_co_u32 v4, vcc_lo, s0, v4
	s_delay_alu instid0(VALU_DEP_3)
	v_add_co_ci_u32_e32 v5, vcc_lo, s1, v5, vcc_lo
	global_store_b64 v[4:5], v[2:3], off
.LBB148_8:
	s_or_b32 exec_lo, exec_lo, s2
	s_delay_alu instid0(SALU_CYCLE_1)
	s_mov_b32 s2, exec_lo
	v_cmpx_gt_u32_e32 32, v1
	s_cbranch_execz .LBB148_10
; %bb.9:
	v_dual_mov_b32 v2, 0 :: v_dual_mov_b32 v3, 0xff
	s_delay_alu instid0(VALU_DEP_1) | instskip(NEXT) | instid1(VALU_DEP_1)
	v_lshlrev_b64 v[0:1], 3, v[1:2]
	v_add_co_u32 v0, vcc_lo, s0, v0
	s_delay_alu instid0(VALU_DEP_2)
	v_add_co_ci_u32_e32 v1, vcc_lo, s1, v1, vcc_lo
	global_store_b64 v[0:1], v[2:3], off
.LBB148_10:
	s_nop 0
	s_sendmsg sendmsg(MSG_DEALLOC_VGPRS)
	s_endpgm
	.section	.rodata,"a",@progbits
	.p2align	6, 0x0
	.amdhsa_kernel _ZN7rocprim6detail31init_lookback_scan_state_kernelINS0_19lookback_scan_stateIfLb0ELb1EEEEEvT_jjPNS4_10value_typeE
		.amdhsa_group_segment_fixed_size 0
		.amdhsa_private_segment_fixed_size 0
		.amdhsa_kernarg_size 280
		.amdhsa_user_sgpr_count 15
		.amdhsa_user_sgpr_dispatch_ptr 0
		.amdhsa_user_sgpr_queue_ptr 0
		.amdhsa_user_sgpr_kernarg_segment_ptr 1
		.amdhsa_user_sgpr_dispatch_id 0
		.amdhsa_user_sgpr_private_segment_size 0
		.amdhsa_wavefront_size32 1
		.amdhsa_uses_dynamic_stack 0
		.amdhsa_enable_private_segment 0
		.amdhsa_system_sgpr_workgroup_id_x 1
		.amdhsa_system_sgpr_workgroup_id_y 0
		.amdhsa_system_sgpr_workgroup_id_z 0
		.amdhsa_system_sgpr_workgroup_info 0
		.amdhsa_system_vgpr_workitem_id 0
		.amdhsa_next_free_vgpr 6
		.amdhsa_next_free_sgpr 16
		.amdhsa_reserve_vcc 1
		.amdhsa_float_round_mode_32 0
		.amdhsa_float_round_mode_16_64 0
		.amdhsa_float_denorm_mode_32 3
		.amdhsa_float_denorm_mode_16_64 3
		.amdhsa_dx10_clamp 1
		.amdhsa_ieee_mode 1
		.amdhsa_fp16_overflow 0
		.amdhsa_workgroup_processor_mode 1
		.amdhsa_memory_ordered 1
		.amdhsa_forward_progress 0
		.amdhsa_shared_vgpr_count 0
		.amdhsa_exception_fp_ieee_invalid_op 0
		.amdhsa_exception_fp_denorm_src 0
		.amdhsa_exception_fp_ieee_div_zero 0
		.amdhsa_exception_fp_ieee_overflow 0
		.amdhsa_exception_fp_ieee_underflow 0
		.amdhsa_exception_fp_ieee_inexact 0
		.amdhsa_exception_int_div_zero 0
	.end_amdhsa_kernel
	.section	.text._ZN7rocprim6detail31init_lookback_scan_state_kernelINS0_19lookback_scan_stateIfLb0ELb1EEEEEvT_jjPNS4_10value_typeE,"axG",@progbits,_ZN7rocprim6detail31init_lookback_scan_state_kernelINS0_19lookback_scan_stateIfLb0ELb1EEEEEvT_jjPNS4_10value_typeE,comdat
.Lfunc_end148:
	.size	_ZN7rocprim6detail31init_lookback_scan_state_kernelINS0_19lookback_scan_stateIfLb0ELb1EEEEEvT_jjPNS4_10value_typeE, .Lfunc_end148-_ZN7rocprim6detail31init_lookback_scan_state_kernelINS0_19lookback_scan_stateIfLb0ELb1EEEEEvT_jjPNS4_10value_typeE
                                        ; -- End function
	.section	.AMDGPU.csdata,"",@progbits
; Kernel info:
; codeLenInByte = 332
; NumSgprs: 18
; NumVgprs: 6
; ScratchSize: 0
; MemoryBound: 0
; FloatMode: 240
; IeeeMode: 1
; LDSByteSize: 0 bytes/workgroup (compile time only)
; SGPRBlocks: 2
; VGPRBlocks: 0
; NumSGPRsForWavesPerEU: 18
; NumVGPRsForWavesPerEU: 6
; Occupancy: 16
; WaveLimiterHint : 0
; COMPUTE_PGM_RSRC2:SCRATCH_EN: 0
; COMPUTE_PGM_RSRC2:USER_SGPR: 15
; COMPUTE_PGM_RSRC2:TRAP_HANDLER: 0
; COMPUTE_PGM_RSRC2:TGID_X_EN: 1
; COMPUTE_PGM_RSRC2:TGID_Y_EN: 0
; COMPUTE_PGM_RSRC2:TGID_Z_EN: 0
; COMPUTE_PGM_RSRC2:TIDIG_COMP_CNT: 0
	.section	.text._ZN7rocprim6detail20lookback_scan_kernelILNS0_25lookback_scan_determinismE0ELb1ENS0_19wrapped_scan_configINS_14default_configEfEEN6hipcub22TransformInputIteratorIsNS6_6CastOpIsEEPslEEPfNS6_3MaxENS_12future_valueIfSC_EEfNS0_19lookback_scan_stateIfLb1ELb1EEEEEvT2_T3_mT5_T4_T7_jPT6_SO_bb,"axG",@progbits,_ZN7rocprim6detail20lookback_scan_kernelILNS0_25lookback_scan_determinismE0ELb1ENS0_19wrapped_scan_configINS_14default_configEfEEN6hipcub22TransformInputIteratorIsNS6_6CastOpIsEEPslEEPfNS6_3MaxENS_12future_valueIfSC_EEfNS0_19lookback_scan_stateIfLb1ELb1EEEEEvT2_T3_mT5_T4_T7_jPT6_SO_bb,comdat
	.protected	_ZN7rocprim6detail20lookback_scan_kernelILNS0_25lookback_scan_determinismE0ELb1ENS0_19wrapped_scan_configINS_14default_configEfEEN6hipcub22TransformInputIteratorIsNS6_6CastOpIsEEPslEEPfNS6_3MaxENS_12future_valueIfSC_EEfNS0_19lookback_scan_stateIfLb1ELb1EEEEEvT2_T3_mT5_T4_T7_jPT6_SO_bb ; -- Begin function _ZN7rocprim6detail20lookback_scan_kernelILNS0_25lookback_scan_determinismE0ELb1ENS0_19wrapped_scan_configINS_14default_configEfEEN6hipcub22TransformInputIteratorIsNS6_6CastOpIsEEPslEEPfNS6_3MaxENS_12future_valueIfSC_EEfNS0_19lookback_scan_stateIfLb1ELb1EEEEEvT2_T3_mT5_T4_T7_jPT6_SO_bb
	.globl	_ZN7rocprim6detail20lookback_scan_kernelILNS0_25lookback_scan_determinismE0ELb1ENS0_19wrapped_scan_configINS_14default_configEfEEN6hipcub22TransformInputIteratorIsNS6_6CastOpIsEEPslEEPfNS6_3MaxENS_12future_valueIfSC_EEfNS0_19lookback_scan_stateIfLb1ELb1EEEEEvT2_T3_mT5_T4_T7_jPT6_SO_bb
	.p2align	8
	.type	_ZN7rocprim6detail20lookback_scan_kernelILNS0_25lookback_scan_determinismE0ELb1ENS0_19wrapped_scan_configINS_14default_configEfEEN6hipcub22TransformInputIteratorIsNS6_6CastOpIsEEPslEEPfNS6_3MaxENS_12future_valueIfSC_EEfNS0_19lookback_scan_stateIfLb1ELb1EEEEEvT2_T3_mT5_T4_T7_jPT6_SO_bb,@function
_ZN7rocprim6detail20lookback_scan_kernelILNS0_25lookback_scan_determinismE0ELb1ENS0_19wrapped_scan_configINS_14default_configEfEEN6hipcub22TransformInputIteratorIsNS6_6CastOpIsEEPslEEPfNS6_3MaxENS_12future_valueIfSC_EEfNS0_19lookback_scan_stateIfLb1ELb1EEEEEvT2_T3_mT5_T4_T7_jPT6_SO_bb: ; @_ZN7rocprim6detail20lookback_scan_kernelILNS0_25lookback_scan_determinismE0ELb1ENS0_19wrapped_scan_configINS_14default_configEfEEN6hipcub22TransformInputIteratorIsNS6_6CastOpIsEEPslEEPfNS6_3MaxENS_12future_valueIfSC_EEfNS0_19lookback_scan_stateIfLb1ELb1EEEEEvT2_T3_mT5_T4_T7_jPT6_SO_bb
; %bb.0:
	s_endpgm
	.section	.rodata,"a",@progbits
	.p2align	6, 0x0
	.amdhsa_kernel _ZN7rocprim6detail20lookback_scan_kernelILNS0_25lookback_scan_determinismE0ELb1ENS0_19wrapped_scan_configINS_14default_configEfEEN6hipcub22TransformInputIteratorIsNS6_6CastOpIsEEPslEEPfNS6_3MaxENS_12future_valueIfSC_EEfNS0_19lookback_scan_stateIfLb1ELb1EEEEEvT2_T3_mT5_T4_T7_jPT6_SO_bb
		.amdhsa_group_segment_fixed_size 0
		.amdhsa_private_segment_fixed_size 0
		.amdhsa_kernarg_size 84
		.amdhsa_user_sgpr_count 15
		.amdhsa_user_sgpr_dispatch_ptr 0
		.amdhsa_user_sgpr_queue_ptr 0
		.amdhsa_user_sgpr_kernarg_segment_ptr 1
		.amdhsa_user_sgpr_dispatch_id 0
		.amdhsa_user_sgpr_private_segment_size 0
		.amdhsa_wavefront_size32 1
		.amdhsa_uses_dynamic_stack 0
		.amdhsa_enable_private_segment 0
		.amdhsa_system_sgpr_workgroup_id_x 1
		.amdhsa_system_sgpr_workgroup_id_y 0
		.amdhsa_system_sgpr_workgroup_id_z 0
		.amdhsa_system_sgpr_workgroup_info 0
		.amdhsa_system_vgpr_workitem_id 0
		.amdhsa_next_free_vgpr 1
		.amdhsa_next_free_sgpr 1
		.amdhsa_reserve_vcc 0
		.amdhsa_float_round_mode_32 0
		.amdhsa_float_round_mode_16_64 0
		.amdhsa_float_denorm_mode_32 3
		.amdhsa_float_denorm_mode_16_64 3
		.amdhsa_dx10_clamp 1
		.amdhsa_ieee_mode 1
		.amdhsa_fp16_overflow 0
		.amdhsa_workgroup_processor_mode 1
		.amdhsa_memory_ordered 1
		.amdhsa_forward_progress 0
		.amdhsa_shared_vgpr_count 0
		.amdhsa_exception_fp_ieee_invalid_op 0
		.amdhsa_exception_fp_denorm_src 0
		.amdhsa_exception_fp_ieee_div_zero 0
		.amdhsa_exception_fp_ieee_overflow 0
		.amdhsa_exception_fp_ieee_underflow 0
		.amdhsa_exception_fp_ieee_inexact 0
		.amdhsa_exception_int_div_zero 0
	.end_amdhsa_kernel
	.section	.text._ZN7rocprim6detail20lookback_scan_kernelILNS0_25lookback_scan_determinismE0ELb1ENS0_19wrapped_scan_configINS_14default_configEfEEN6hipcub22TransformInputIteratorIsNS6_6CastOpIsEEPslEEPfNS6_3MaxENS_12future_valueIfSC_EEfNS0_19lookback_scan_stateIfLb1ELb1EEEEEvT2_T3_mT5_T4_T7_jPT6_SO_bb,"axG",@progbits,_ZN7rocprim6detail20lookback_scan_kernelILNS0_25lookback_scan_determinismE0ELb1ENS0_19wrapped_scan_configINS_14default_configEfEEN6hipcub22TransformInputIteratorIsNS6_6CastOpIsEEPslEEPfNS6_3MaxENS_12future_valueIfSC_EEfNS0_19lookback_scan_stateIfLb1ELb1EEEEEvT2_T3_mT5_T4_T7_jPT6_SO_bb,comdat
.Lfunc_end149:
	.size	_ZN7rocprim6detail20lookback_scan_kernelILNS0_25lookback_scan_determinismE0ELb1ENS0_19wrapped_scan_configINS_14default_configEfEEN6hipcub22TransformInputIteratorIsNS6_6CastOpIsEEPslEEPfNS6_3MaxENS_12future_valueIfSC_EEfNS0_19lookback_scan_stateIfLb1ELb1EEEEEvT2_T3_mT5_T4_T7_jPT6_SO_bb, .Lfunc_end149-_ZN7rocprim6detail20lookback_scan_kernelILNS0_25lookback_scan_determinismE0ELb1ENS0_19wrapped_scan_configINS_14default_configEfEEN6hipcub22TransformInputIteratorIsNS6_6CastOpIsEEPslEEPfNS6_3MaxENS_12future_valueIfSC_EEfNS0_19lookback_scan_stateIfLb1ELb1EEEEEvT2_T3_mT5_T4_T7_jPT6_SO_bb
                                        ; -- End function
	.section	.AMDGPU.csdata,"",@progbits
; Kernel info:
; codeLenInByte = 4
; NumSgprs: 0
; NumVgprs: 0
; ScratchSize: 0
; MemoryBound: 0
; FloatMode: 240
; IeeeMode: 1
; LDSByteSize: 0 bytes/workgroup (compile time only)
; SGPRBlocks: 0
; VGPRBlocks: 0
; NumSGPRsForWavesPerEU: 1
; NumVGPRsForWavesPerEU: 1
; Occupancy: 16
; WaveLimiterHint : 0
; COMPUTE_PGM_RSRC2:SCRATCH_EN: 0
; COMPUTE_PGM_RSRC2:USER_SGPR: 15
; COMPUTE_PGM_RSRC2:TRAP_HANDLER: 0
; COMPUTE_PGM_RSRC2:TGID_X_EN: 1
; COMPUTE_PGM_RSRC2:TGID_Y_EN: 0
; COMPUTE_PGM_RSRC2:TGID_Z_EN: 0
; COMPUTE_PGM_RSRC2:TIDIG_COMP_CNT: 0
	.section	.text._ZN7rocprim6detail20lookback_scan_kernelILNS0_25lookback_scan_determinismE0ELb1ENS0_19wrapped_scan_configINS_14default_configEfEEN6hipcub22TransformInputIteratorIsNS6_6CastOpIsEEPslEEPfNS6_3MaxENS_12future_valueIfSC_EEfNS0_19lookback_scan_stateIfLb0ELb1EEEEEvT2_T3_mT5_T4_T7_jPT6_SO_bb,"axG",@progbits,_ZN7rocprim6detail20lookback_scan_kernelILNS0_25lookback_scan_determinismE0ELb1ENS0_19wrapped_scan_configINS_14default_configEfEEN6hipcub22TransformInputIteratorIsNS6_6CastOpIsEEPslEEPfNS6_3MaxENS_12future_valueIfSC_EEfNS0_19lookback_scan_stateIfLb0ELb1EEEEEvT2_T3_mT5_T4_T7_jPT6_SO_bb,comdat
	.protected	_ZN7rocprim6detail20lookback_scan_kernelILNS0_25lookback_scan_determinismE0ELb1ENS0_19wrapped_scan_configINS_14default_configEfEEN6hipcub22TransformInputIteratorIsNS6_6CastOpIsEEPslEEPfNS6_3MaxENS_12future_valueIfSC_EEfNS0_19lookback_scan_stateIfLb0ELb1EEEEEvT2_T3_mT5_T4_T7_jPT6_SO_bb ; -- Begin function _ZN7rocprim6detail20lookback_scan_kernelILNS0_25lookback_scan_determinismE0ELb1ENS0_19wrapped_scan_configINS_14default_configEfEEN6hipcub22TransformInputIteratorIsNS6_6CastOpIsEEPslEEPfNS6_3MaxENS_12future_valueIfSC_EEfNS0_19lookback_scan_stateIfLb0ELb1EEEEEvT2_T3_mT5_T4_T7_jPT6_SO_bb
	.globl	_ZN7rocprim6detail20lookback_scan_kernelILNS0_25lookback_scan_determinismE0ELb1ENS0_19wrapped_scan_configINS_14default_configEfEEN6hipcub22TransformInputIteratorIsNS6_6CastOpIsEEPslEEPfNS6_3MaxENS_12future_valueIfSC_EEfNS0_19lookback_scan_stateIfLb0ELb1EEEEEvT2_T3_mT5_T4_T7_jPT6_SO_bb
	.p2align	8
	.type	_ZN7rocprim6detail20lookback_scan_kernelILNS0_25lookback_scan_determinismE0ELb1ENS0_19wrapped_scan_configINS_14default_configEfEEN6hipcub22TransformInputIteratorIsNS6_6CastOpIsEEPslEEPfNS6_3MaxENS_12future_valueIfSC_EEfNS0_19lookback_scan_stateIfLb0ELb1EEEEEvT2_T3_mT5_T4_T7_jPT6_SO_bb,@function
_ZN7rocprim6detail20lookback_scan_kernelILNS0_25lookback_scan_determinismE0ELb1ENS0_19wrapped_scan_configINS_14default_configEfEEN6hipcub22TransformInputIteratorIsNS6_6CastOpIsEEPslEEPfNS6_3MaxENS_12future_valueIfSC_EEfNS0_19lookback_scan_stateIfLb0ELb1EEEEEvT2_T3_mT5_T4_T7_jPT6_SO_bb: ; @_ZN7rocprim6detail20lookback_scan_kernelILNS0_25lookback_scan_determinismE0ELb1ENS0_19wrapped_scan_configINS_14default_configEfEEN6hipcub22TransformInputIteratorIsNS6_6CastOpIsEEPslEEPfNS6_3MaxENS_12future_valueIfSC_EEfNS0_19lookback_scan_stateIfLb0ELb1EEEEEvT2_T3_mT5_T4_T7_jPT6_SO_bb
; %bb.0:
	s_clause 0x3
	s_load_b32 s4, s[0:1], 0x38
	s_load_b64 s[2:3], s[0:1], 0x20
	s_load_b128 s[16:19], s[0:1], 0x10
	s_load_b64 s[12:13], s[0:1], 0x0
	s_lshl_b32 s10, s15, 10
	s_mov_b32 s11, 0
	v_lshlrev_b32_e32 v1, 1, v0
	v_lshrrev_b32_e32 v3, 3, v0
	v_lshlrev_b32_e32 v48, 2, v0
	v_or_b32_e32 v47, 64, v0
	v_or_b32_e32 v46, 0x80, v0
	;; [unrolled: 1-line block ×11, first 2 shown]
	s_waitcnt lgkmcnt(0)
	s_add_i32 s4, s4, -1
	s_load_b32 s21, s[2:3], 0x0
	s_lshl_b32 s5, s4, 10
	v_or_b32_e32 v36, 0x300, v0
	s_sub_u32 s9, s18, s5
	s_subb_u32 s14, s19, 0
	s_cmp_lg_u32 s15, s4
	v_or_b32_e32 v35, 0x340, v0
	s_cselect_b32 s20, -1, 0
	s_lshl_b64 s[2:3], s[10:11], 1
	v_or_b32_e32 v34, 0x380, v0
	v_or_b32_e32 v33, 0x3c0, v0
	s_add_u32 s4, s12, s2
	s_addc_u32 s5, s13, s3
	s_and_b32 vcc_lo, exec_lo, s20
	s_mov_b32 s3, -1
	s_cbranch_vccz .LBB150_2
; %bb.1:
	s_clause 0xf
	global_load_i16 v2, v1, s[4:5]
	global_load_i16 v4, v1, s[4:5] offset:128
	global_load_i16 v5, v1, s[4:5] offset:256
	;; [unrolled: 1-line block ×15, first 2 shown]
	v_lshrrev_b32_e32 v20, 3, v47
	v_lshrrev_b32_e32 v21, 3, v46
	;; [unrolled: 1-line block ×4, first 2 shown]
	v_and_b32_e32 v19, 4, v3
	v_lshrrev_b32_e32 v24, 3, v43
	v_lshrrev_b32_e32 v25, 3, v42
	;; [unrolled: 1-line block ×11, first 2 shown]
	v_and_b32_e32 v20, 12, v20
	v_and_b32_e32 v21, 20, v21
	;; [unrolled: 1-line block ×4, first 2 shown]
	v_add_nc_u32_e32 v19, v19, v48
	v_and_b32_e32 v24, 44, v24
	v_and_b32_e32 v25, 52, v25
	;; [unrolled: 1-line block ×11, first 2 shown]
	v_add_nc_u32_e32 v20, v20, v48
	v_add_nc_u32_e32 v21, v21, v48
	;; [unrolled: 1-line block ×4, first 2 shown]
	s_mov_b32 s3, s11
	v_add_nc_u32_e32 v24, v24, v48
	v_add_nc_u32_e32 v25, v25, v48
	;; [unrolled: 1-line block ×11, first 2 shown]
	s_waitcnt vmcnt(15)
	v_cvt_f32_i32_e32 v2, v2
	s_waitcnt vmcnt(14)
	v_cvt_f32_i32_e32 v4, v4
	;; [unrolled: 2-line block ×16, first 2 shown]
	ds_store_b32 v19, v2
	ds_store_b32 v20, v4 offset:256
	ds_store_b32 v21, v5 offset:512
	;; [unrolled: 1-line block ×15, first 2 shown]
	s_waitcnt lgkmcnt(0)
	s_barrier
.LBB150_2:
	v_cmp_gt_u32_e64 s2, s9, v0
	s_and_not1_b32 vcc_lo, exec_lo, s3
	s_cbranch_vccnz .LBB150_21
; %bb.3:
	v_mov_b32_e32 v2, 0
	v_add_co_u32 v1, s3, s4, v1
	global_load_i16 v2, v2, s[4:5]
	s_waitcnt vmcnt(0)
	v_cvt_f32_i32_e32 v12, v2
	v_add_co_ci_u32_e64 v2, null, s5, 0, s3
	s_delay_alu instid0(VALU_DEP_2)
	v_mov_b32_e32 v17, v12
	v_mov_b32_e32 v18, v12
	;; [unrolled: 1-line block ×15, first 2 shown]
	s_and_saveexec_b32 s3, s2
	s_cbranch_execnz .LBB150_135
; %bb.4:
	s_or_b32 exec_lo, exec_lo, s3
	s_delay_alu instid0(SALU_CYCLE_1)
	s_mov_b32 s2, exec_lo
	v_cmpx_gt_u32_e64 s9, v47
	s_cbranch_execnz .LBB150_136
.LBB150_5:
	s_or_b32 exec_lo, exec_lo, s2
	s_delay_alu instid0(SALU_CYCLE_1)
	s_mov_b32 s2, exec_lo
	v_cmpx_gt_u32_e64 s9, v46
	s_cbranch_execnz .LBB150_137
.LBB150_6:
	s_or_b32 exec_lo, exec_lo, s2
	s_delay_alu instid0(SALU_CYCLE_1)
	s_mov_b32 s2, exec_lo
	v_cmpx_gt_u32_e64 s9, v45
	s_cbranch_execnz .LBB150_138
.LBB150_7:
	s_or_b32 exec_lo, exec_lo, s2
	s_delay_alu instid0(SALU_CYCLE_1)
	s_mov_b32 s2, exec_lo
	v_cmpx_gt_u32_e64 s9, v44
	s_cbranch_execnz .LBB150_139
.LBB150_8:
	s_or_b32 exec_lo, exec_lo, s2
	s_delay_alu instid0(SALU_CYCLE_1)
	s_mov_b32 s2, exec_lo
	v_cmpx_gt_u32_e64 s9, v43
	s_cbranch_execnz .LBB150_140
.LBB150_9:
	s_or_b32 exec_lo, exec_lo, s2
	s_delay_alu instid0(SALU_CYCLE_1)
	s_mov_b32 s2, exec_lo
	v_cmpx_gt_u32_e64 s9, v42
	s_cbranch_execnz .LBB150_141
.LBB150_10:
	s_or_b32 exec_lo, exec_lo, s2
	s_delay_alu instid0(SALU_CYCLE_1)
	s_mov_b32 s2, exec_lo
	v_cmpx_gt_u32_e64 s9, v41
	s_cbranch_execnz .LBB150_142
.LBB150_11:
	s_or_b32 exec_lo, exec_lo, s2
	s_delay_alu instid0(SALU_CYCLE_1)
	s_mov_b32 s2, exec_lo
	v_cmpx_gt_u32_e64 s9, v40
	s_cbranch_execnz .LBB150_143
.LBB150_12:
	s_or_b32 exec_lo, exec_lo, s2
	s_delay_alu instid0(SALU_CYCLE_1)
	s_mov_b32 s2, exec_lo
	v_cmpx_gt_u32_e64 s9, v39
	s_cbranch_execnz .LBB150_144
.LBB150_13:
	s_or_b32 exec_lo, exec_lo, s2
	s_delay_alu instid0(SALU_CYCLE_1)
	s_mov_b32 s2, exec_lo
	v_cmpx_gt_u32_e64 s9, v38
	s_cbranch_execnz .LBB150_145
.LBB150_14:
	s_or_b32 exec_lo, exec_lo, s2
	s_delay_alu instid0(SALU_CYCLE_1)
	s_mov_b32 s2, exec_lo
	v_cmpx_gt_u32_e64 s9, v37
	s_cbranch_execnz .LBB150_146
.LBB150_15:
	s_or_b32 exec_lo, exec_lo, s2
	s_delay_alu instid0(SALU_CYCLE_1)
	s_mov_b32 s2, exec_lo
	v_cmpx_gt_u32_e64 s9, v36
	s_cbranch_execnz .LBB150_147
.LBB150_16:
	s_or_b32 exec_lo, exec_lo, s2
	s_delay_alu instid0(SALU_CYCLE_1)
	s_mov_b32 s2, exec_lo
	v_cmpx_gt_u32_e64 s9, v35
	s_cbranch_execnz .LBB150_148
.LBB150_17:
	s_or_b32 exec_lo, exec_lo, s2
	s_delay_alu instid0(SALU_CYCLE_1)
	s_mov_b32 s2, exec_lo
	v_cmpx_gt_u32_e64 s9, v34
	s_cbranch_execnz .LBB150_149
.LBB150_18:
	s_or_b32 exec_lo, exec_lo, s2
	s_delay_alu instid0(SALU_CYCLE_1)
	s_mov_b32 s2, exec_lo
	v_cmpx_gt_u32_e64 s9, v33
	s_cbranch_execz .LBB150_20
.LBB150_19:
	global_load_i16 v1, v[1:2], off offset:1920
	s_waitcnt vmcnt(0)
	v_cvt_f32_i32_e32 v4, v1
.LBB150_20:
	s_or_b32 exec_lo, exec_lo, s2
	v_lshrrev_b32_e32 v1, 3, v47
	v_lshrrev_b32_e32 v2, 3, v46
	;; [unrolled: 1-line block ×4, first 2 shown]
	v_and_b32_e32 v3, 4, v3
	v_lshrrev_b32_e32 v22, 3, v43
	v_lshrrev_b32_e32 v23, 3, v42
	;; [unrolled: 1-line block ×3, first 2 shown]
	v_and_b32_e32 v1, 12, v1
	v_and_b32_e32 v2, 28, v2
	;; [unrolled: 1-line block ×4, first 2 shown]
	v_add_nc_u32_e32 v3, v3, v48
	v_and_b32_e32 v22, 60, v22
	v_and_b32_e32 v23, 60, v23
	;; [unrolled: 1-line block ×3, first 2 shown]
	v_add_nc_u32_e32 v1, v1, v48
	v_add_nc_u32_e32 v2, v2, v48
	v_lshrrev_b32_e32 v25, 3, v40
	v_add_nc_u32_e32 v20, v20, v48
	v_lshrrev_b32_e32 v26, 3, v39
	;; [unrolled: 2-line block ×3, first 2 shown]
	v_add_nc_u32_e32 v22, v22, v48
	v_add_nc_u32_e32 v23, v23, v48
	;; [unrolled: 1-line block ×3, first 2 shown]
	ds_store_b32 v3, v19
	ds_store_b32 v1, v12 offset:256
	ds_store_b32 v2, v18 offset:512
	;; [unrolled: 1-line block ×7, first 2 shown]
	v_lshrrev_b32_e32 v12, 3, v37
	v_lshrrev_b32_e32 v13, 3, v36
	v_and_b32_e32 v25, 0x7c, v25
	v_lshrrev_b32_e32 v14, 3, v35
	v_lshrrev_b32_e32 v15, 3, v34
	;; [unrolled: 1-line block ×3, first 2 shown]
	v_and_b32_e32 v26, 0x7c, v26
	v_and_b32_e32 v27, 0x7c, v27
	;; [unrolled: 1-line block ×4, first 2 shown]
	v_add_nc_u32_e32 v1, v25, v48
	v_and_b32_e32 v14, 0x7c, v14
	v_and_b32_e32 v15, 0x7c, v15
	;; [unrolled: 1-line block ×3, first 2 shown]
	v_add_nc_u32_e32 v2, v26, v48
	v_add_nc_u32_e32 v3, v27, v48
	;; [unrolled: 1-line block ×7, first 2 shown]
	ds_store_b32 v1, v11 offset:2048
	ds_store_b32 v2, v10 offset:2304
	;; [unrolled: 1-line block ×8, first 2 shown]
	s_waitcnt lgkmcnt(0)
	s_barrier
.LBB150_21:
	v_lshlrev_b32_e32 v1, 4, v0
	v_lshrrev_b32_e32 v50, 1, v0
	s_load_b64 s[18:19], s[0:1], 0x30
	s_waitcnt lgkmcnt(0)
	buffer_gl0_inv
	v_mbcnt_lo_u32_b32 v51, -1, 0
	v_lshrrev_b32_e32 v49, 5, v0
	v_add_lshl_u32 v1, v50, v1, 2
	v_or_b32_e32 v52, 31, v0
	s_cmp_lg_u32 s15, 0
	ds_load_2addr_b32 v[31:32], v1 offset1:1
	ds_load_2addr_b32 v[29:30], v1 offset0:2 offset1:3
	ds_load_2addr_b32 v[27:28], v1 offset0:4 offset1:5
	;; [unrolled: 1-line block ×7, first 2 shown]
	s_waitcnt lgkmcnt(0)
	s_barrier
	buffer_gl0_inv
	v_cmp_lt_f32_e32 vcc_lo, v31, v32
	s_cbranch_scc0 .LBB150_47
; %bb.22:
	v_dual_cndmask_b32 v1, v31, v32 :: v_dual_and_b32 v2, 15, v51
	s_delay_alu instid0(VALU_DEP_1) | instskip(SKIP_1) | instid1(VALU_DEP_1)
	v_cmp_lt_f32_e32 vcc_lo, v1, v29
	v_cndmask_b32_e32 v1, v1, v29, vcc_lo
	v_cmp_lt_f32_e32 vcc_lo, v1, v30
	v_cndmask_b32_e32 v1, v1, v30, vcc_lo
	s_delay_alu instid0(VALU_DEP_1) | instskip(SKIP_1) | instid1(VALU_DEP_1)
	v_cmp_lt_f32_e32 vcc_lo, v1, v27
	v_cndmask_b32_e32 v1, v1, v27, vcc_lo
	v_cmp_lt_f32_e32 vcc_lo, v1, v28
	v_cndmask_b32_e32 v1, v1, v28, vcc_lo
	;; [unrolled: 5-line block ×7, first 2 shown]
	v_cmp_eq_u32_e32 vcc_lo, 0, v2
	s_delay_alu instid0(VALU_DEP_2) | instskip(NEXT) | instid1(VALU_DEP_1)
	v_mov_b32_dpp v3, v1 row_shr:1 row_mask:0xf bank_mask:0xf
	v_cmp_gt_f32_e64 s2, v1, v3
	s_delay_alu instid0(VALU_DEP_1) | instskip(SKIP_1) | instid1(VALU_DEP_1)
	s_or_b32 vcc_lo, vcc_lo, s2
	v_cndmask_b32_e32 v1, v3, v1, vcc_lo
	v_mov_b32_dpp v3, v1 row_shr:2 row_mask:0xf bank_mask:0xf
	s_delay_alu instid0(VALU_DEP_1) | instskip(SKIP_2) | instid1(VALU_DEP_2)
	v_cmp_gt_f32_e32 vcc_lo, v1, v3
	v_cndmask_b32_e32 v3, v3, v1, vcc_lo
	v_cmp_lt_u32_e32 vcc_lo, 1, v2
	v_cndmask_b32_e32 v1, v1, v3, vcc_lo
	s_delay_alu instid0(VALU_DEP_1) | instskip(NEXT) | instid1(VALU_DEP_1)
	v_mov_b32_dpp v3, v1 row_shr:4 row_mask:0xf bank_mask:0xf
	v_cmp_gt_f32_e32 vcc_lo, v1, v3
	v_cndmask_b32_e32 v3, v3, v1, vcc_lo
	v_cmp_lt_u32_e32 vcc_lo, 3, v2
	s_delay_alu instid0(VALU_DEP_2) | instskip(NEXT) | instid1(VALU_DEP_1)
	v_cndmask_b32_e32 v1, v1, v3, vcc_lo
	v_mov_b32_dpp v3, v1 row_shr:8 row_mask:0xf bank_mask:0xf
	s_delay_alu instid0(VALU_DEP_1) | instskip(SKIP_2) | instid1(VALU_DEP_2)
	v_cmp_gt_f32_e32 vcc_lo, v1, v3
	v_cndmask_b32_e32 v3, v3, v1, vcc_lo
	v_cmp_lt_u32_e32 vcc_lo, 7, v2
	v_cndmask_b32_e32 v1, v1, v3, vcc_lo
	v_and_b32_e32 v3, 16, v51
	ds_swizzle_b32 v2, v1 offset:swizzle(BROADCAST,32,15)
	v_cmp_eq_u32_e32 vcc_lo, 0, v3
	s_waitcnt lgkmcnt(0)
	v_cmp_gt_f32_e64 s2, v1, v2
	s_delay_alu instid0(VALU_DEP_1)
	s_or_b32 vcc_lo, vcc_lo, s2
	s_mov_b32 s2, exec_lo
	v_cndmask_b32_e32 v1, v2, v1, vcc_lo
	v_cmpx_eq_u32_e64 v52, v0
	s_cbranch_execz .LBB150_24
; %bb.23:
	v_lshlrev_b32_e32 v2, 2, v49
	ds_store_b32 v2, v1
.LBB150_24:
	s_or_b32 exec_lo, exec_lo, s2
	s_delay_alu instid0(SALU_CYCLE_1)
	s_mov_b32 s3, exec_lo
	s_waitcnt lgkmcnt(0)
	s_barrier
	buffer_gl0_inv
	v_cmpx_gt_u32_e32 2, v0
	s_cbranch_execz .LBB150_26
; %bb.25:
	ds_load_b32 v2, v48
	s_waitcnt lgkmcnt(0)
	v_mov_b32_dpp v4, v2 row_shr:1 row_mask:0xf bank_mask:0xf
	v_and_b32_e32 v3, 1, v51
	s_delay_alu instid0(VALU_DEP_2) | instskip(NEXT) | instid1(VALU_DEP_2)
	v_cmp_gt_f32_e64 s2, v2, v4
	v_cmp_eq_u32_e32 vcc_lo, 0, v3
	s_delay_alu instid0(VALU_DEP_2)
	s_or_b32 vcc_lo, vcc_lo, s2
	v_cndmask_b32_e32 v2, v4, v2, vcc_lo
	ds_store_b32 v48, v2
.LBB150_26:
	s_or_b32 exec_lo, exec_lo, s3
	v_cmp_gt_u32_e32 vcc_lo, 32, v0
	s_mov_b32 s3, exec_lo
	s_waitcnt lgkmcnt(0)
	s_barrier
	buffer_gl0_inv
                                        ; implicit-def: $vgpr8
	v_cmpx_lt_u32_e32 31, v0
	s_cbranch_execz .LBB150_28
; %bb.27:
	v_lshl_add_u32 v2, v49, 2, -4
	ds_load_b32 v8, v2
	s_waitcnt lgkmcnt(0)
	v_cmp_lt_f32_e64 s2, v8, v1
	s_delay_alu instid0(VALU_DEP_1)
	v_cndmask_b32_e64 v1, v8, v1, s2
.LBB150_28:
	s_or_b32 exec_lo, exec_lo, s3
	v_add_nc_u32_e32 v2, -1, v51
	s_delay_alu instid0(VALU_DEP_1) | instskip(NEXT) | instid1(VALU_DEP_1)
	v_cmp_gt_i32_e64 s2, 0, v2
	v_cndmask_b32_e64 v2, v2, v51, s2
	v_cmp_eq_u32_e64 s2, 0, v51
	s_delay_alu instid0(VALU_DEP_2)
	v_lshlrev_b32_e32 v2, 2, v2
	ds_bpermute_b32 v9, v2, v1
	s_and_saveexec_b32 s22, vcc_lo
	s_cbranch_execz .LBB150_46
; %bb.29:
	v_mov_b32_e32 v4, 0
	ds_load_b32 v1, v4 offset:4
	s_and_saveexec_b32 s3, s2
	s_cbranch_execz .LBB150_31
; %bb.30:
	s_add_i32 s4, s15, 32
	s_mov_b32 s5, 0
	v_mov_b32_e32 v2, 1
	s_lshl_b64 s[4:5], s[4:5], 3
	s_delay_alu instid0(SALU_CYCLE_1)
	s_add_u32 s4, s18, s4
	s_addc_u32 s5, s19, s5
	s_waitcnt lgkmcnt(0)
	global_store_b64 v4, v[1:2], s[4:5]
.LBB150_31:
	s_or_b32 exec_lo, exec_lo, s3
	v_xad_u32 v2, v51, -1, s15
	s_mov_b32 s4, 0
	s_mov_b32 s3, exec_lo
	s_delay_alu instid0(VALU_DEP_1) | instskip(NEXT) | instid1(VALU_DEP_1)
	v_add_nc_u32_e32 v3, 32, v2
	v_lshlrev_b64 v[3:4], 3, v[3:4]
	s_delay_alu instid0(VALU_DEP_1) | instskip(NEXT) | instid1(VALU_DEP_2)
	v_add_co_u32 v6, vcc_lo, s18, v3
	v_add_co_ci_u32_e32 v7, vcc_lo, s19, v4, vcc_lo
	global_load_b64 v[4:5], v[6:7], off glc
	s_waitcnt vmcnt(0)
	v_and_b32_e32 v3, 0xff, v5
	s_delay_alu instid0(VALU_DEP_1)
	v_cmpx_eq_u16_e32 0, v3
	s_cbranch_execz .LBB150_34
.LBB150_32:                             ; =>This Inner Loop Header: Depth=1
	global_load_b64 v[4:5], v[6:7], off glc
	s_waitcnt vmcnt(0)
	v_and_b32_e32 v3, 0xff, v5
	s_delay_alu instid0(VALU_DEP_1) | instskip(SKIP_1) | instid1(SALU_CYCLE_1)
	v_cmp_ne_u16_e32 vcc_lo, 0, v3
	s_or_b32 s4, vcc_lo, s4
	s_and_not1_b32 exec_lo, exec_lo, s4
	s_cbranch_execnz .LBB150_32
; %bb.33:
	s_or_b32 exec_lo, exec_lo, s4
.LBB150_34:
	s_delay_alu instid0(SALU_CYCLE_1)
	s_or_b32 exec_lo, exec_lo, s3
	v_cmp_ne_u32_e32 vcc_lo, 31, v51
	v_and_b32_e32 v6, 0xff, v5
	v_lshlrev_b32_e64 v11, v51, -1
	v_cmp_gt_u32_e64 s3, 30, v51
	v_add_nc_u32_e32 v12, 1, v51
	v_add_co_ci_u32_e32 v3, vcc_lo, 0, v51, vcc_lo
	v_cmp_eq_u16_e32 vcc_lo, 2, v6
	s_delay_alu instid0(VALU_DEP_4) | instskip(SKIP_1) | instid1(VALU_DEP_4)
	v_cndmask_b32_e64 v6, 0, 1, s3
	v_cmp_gt_u32_e64 s3, 28, v51
	v_lshlrev_b32_e32 v10, 2, v3
	v_add_nc_u32_e32 v14, 2, v51
	v_and_or_b32 v7, vcc_lo, v11, 0x80000000
	v_lshlrev_b32_e32 v6, 1, v6
	v_cndmask_b32_e64 v15, 0, 1, s3
	ds_bpermute_b32 v3, v10, v4
	v_cmp_gt_u32_e64 s4, 24, v51
	v_ctz_i32_b32_e32 v7, v7
	v_add_lshl_u32 v13, v6, v51, 2
	v_lshlrev_b32_e32 v15, 2, v15
	v_add_nc_u32_e32 v16, 4, v51
	v_cndmask_b32_e64 v53, 0, 1, s4
	v_cmp_gt_u32_e64 s5, 16, v51
	v_add_nc_u32_e32 v54, 8, v51
	v_add_lshl_u32 v15, v15, v51, 2
	v_add_nc_u32_e32 v57, 16, v51
	v_lshlrev_b32_e32 v53, 3, v53
	v_cndmask_b32_e64 v55, 0, 1, s5
	s_delay_alu instid0(VALU_DEP_3) | instskip(NEXT) | instid1(VALU_DEP_3)
	v_cmp_le_u32_e64 s6, v57, v7
	v_add_lshl_u32 v53, v53, v51, 2
	s_delay_alu instid0(VALU_DEP_3) | instskip(SKIP_3) | instid1(VALU_DEP_3)
	v_lshlrev_b32_e32 v55, 4, v55
	v_cmp_gt_u32_e64 s7, v57, v7
	s_waitcnt lgkmcnt(0)
	v_cmp_lt_f32_e32 vcc_lo, v3, v4
	v_add_lshl_u32 v56, v55, v51, 2
	v_cndmask_b32_e32 v3, v3, v4, vcc_lo
	v_cmp_le_u32_e32 vcc_lo, v12, v7
	s_delay_alu instid0(VALU_DEP_2) | instskip(SKIP_3) | instid1(VALU_DEP_1)
	v_cndmask_b32_e32 v3, v4, v3, vcc_lo
	ds_bpermute_b32 v6, v13, v3
	s_waitcnt lgkmcnt(0)
	v_cmp_gt_f32_e64 s3, v3, v6
	v_cndmask_b32_e64 v6, v6, v3, s3
	v_cmp_le_u32_e64 s3, v14, v7
	s_delay_alu instid0(VALU_DEP_1) | instskip(SKIP_1) | instid1(SALU_CYCLE_1)
	v_cndmask_b32_e64 v3, v3, v6, s3
	s_or_b32 s3, s3, s6
	s_or_b32 s3, vcc_lo, s3
	ds_bpermute_b32 v6, v15, v3
	s_waitcnt lgkmcnt(0)
	v_cmp_gt_f32_e64 s4, v3, v6
	s_delay_alu instid0(VALU_DEP_1) | instskip(SKIP_1) | instid1(VALU_DEP_1)
	v_cndmask_b32_e64 v6, v6, v3, s4
	v_cmp_le_u32_e64 s4, v16, v7
	v_cndmask_b32_e64 v3, v3, v6, s4
	s_or_b32 s3, s4, s3
	ds_bpermute_b32 v6, v53, v3
	s_waitcnt lgkmcnt(0)
	v_cmp_gt_f32_e64 s5, v3, v6
	s_delay_alu instid0(VALU_DEP_1) | instskip(SKIP_1) | instid1(VALU_DEP_1)
	v_cndmask_b32_e64 v6, v6, v3, s5
	v_cmp_le_u32_e64 s5, v54, v7
	v_cndmask_b32_e64 v3, v3, v6, s5
	ds_bpermute_b32 v6, v56, v3
	s_waitcnt lgkmcnt(0)
	v_cmp_gt_f32_e64 s8, v3, v6
	s_delay_alu instid0(VALU_DEP_1) | instskip(SKIP_2) | instid1(VALU_DEP_1)
	s_or_b32 vcc_lo, s7, s8
	v_cndmask_b32_e32 v3, v6, v3, vcc_lo
	s_or_b32 vcc_lo, s5, s3
	v_dual_cndmask_b32 v4, v4, v3 :: v_dual_mov_b32 v3, 0
	s_branch .LBB150_36
.LBB150_35:                             ;   in Loop: Header=BB150_36 Depth=1
	s_or_b32 exec_lo, exec_lo, s3
	ds_bpermute_b32 v6, v10, v4
	v_and_b32_e32 v7, 0xff, v5
	v_subrev_nc_u32_e32 v2, 32, v2
	s_delay_alu instid0(VALU_DEP_2) | instskip(SKIP_1) | instid1(VALU_DEP_1)
	v_cmp_eq_u16_e32 vcc_lo, 2, v7
	v_and_or_b32 v7, vcc_lo, v11, 0x80000000
	v_ctz_i32_b32_e32 v7, v7
	s_waitcnt lgkmcnt(0)
	v_cmp_lt_f32_e32 vcc_lo, v6, v4
	s_delay_alu instid0(VALU_DEP_2) | instskip(SKIP_3) | instid1(VALU_DEP_2)
	v_cmp_le_u32_e64 s6, v57, v7
	v_cmp_gt_u32_e64 s7, v57, v7
	v_cndmask_b32_e32 v6, v6, v4, vcc_lo
	v_cmp_le_u32_e32 vcc_lo, v12, v7
	v_cndmask_b32_e32 v6, v4, v6, vcc_lo
	ds_bpermute_b32 v58, v13, v6
	s_waitcnt lgkmcnt(0)
	v_cmp_gt_f32_e64 s3, v6, v58
	s_delay_alu instid0(VALU_DEP_1) | instskip(SKIP_1) | instid1(VALU_DEP_1)
	v_cndmask_b32_e64 v58, v58, v6, s3
	v_cmp_le_u32_e64 s3, v14, v7
	v_cndmask_b32_e64 v6, v6, v58, s3
	s_or_b32 s3, s3, s6
	s_delay_alu instid0(SALU_CYCLE_1) | instskip(SKIP_3) | instid1(VALU_DEP_1)
	s_or_b32 s3, vcc_lo, s3
	ds_bpermute_b32 v58, v15, v6
	s_waitcnt lgkmcnt(0)
	v_cmp_gt_f32_e64 s4, v6, v58
	v_cndmask_b32_e64 v58, v58, v6, s4
	v_cmp_le_u32_e64 s4, v16, v7
	s_delay_alu instid0(VALU_DEP_1) | instskip(SKIP_4) | instid1(VALU_DEP_1)
	v_cndmask_b32_e64 v6, v6, v58, s4
	s_or_b32 s3, s4, s3
	ds_bpermute_b32 v58, v53, v6
	s_waitcnt lgkmcnt(0)
	v_cmp_gt_f32_e64 s5, v6, v58
	v_cndmask_b32_e64 v58, v58, v6, s5
	v_cmp_le_u32_e64 s5, v54, v7
	s_delay_alu instid0(VALU_DEP_1) | instskip(SKIP_3) | instid1(VALU_DEP_1)
	v_cndmask_b32_e64 v6, v6, v58, s5
	ds_bpermute_b32 v58, v56, v6
	s_waitcnt lgkmcnt(0)
	v_cmp_gt_f32_e64 s8, v6, v58
	s_or_b32 vcc_lo, s7, s8
	v_cndmask_b32_e32 v6, v58, v6, vcc_lo
	s_or_b32 vcc_lo, s5, s3
	s_delay_alu instid0(VALU_DEP_1) | instskip(NEXT) | instid1(VALU_DEP_1)
	v_cndmask_b32_e32 v4, v4, v6, vcc_lo
	v_cmp_lt_f32_e32 vcc_lo, v4, v55
	v_cndmask_b32_e32 v4, v4, v55, vcc_lo
.LBB150_36:                             ; =>This Loop Header: Depth=1
                                        ;     Child Loop BB150_39 Depth 2
	v_and_b32_e32 v5, 0xff, v5
	s_delay_alu instid0(VALU_DEP_2) | instskip(NEXT) | instid1(VALU_DEP_2)
	v_mov_b32_e32 v55, v4
	v_cmp_ne_u16_e32 vcc_lo, 2, v5
	v_cndmask_b32_e64 v5, 0, 1, vcc_lo
	;;#ASMSTART
	;;#ASMEND
	s_delay_alu instid0(VALU_DEP_1)
	v_cmp_ne_u32_e32 vcc_lo, 0, v5
	s_cmp_lg_u32 vcc_lo, exec_lo
	s_cbranch_scc1 .LBB150_41
; %bb.37:                               ;   in Loop: Header=BB150_36 Depth=1
	v_lshlrev_b64 v[4:5], 3, v[2:3]
	s_mov_b32 s3, exec_lo
	s_delay_alu instid0(VALU_DEP_1) | instskip(NEXT) | instid1(VALU_DEP_2)
	v_add_co_u32 v6, vcc_lo, s18, v4
	v_add_co_ci_u32_e32 v7, vcc_lo, s19, v5, vcc_lo
	global_load_b64 v[4:5], v[6:7], off glc
	s_waitcnt vmcnt(0)
	v_and_b32_e32 v58, 0xff, v5
	s_delay_alu instid0(VALU_DEP_1)
	v_cmpx_eq_u16_e32 0, v58
	s_cbranch_execz .LBB150_35
; %bb.38:                               ;   in Loop: Header=BB150_36 Depth=1
	s_mov_b32 s4, 0
.LBB150_39:                             ;   Parent Loop BB150_36 Depth=1
                                        ; =>  This Inner Loop Header: Depth=2
	global_load_b64 v[4:5], v[6:7], off glc
	s_waitcnt vmcnt(0)
	v_and_b32_e32 v58, 0xff, v5
	s_delay_alu instid0(VALU_DEP_1) | instskip(SKIP_1) | instid1(SALU_CYCLE_1)
	v_cmp_ne_u16_e32 vcc_lo, 0, v58
	s_or_b32 s4, vcc_lo, s4
	s_and_not1_b32 exec_lo, exec_lo, s4
	s_cbranch_execnz .LBB150_39
; %bb.40:                               ;   in Loop: Header=BB150_36 Depth=1
	s_or_b32 exec_lo, exec_lo, s4
	s_branch .LBB150_35
.LBB150_41:                             ;   in Loop: Header=BB150_36 Depth=1
                                        ; implicit-def: $vgpr4
                                        ; implicit-def: $vgpr5
	s_cbranch_execz .LBB150_36
; %bb.42:
	s_and_saveexec_b32 s3, s2
	s_cbranch_execz .LBB150_44
; %bb.43:
	v_cmp_lt_f32_e32 vcc_lo, v55, v1
	s_add_i32 s4, s15, 32
	s_mov_b32 s5, 0
	v_dual_mov_b32 v3, 0 :: v_dual_mov_b32 v2, 2
	s_lshl_b64 s[4:5], s[4:5], 3
	v_cndmask_b32_e32 v1, v55, v1, vcc_lo
	s_add_u32 s4, s18, s4
	s_addc_u32 s5, s19, s5
	global_store_b64 v3, v[1:2], s[4:5]
.LBB150_44:
	s_or_b32 exec_lo, exec_lo, s3
	v_cmp_eq_u32_e32 vcc_lo, 0, v0
	s_and_b32 exec_lo, exec_lo, vcc_lo
	s_cbranch_execz .LBB150_46
; %bb.45:
	v_mov_b32_e32 v1, 0
	ds_store_b32 v1, v55 offset:4
.LBB150_46:
	s_or_b32 exec_lo, exec_lo, s22
	v_mov_b32_e32 v1, 0
	s_waitcnt lgkmcnt(0)
	s_waitcnt_vscnt null, 0x0
	s_barrier
	buffer_gl0_inv
	v_cndmask_b32_e64 v2, v9, v8, s2
	ds_load_b32 v1, v1 offset:4
	s_waitcnt lgkmcnt(0)
	v_cmp_lt_f32_e32 vcc_lo, v1, v2
	v_cndmask_b32_e32 v2, v1, v2, vcc_lo
	v_cmp_eq_u32_e32 vcc_lo, 0, v0
	s_delay_alu instid0(VALU_DEP_2) | instskip(NEXT) | instid1(VALU_DEP_1)
	v_cndmask_b32_e32 v1, v2, v1, vcc_lo
	v_cmp_lt_f32_e32 vcc_lo, v1, v31
	v_cndmask_b32_e32 v2, v1, v31, vcc_lo
	s_delay_alu instid0(VALU_DEP_1) | instskip(SKIP_1) | instid1(VALU_DEP_1)
	v_cmp_lt_f32_e32 vcc_lo, v2, v32
	v_cndmask_b32_e32 v3, v2, v32, vcc_lo
	v_cmp_lt_f32_e32 vcc_lo, v3, v29
	v_cndmask_b32_e32 v4, v3, v29, vcc_lo
	s_delay_alu instid0(VALU_DEP_1) | instskip(SKIP_1) | instid1(VALU_DEP_1)
	v_cmp_lt_f32_e32 vcc_lo, v4, v30
	;; [unrolled: 5-line block ×7, first 2 shown]
	v_cndmask_b32_e32 v15, v14, v20, vcc_lo
	v_cmp_lt_f32_e32 vcc_lo, v15, v17
	v_cndmask_b32_e32 v16, v15, v17, vcc_lo
	s_load_b128 s[4:7], s[0:1], 0x40
	s_branch .LBB150_59
.LBB150_47:
                                        ; implicit-def: $vgpr1_vgpr2_vgpr3_vgpr4_vgpr5_vgpr6_vgpr7_vgpr8_vgpr9_vgpr10_vgpr11_vgpr12_vgpr13_vgpr14_vgpr15_vgpr16
	s_load_b128 s[4:7], s[0:1], 0x40
	s_cbranch_execz .LBB150_59
; %bb.48:
	s_load_b32 s2, s[0:1], 0x50
	v_mov_b32_e32 v53, s21
	s_waitcnt lgkmcnt(0)
	s_bitcmp0_b32 s2, 0
	s_cbranch_scc1 .LBB150_50
; %bb.49:
	v_mov_b32_e32 v1, 0
	s_load_b32 s2, s[4:5], 0x0
	global_load_i16 v1, v1, s[12:13] offset:-2
	s_waitcnt vmcnt(0)
	v_cvt_f32_i32_e32 v1, v1
	s_waitcnt lgkmcnt(0)
	s_delay_alu instid0(VALU_DEP_1)
	v_cmp_lt_f32_e32 vcc_lo, s2, v1
	v_cndmask_b32_e32 v53, s2, v1, vcc_lo
.LBB150_50:
	v_cmp_lt_f32_e32 vcc_lo, v31, v32
	v_dual_cndmask_b32 v1, v31, v32 :: v_dual_and_b32 v2, 15, v51
	s_delay_alu instid0(VALU_DEP_1) | instskip(SKIP_1) | instid1(VALU_DEP_1)
	v_cmp_lt_f32_e32 vcc_lo, v1, v29
	v_cndmask_b32_e32 v1, v1, v29, vcc_lo
	v_cmp_lt_f32_e32 vcc_lo, v1, v30
	v_cndmask_b32_e32 v1, v1, v30, vcc_lo
	s_delay_alu instid0(VALU_DEP_1) | instskip(SKIP_1) | instid1(VALU_DEP_1)
	v_cmp_lt_f32_e32 vcc_lo, v1, v27
	v_cndmask_b32_e32 v1, v1, v27, vcc_lo
	v_cmp_lt_f32_e32 vcc_lo, v1, v28
	v_cndmask_b32_e32 v1, v1, v28, vcc_lo
	;; [unrolled: 5-line block ×7, first 2 shown]
	v_cmp_eq_u32_e32 vcc_lo, 0, v2
	s_delay_alu instid0(VALU_DEP_2) | instskip(NEXT) | instid1(VALU_DEP_1)
	v_mov_b32_dpp v3, v1 row_shr:1 row_mask:0xf bank_mask:0xf
	v_cmp_gt_f32_e64 s2, v1, v3
	s_delay_alu instid0(VALU_DEP_1) | instskip(SKIP_1) | instid1(VALU_DEP_1)
	s_or_b32 vcc_lo, vcc_lo, s2
	v_cndmask_b32_e32 v1, v3, v1, vcc_lo
	v_mov_b32_dpp v3, v1 row_shr:2 row_mask:0xf bank_mask:0xf
	s_delay_alu instid0(VALU_DEP_1) | instskip(SKIP_2) | instid1(VALU_DEP_2)
	v_cmp_gt_f32_e32 vcc_lo, v1, v3
	v_cndmask_b32_e32 v3, v3, v1, vcc_lo
	v_cmp_lt_u32_e32 vcc_lo, 1, v2
	v_cndmask_b32_e32 v1, v1, v3, vcc_lo
	s_delay_alu instid0(VALU_DEP_1) | instskip(NEXT) | instid1(VALU_DEP_1)
	v_mov_b32_dpp v3, v1 row_shr:4 row_mask:0xf bank_mask:0xf
	v_cmp_gt_f32_e32 vcc_lo, v1, v3
	v_cndmask_b32_e32 v3, v3, v1, vcc_lo
	v_cmp_lt_u32_e32 vcc_lo, 3, v2
	s_delay_alu instid0(VALU_DEP_2) | instskip(NEXT) | instid1(VALU_DEP_1)
	v_cndmask_b32_e32 v1, v1, v3, vcc_lo
	v_mov_b32_dpp v3, v1 row_shr:8 row_mask:0xf bank_mask:0xf
	s_delay_alu instid0(VALU_DEP_1) | instskip(SKIP_2) | instid1(VALU_DEP_2)
	v_cmp_gt_f32_e32 vcc_lo, v1, v3
	v_cndmask_b32_e32 v3, v3, v1, vcc_lo
	v_cmp_lt_u32_e32 vcc_lo, 7, v2
	v_cndmask_b32_e32 v1, v1, v3, vcc_lo
	v_and_b32_e32 v3, 16, v51
	ds_swizzle_b32 v2, v1 offset:swizzle(BROADCAST,32,15)
	v_cmp_eq_u32_e32 vcc_lo, 0, v3
	s_waitcnt lgkmcnt(0)
	v_cmp_gt_f32_e64 s2, v1, v2
	s_delay_alu instid0(VALU_DEP_1)
	s_or_b32 vcc_lo, vcc_lo, s2
	s_mov_b32 s2, exec_lo
	v_cndmask_b32_e32 v1, v2, v1, vcc_lo
	v_cmpx_eq_u32_e64 v52, v0
	s_cbranch_execz .LBB150_52
; %bb.51:
	v_lshlrev_b32_e32 v2, 2, v49
	ds_store_b32 v2, v1
.LBB150_52:
	s_or_b32 exec_lo, exec_lo, s2
	s_delay_alu instid0(SALU_CYCLE_1)
	s_mov_b32 s3, exec_lo
	s_waitcnt lgkmcnt(0)
	s_barrier
	buffer_gl0_inv
	v_cmpx_gt_u32_e32 2, v0
	s_cbranch_execz .LBB150_54
; %bb.53:
	ds_load_b32 v2, v48
	s_waitcnt lgkmcnt(0)
	v_mov_b32_dpp v4, v2 row_shr:1 row_mask:0xf bank_mask:0xf
	v_and_b32_e32 v3, 1, v51
	s_delay_alu instid0(VALU_DEP_2) | instskip(NEXT) | instid1(VALU_DEP_2)
	v_cmp_gt_f32_e64 s2, v2, v4
	v_cmp_eq_u32_e32 vcc_lo, 0, v3
	s_delay_alu instid0(VALU_DEP_2)
	s_or_b32 vcc_lo, vcc_lo, s2
	v_cndmask_b32_e32 v2, v4, v2, vcc_lo
	ds_store_b32 v48, v2
.LBB150_54:
	s_or_b32 exec_lo, exec_lo, s3
	v_mov_b32_e32 v2, v53
	s_mov_b32 s2, exec_lo
	s_waitcnt lgkmcnt(0)
	s_barrier
	buffer_gl0_inv
	v_cmpx_lt_u32_e32 31, v0
	s_cbranch_execz .LBB150_56
; %bb.55:
	v_lshl_add_u32 v2, v49, 2, -4
	ds_load_b32 v2, v2
	s_waitcnt lgkmcnt(0)
	v_cmp_gt_f32_e32 vcc_lo, v2, v53
	v_cndmask_b32_e32 v2, v53, v2, vcc_lo
.LBB150_56:
	s_or_b32 exec_lo, exec_lo, s2
	v_add_nc_u32_e32 v3, -1, v51
	s_delay_alu instid0(VALU_DEP_1) | instskip(SKIP_2) | instid1(VALU_DEP_2)
	v_cmp_gt_i32_e32 vcc_lo, 0, v3
	v_cndmask_b32_e32 v3, v3, v51, vcc_lo
	v_cmp_lt_f32_e32 vcc_lo, v2, v1
	v_lshlrev_b32_e32 v3, 2, v3
	v_cndmask_b32_e32 v1, v2, v1, vcc_lo
	v_cmp_eq_u32_e32 vcc_lo, 0, v51
	ds_bpermute_b32 v1, v3, v1
	s_waitcnt lgkmcnt(0)
	v_cndmask_b32_e32 v1, v1, v2, vcc_lo
	v_cmp_eq_u32_e32 vcc_lo, 0, v0
	s_delay_alu instid0(VALU_DEP_2) | instskip(NEXT) | instid1(VALU_DEP_1)
	v_cndmask_b32_e32 v1, v1, v53, vcc_lo
	v_cmp_lt_f32_e64 s2, v1, v31
	s_delay_alu instid0(VALU_DEP_1) | instskip(NEXT) | instid1(VALU_DEP_1)
	v_cndmask_b32_e64 v2, v1, v31, s2
	v_cmp_lt_f32_e64 s2, v2, v32
	s_delay_alu instid0(VALU_DEP_1) | instskip(NEXT) | instid1(VALU_DEP_1)
	v_cndmask_b32_e64 v3, v2, v32, s2
	v_cmp_lt_f32_e64 s2, v3, v29
	s_delay_alu instid0(VALU_DEP_1) | instskip(NEXT) | instid1(VALU_DEP_1)
	v_cndmask_b32_e64 v4, v3, v29, s2
	v_cmp_lt_f32_e64 s2, v4, v30
	s_delay_alu instid0(VALU_DEP_1) | instskip(NEXT) | instid1(VALU_DEP_1)
	v_cndmask_b32_e64 v5, v4, v30, s2
	v_cmp_lt_f32_e64 s2, v5, v27
	s_delay_alu instid0(VALU_DEP_1) | instskip(NEXT) | instid1(VALU_DEP_1)
	v_cndmask_b32_e64 v6, v5, v27, s2
	v_cmp_lt_f32_e64 s2, v6, v28
	s_delay_alu instid0(VALU_DEP_1) | instskip(NEXT) | instid1(VALU_DEP_1)
	v_cndmask_b32_e64 v7, v6, v28, s2
	v_cmp_lt_f32_e64 s2, v7, v25
	s_delay_alu instid0(VALU_DEP_1) | instskip(NEXT) | instid1(VALU_DEP_1)
	v_cndmask_b32_e64 v8, v7, v25, s2
	v_cmp_lt_f32_e64 s2, v8, v26
	s_delay_alu instid0(VALU_DEP_1) | instskip(NEXT) | instid1(VALU_DEP_1)
	v_cndmask_b32_e64 v9, v8, v26, s2
	v_cmp_lt_f32_e64 s2, v9, v23
	s_delay_alu instid0(VALU_DEP_1) | instskip(NEXT) | instid1(VALU_DEP_1)
	v_cndmask_b32_e64 v10, v9, v23, s2
	v_cmp_lt_f32_e64 s2, v10, v24
	s_delay_alu instid0(VALU_DEP_1) | instskip(NEXT) | instid1(VALU_DEP_1)
	v_cndmask_b32_e64 v11, v10, v24, s2
	v_cmp_lt_f32_e64 s2, v11, v21
	s_delay_alu instid0(VALU_DEP_1) | instskip(NEXT) | instid1(VALU_DEP_1)
	v_cndmask_b32_e64 v12, v11, v21, s2
	v_cmp_lt_f32_e64 s2, v12, v22
	s_delay_alu instid0(VALU_DEP_1) | instskip(NEXT) | instid1(VALU_DEP_1)
	v_cndmask_b32_e64 v13, v12, v22, s2
	v_cmp_lt_f32_e64 s2, v13, v19
	s_delay_alu instid0(VALU_DEP_1) | instskip(NEXT) | instid1(VALU_DEP_1)
	v_cndmask_b32_e64 v14, v13, v19, s2
	v_cmp_lt_f32_e64 s2, v14, v20
	s_delay_alu instid0(VALU_DEP_1) | instskip(NEXT) | instid1(VALU_DEP_1)
	v_cndmask_b32_e64 v15, v14, v20, s2
	v_cmp_lt_f32_e64 s2, v15, v17
	s_delay_alu instid0(VALU_DEP_1)
	v_cndmask_b32_e64 v16, v15, v17, s2
	s_and_saveexec_b32 s2, vcc_lo
	s_cbranch_execz .LBB150_58
; %bb.57:
	v_dual_mov_b32 v19, 0 :: v_dual_mov_b32 v18, 2
	ds_load_b32 v17, v19 offset:4
	s_waitcnt lgkmcnt(0)
	v_cmp_gt_f32_e32 vcc_lo, v17, v53
	v_cndmask_b32_e32 v17, v53, v17, vcc_lo
	global_store_b64 v19, v[17:18], s[18:19] offset:256
.LBB150_58:
	s_or_b32 exec_lo, exec_lo, s2
.LBB150_59:
	s_lshl_b64 s[2:3], s[10:11], 2
	v_lshlrev_b32_e32 v17, 6, v0
	s_add_u32 s2, s16, s2
	s_addc_u32 s3, s17, s3
	s_and_b32 vcc_lo, exec_lo, s20
	s_waitcnt lgkmcnt(0)
	s_mov_b32 s4, -1
	s_waitcnt_vscnt null, 0x0
	s_barrier
	buffer_gl0_inv
	s_cbranch_vccz .LBB150_61
; %bb.60:
	v_lshl_add_u32 v18, v50, 2, v17
	v_lshrrev_b32_e32 v26, 5, v40
	v_lshrrev_b32_e32 v27, 5, v39
	;; [unrolled: 1-line block ×4, first 2 shown]
	ds_store_2addr_b32 v18, v1, v2 offset1:1
	ds_store_2addr_b32 v18, v3, v4 offset0:2 offset1:3
	ds_store_2addr_b32 v18, v5, v6 offset0:4 offset1:5
	;; [unrolled: 1-line block ×7, first 2 shown]
	v_lshrrev_b32_e32 v18, 5, v47
	v_lshrrev_b32_e32 v21, 5, v45
	;; [unrolled: 1-line block ×11, first 2 shown]
	v_add_lshl_u32 v20, v49, v0, 2
	v_add_lshl_u32 v26, v26, v0, 2
	;; [unrolled: 1-line block ×16, first 2 shown]
	s_waitcnt lgkmcnt(0)
	s_barrier
	buffer_gl0_inv
	ds_load_b32 v20, v20
	ds_load_b32 v18, v18 offset:256
	ds_load_b32 v19, v19 offset:512
	;; [unrolled: 1-line block ×15, first 2 shown]
	s_waitcnt lgkmcnt(15)
	global_store_b32 v48, v20, s[2:3]
	s_waitcnt lgkmcnt(14)
	global_store_b32 v48, v18, s[2:3] offset:256
	s_waitcnt lgkmcnt(13)
	global_store_b32 v48, v19, s[2:3] offset:512
	;; [unrolled: 2-line block ×7, first 2 shown]
	s_mov_b32 s4, 0
	s_waitcnt lgkmcnt(7)
	global_store_b32 v48, v26, s[2:3] offset:2048
	s_waitcnt lgkmcnt(6)
	global_store_b32 v48, v27, s[2:3] offset:2304
	;; [unrolled: 2-line block ×8, first 2 shown]
.LBB150_61:
	s_and_not1_b32 vcc_lo, exec_lo, s4
	s_cbranch_vccnz .LBB150_134
; %bb.62:
	v_lshl_add_u32 v17, v50, 2, v17
	ds_store_2addr_b32 v17, v1, v2 offset1:1
	ds_store_2addr_b32 v17, v3, v4 offset0:2 offset1:3
	ds_store_2addr_b32 v17, v5, v6 offset0:4 offset1:5
	;; [unrolled: 1-line block ×7, first 2 shown]
	v_lshrrev_b32_e32 v1, 5, v47
	v_lshrrev_b32_e32 v2, 5, v46
	;; [unrolled: 1-line block ×6, first 2 shown]
	v_add_lshl_u32 v3, v49, v0, 2
	v_lshrrev_b32_e32 v8, 5, v41
	v_add_lshl_u32 v1, v1, v0, 2
	v_lshrrev_b32_e32 v14, 5, v40
	;; [unrolled: 2-line block ×3, first 2 shown]
	v_lshrrev_b32_e32 v16, 5, v38
	v_add_lshl_u32 v9, v4, v0, 2
	v_add_lshl_u32 v10, v5, v0, 2
	;; [unrolled: 1-line block ×4, first 2 shown]
	s_waitcnt lgkmcnt(0)
	s_waitcnt_vscnt null, 0x0
	s_barrier
	buffer_gl0_inv
	v_add_lshl_u32 v13, v8, v0, 2
	ds_load_b32 v5, v3
	ds_load_b32 v4, v1 offset:256
	ds_load_b32 v6, v2 offset:512
	;; [unrolled: 1-line block ×7, first 2 shown]
	v_lshrrev_b32_e32 v12, 5, v37
	v_add_lshl_u32 v1, v14, v0, 2
	v_lshrrev_b32_e32 v13, 5, v36
	v_lshrrev_b32_e32 v14, 5, v35
	v_add_lshl_u32 v2, v15, v0, 2
	v_add_lshl_u32 v3, v16, v0, 2
	v_lshrrev_b32_e32 v15, 5, v34
	v_lshrrev_b32_e32 v16, 5, v33
	v_add_lshl_u32 v17, v12, v0, 2
	v_add_lshl_u32 v18, v13, v0, 2
	;; [unrolled: 1-line block ×5, first 2 shown]
	ds_load_b32 v12, v1 offset:2048
	ds_load_b32 v13, v2 offset:2304
	;; [unrolled: 1-line block ×8, first 2 shown]
	v_add_co_u32 v2, s2, s2, v48
	v_mov_b32_e32 v1, 0
	v_add_co_ci_u32_e64 v3, null, s3, 0, s2
	s_mov_b32 s2, exec_lo
	v_cmpx_gt_u32_e64 s9, v0
	s_cbranch_execnz .LBB150_150
; %bb.63:
	s_or_b32 exec_lo, exec_lo, s2
	s_delay_alu instid0(SALU_CYCLE_1)
	s_mov_b32 s2, exec_lo
	v_cmpx_gt_u32_e64 s9, v47
	s_cbranch_execnz .LBB150_151
.LBB150_64:
	s_or_b32 exec_lo, exec_lo, s2
	s_delay_alu instid0(SALU_CYCLE_1)
	s_mov_b32 s2, exec_lo
	v_cmpx_gt_u32_e64 s9, v46
	s_cbranch_execnz .LBB150_152
.LBB150_65:
	s_or_b32 exec_lo, exec_lo, s2
	s_delay_alu instid0(SALU_CYCLE_1)
	s_mov_b32 s2, exec_lo
	v_cmpx_gt_u32_e64 s9, v45
	s_cbranch_execnz .LBB150_153
.LBB150_66:
	s_or_b32 exec_lo, exec_lo, s2
	s_delay_alu instid0(SALU_CYCLE_1)
	s_mov_b32 s2, exec_lo
	v_cmpx_gt_u32_e64 s9, v44
	s_cbranch_execnz .LBB150_154
.LBB150_67:
	s_or_b32 exec_lo, exec_lo, s2
	s_delay_alu instid0(SALU_CYCLE_1)
	s_mov_b32 s2, exec_lo
	v_cmpx_gt_u32_e64 s9, v43
	s_cbranch_execnz .LBB150_155
.LBB150_68:
	s_or_b32 exec_lo, exec_lo, s2
	s_delay_alu instid0(SALU_CYCLE_1)
	s_mov_b32 s2, exec_lo
	v_cmpx_gt_u32_e64 s9, v42
	s_cbranch_execnz .LBB150_156
.LBB150_69:
	s_or_b32 exec_lo, exec_lo, s2
	s_delay_alu instid0(SALU_CYCLE_1)
	s_mov_b32 s2, exec_lo
	v_cmpx_gt_u32_e64 s9, v41
	s_cbranch_execnz .LBB150_157
.LBB150_70:
	s_or_b32 exec_lo, exec_lo, s2
	s_delay_alu instid0(SALU_CYCLE_1)
	s_mov_b32 s2, exec_lo
	v_cmpx_gt_u32_e64 s9, v40
	s_cbranch_execnz .LBB150_158
.LBB150_71:
	s_or_b32 exec_lo, exec_lo, s2
	s_delay_alu instid0(SALU_CYCLE_1)
	s_mov_b32 s2, exec_lo
	v_cmpx_gt_u32_e64 s9, v39
	s_cbranch_execnz .LBB150_159
.LBB150_72:
	s_or_b32 exec_lo, exec_lo, s2
	s_delay_alu instid0(SALU_CYCLE_1)
	s_mov_b32 s2, exec_lo
	v_cmpx_gt_u32_e64 s9, v38
	s_cbranch_execnz .LBB150_160
.LBB150_73:
	s_or_b32 exec_lo, exec_lo, s2
	s_delay_alu instid0(SALU_CYCLE_1)
	s_mov_b32 s2, exec_lo
	v_cmpx_gt_u32_e64 s9, v37
	s_cbranch_execnz .LBB150_161
.LBB150_74:
	s_or_b32 exec_lo, exec_lo, s2
	s_delay_alu instid0(SALU_CYCLE_1)
	s_mov_b32 s2, exec_lo
	v_cmpx_gt_u32_e64 s9, v36
	s_cbranch_execnz .LBB150_162
.LBB150_75:
	s_or_b32 exec_lo, exec_lo, s2
	s_delay_alu instid0(SALU_CYCLE_1)
	s_mov_b32 s2, exec_lo
	v_cmpx_gt_u32_e64 s9, v35
	s_cbranch_execnz .LBB150_163
.LBB150_76:
	s_or_b32 exec_lo, exec_lo, s2
	s_delay_alu instid0(SALU_CYCLE_1)
	s_mov_b32 s2, exec_lo
	v_cmpx_gt_u32_e64 s9, v34
	s_cbranch_execnz .LBB150_164
.LBB150_77:
	s_or_b32 exec_lo, exec_lo, s2
	s_delay_alu instid0(SALU_CYCLE_1)
	s_mov_b32 s2, exec_lo
	v_cmpx_gt_u32_e64 s9, v33
	s_cbranch_execz .LBB150_79
.LBB150_78:
	s_waitcnt lgkmcnt(0)
	global_store_b32 v[2:3], v19, off offset:3840
.LBB150_79:
	s_or_b32 exec_lo, exec_lo, s2
	s_load_b32 s0, s[0:1], 0x50
	s_waitcnt lgkmcnt(0)
	s_bfe_u32 s0, s0, 0x10008
	s_delay_alu instid0(SALU_CYCLE_1)
	s_cmp_eq_u32 s0, 0
	s_cbranch_scc1 .LBB150_134
; %bb.80:
	s_add_u32 s0, s9, -1
	s_addc_u32 s1, s14, -1
	s_delay_alu instid0(SALU_CYCLE_1)
	s_lshr_b64 s[2:3], s[0:1], 4
	s_mov_b32 s1, exec_lo
	v_cmpx_eq_u64_e64 s[2:3], v[0:1]
	s_cbranch_execz .LBB150_134
; %bb.81:
	s_and_b32 s0, s0, 15
	s_mov_b32 s1, 0
	s_delay_alu instid0(SALU_CYCLE_1) | instskip(NEXT) | instid1(VALU_DEP_1)
	v_cmp_lt_i64_e64 s2, s[0:1], 8
	s_and_b32 vcc_lo, exec_lo, s2
	s_mov_b32 s2, -1
	s_cbranch_vccnz .LBB150_108
; %bb.82:
	v_cmp_lt_i64_e64 s2, s[0:1], 12
	s_delay_alu instid0(VALU_DEP_1)
	s_and_b32 vcc_lo, exec_lo, s2
	s_mov_b32 s2, -1
	s_cbranch_vccnz .LBB150_95
; %bb.83:
	v_cmp_lt_i64_e64 s2, s[0:1], 14
	s_delay_alu instid0(VALU_DEP_1)
	s_and_b32 vcc_lo, exec_lo, s2
	s_mov_b32 s2, -1
	s_cbranch_vccnz .LBB150_89
; %bb.84:
	v_cmp_gt_i64_e64 s2, s[0:1], 14
	s_delay_alu instid0(VALU_DEP_1)
	s_and_b32 vcc_lo, exec_lo, s2
	s_mov_b32 s2, -1
	s_cbranch_vccz .LBB150_86
; %bb.85:
	v_mov_b32_e32 v0, 0
	s_mov_b32 s2, 0
	global_store_b32 v0, v19, s[6:7]
.LBB150_86:
	s_and_not1_b32 vcc_lo, exec_lo, s2
	s_cbranch_vccnz .LBB150_88
; %bb.87:
	v_mov_b32_e32 v0, 0
	global_store_b32 v0, v18, s[6:7]
.LBB150_88:
	s_mov_b32 s2, 0
.LBB150_89:
	s_delay_alu instid0(SALU_CYCLE_1)
	s_and_not1_b32 vcc_lo, exec_lo, s2
	s_cbranch_vccnz .LBB150_94
; %bb.90:
	v_cmp_gt_i64_e64 s2, s[0:1], 12
	s_delay_alu instid0(VALU_DEP_1)
	s_and_b32 vcc_lo, exec_lo, s2
	s_mov_b32 s2, -1
	s_cbranch_vccz .LBB150_92
; %bb.91:
	v_mov_b32_e32 v0, 0
	s_mov_b32 s2, 0
	global_store_b32 v0, v17, s[6:7]
.LBB150_92:
	s_and_not1_b32 vcc_lo, exec_lo, s2
	s_cbranch_vccnz .LBB150_94
; %bb.93:
	v_mov_b32_e32 v0, 0
	global_store_b32 v0, v16, s[6:7]
.LBB150_94:
	s_mov_b32 s2, 0
.LBB150_95:
	s_delay_alu instid0(SALU_CYCLE_1)
	s_and_not1_b32 vcc_lo, exec_lo, s2
	s_cbranch_vccnz .LBB150_107
; %bb.96:
	v_cmp_lt_i64_e64 s2, s[0:1], 10
	s_delay_alu instid0(VALU_DEP_1)
	s_and_b32 vcc_lo, exec_lo, s2
	s_mov_b32 s2, -1
	s_cbranch_vccnz .LBB150_102
; %bb.97:
	v_cmp_gt_i64_e64 s2, s[0:1], 10
	s_delay_alu instid0(VALU_DEP_1)
	s_and_b32 vcc_lo, exec_lo, s2
	s_mov_b32 s2, -1
	s_cbranch_vccz .LBB150_99
; %bb.98:
	v_mov_b32_e32 v0, 0
	s_mov_b32 s2, 0
	global_store_b32 v0, v15, s[6:7]
.LBB150_99:
	s_and_not1_b32 vcc_lo, exec_lo, s2
	s_cbranch_vccnz .LBB150_101
; %bb.100:
	v_mov_b32_e32 v0, 0
	global_store_b32 v0, v14, s[6:7]
.LBB150_101:
	s_mov_b32 s2, 0
.LBB150_102:
	s_delay_alu instid0(SALU_CYCLE_1)
	s_and_not1_b32 vcc_lo, exec_lo, s2
	s_cbranch_vccnz .LBB150_107
; %bb.103:
	v_cmp_gt_i64_e64 s2, s[0:1], 8
	s_delay_alu instid0(VALU_DEP_1)
	s_and_b32 vcc_lo, exec_lo, s2
	s_mov_b32 s2, -1
	s_cbranch_vccz .LBB150_105
; %bb.104:
	v_mov_b32_e32 v0, 0
	s_mov_b32 s2, 0
	global_store_b32 v0, v13, s[6:7]
.LBB150_105:
	s_and_not1_b32 vcc_lo, exec_lo, s2
	s_cbranch_vccnz .LBB150_107
; %bb.106:
	v_mov_b32_e32 v0, 0
	global_store_b32 v0, v12, s[6:7]
.LBB150_107:
	s_mov_b32 s2, 0
.LBB150_108:
	s_delay_alu instid0(SALU_CYCLE_1)
	s_and_not1_b32 vcc_lo, exec_lo, s2
	s_cbranch_vccnz .LBB150_134
; %bb.109:
	v_cmp_lt_i64_e64 s2, s[0:1], 4
	s_delay_alu instid0(VALU_DEP_1)
	s_and_b32 vcc_lo, exec_lo, s2
	s_mov_b32 s2, -1
	s_cbranch_vccnz .LBB150_122
; %bb.110:
	v_cmp_lt_i64_e64 s2, s[0:1], 6
	s_delay_alu instid0(VALU_DEP_1)
	s_and_b32 vcc_lo, exec_lo, s2
	s_mov_b32 s2, -1
	s_cbranch_vccnz .LBB150_116
; %bb.111:
	v_cmp_gt_i64_e64 s2, s[0:1], 6
	s_delay_alu instid0(VALU_DEP_1)
	s_and_b32 vcc_lo, exec_lo, s2
	s_mov_b32 s2, -1
	s_cbranch_vccz .LBB150_113
; %bb.112:
	v_mov_b32_e32 v0, 0
	s_mov_b32 s2, 0
	global_store_b32 v0, v11, s[6:7]
.LBB150_113:
	s_and_not1_b32 vcc_lo, exec_lo, s2
	s_cbranch_vccnz .LBB150_115
; %bb.114:
	v_mov_b32_e32 v0, 0
	global_store_b32 v0, v10, s[6:7]
.LBB150_115:
	s_mov_b32 s2, 0
.LBB150_116:
	s_delay_alu instid0(SALU_CYCLE_1)
	s_and_not1_b32 vcc_lo, exec_lo, s2
	s_cbranch_vccnz .LBB150_121
; %bb.117:
	v_cmp_gt_i64_e64 s2, s[0:1], 4
	s_delay_alu instid0(VALU_DEP_1)
	s_and_b32 vcc_lo, exec_lo, s2
	s_mov_b32 s2, -1
	s_cbranch_vccz .LBB150_119
; %bb.118:
	v_mov_b32_e32 v0, 0
	s_mov_b32 s2, 0
	global_store_b32 v0, v9, s[6:7]
.LBB150_119:
	s_and_not1_b32 vcc_lo, exec_lo, s2
	s_cbranch_vccnz .LBB150_121
; %bb.120:
	v_mov_b32_e32 v0, 0
	global_store_b32 v0, v8, s[6:7]
.LBB150_121:
	s_mov_b32 s2, 0
.LBB150_122:
	s_delay_alu instid0(SALU_CYCLE_1)
	s_and_not1_b32 vcc_lo, exec_lo, s2
	s_cbranch_vccnz .LBB150_134
; %bb.123:
	v_cmp_lt_i64_e64 s2, s[0:1], 2
	s_delay_alu instid0(VALU_DEP_1)
	s_and_b32 vcc_lo, exec_lo, s2
	s_mov_b32 s2, -1
	s_cbranch_vccnz .LBB150_129
; %bb.124:
	v_cmp_gt_i64_e64 s2, s[0:1], 2
	s_delay_alu instid0(VALU_DEP_1)
	s_and_b32 vcc_lo, exec_lo, s2
	s_mov_b32 s2, -1
	s_cbranch_vccz .LBB150_126
; %bb.125:
	v_mov_b32_e32 v0, 0
	s_mov_b32 s2, 0
	global_store_b32 v0, v7, s[6:7]
.LBB150_126:
	s_and_not1_b32 vcc_lo, exec_lo, s2
	s_cbranch_vccnz .LBB150_128
; %bb.127:
	v_mov_b32_e32 v0, 0
	global_store_b32 v0, v6, s[6:7]
.LBB150_128:
	s_mov_b32 s2, 0
.LBB150_129:
	s_delay_alu instid0(SALU_CYCLE_1)
	s_and_not1_b32 vcc_lo, exec_lo, s2
	s_cbranch_vccnz .LBB150_134
; %bb.130:
	s_cmp_eq_u64 s[0:1], 1
	s_mov_b32 s0, -1
	s_cbranch_scc1 .LBB150_132
; %bb.131:
	v_mov_b32_e32 v0, 0
	s_mov_b32 s0, 0
	global_store_b32 v0, v5, s[6:7]
.LBB150_132:
	s_and_not1_b32 vcc_lo, exec_lo, s0
	s_cbranch_vccnz .LBB150_134
; %bb.133:
	v_mov_b32_e32 v0, 0
	global_store_b32 v0, v4, s[6:7]
.LBB150_134:
	s_nop 0
	s_sendmsg sendmsg(MSG_DEALLOC_VGPRS)
	s_endpgm
.LBB150_135:
	global_load_i16 v19, v[1:2], off
	s_waitcnt vmcnt(0)
	v_cvt_f32_i32_e32 v19, v19
	s_or_b32 exec_lo, exec_lo, s3
	s_delay_alu instid0(SALU_CYCLE_1)
	s_mov_b32 s2, exec_lo
	v_cmpx_gt_u32_e64 s9, v47
	s_cbranch_execz .LBB150_5
.LBB150_136:
	global_load_i16 v12, v[1:2], off offset:128
	s_waitcnt vmcnt(0)
	v_cvt_f32_i32_e32 v12, v12
	s_or_b32 exec_lo, exec_lo, s2
	s_delay_alu instid0(SALU_CYCLE_1)
	s_mov_b32 s2, exec_lo
	v_cmpx_gt_u32_e64 s9, v46
	s_cbranch_execz .LBB150_6
.LBB150_137:
	global_load_i16 v18, v[1:2], off offset:256
	s_waitcnt vmcnt(0)
	v_cvt_f32_i32_e32 v18, v18
	s_or_b32 exec_lo, exec_lo, s2
	s_delay_alu instid0(SALU_CYCLE_1)
	s_mov_b32 s2, exec_lo
	v_cmpx_gt_u32_e64 s9, v45
	s_cbranch_execz .LBB150_7
.LBB150_138:
	global_load_i16 v17, v[1:2], off offset:384
	s_waitcnt vmcnt(0)
	v_cvt_f32_i32_e32 v17, v17
	s_or_b32 exec_lo, exec_lo, s2
	s_delay_alu instid0(SALU_CYCLE_1)
	s_mov_b32 s2, exec_lo
	v_cmpx_gt_u32_e64 s9, v44
	s_cbranch_execz .LBB150_8
.LBB150_139:
	global_load_i16 v16, v[1:2], off offset:512
	s_waitcnt vmcnt(0)
	v_cvt_f32_i32_e32 v16, v16
	s_or_b32 exec_lo, exec_lo, s2
	s_delay_alu instid0(SALU_CYCLE_1)
	s_mov_b32 s2, exec_lo
	v_cmpx_gt_u32_e64 s9, v43
	s_cbranch_execz .LBB150_9
.LBB150_140:
	global_load_i16 v15, v[1:2], off offset:640
	s_waitcnt vmcnt(0)
	v_cvt_f32_i32_e32 v15, v15
	s_or_b32 exec_lo, exec_lo, s2
	s_delay_alu instid0(SALU_CYCLE_1)
	s_mov_b32 s2, exec_lo
	v_cmpx_gt_u32_e64 s9, v42
	s_cbranch_execz .LBB150_10
.LBB150_141:
	global_load_i16 v14, v[1:2], off offset:768
	s_waitcnt vmcnt(0)
	v_cvt_f32_i32_e32 v14, v14
	s_or_b32 exec_lo, exec_lo, s2
	s_delay_alu instid0(SALU_CYCLE_1)
	s_mov_b32 s2, exec_lo
	v_cmpx_gt_u32_e64 s9, v41
	s_cbranch_execz .LBB150_11
.LBB150_142:
	global_load_i16 v13, v[1:2], off offset:896
	s_waitcnt vmcnt(0)
	v_cvt_f32_i32_e32 v13, v13
	s_or_b32 exec_lo, exec_lo, s2
	s_delay_alu instid0(SALU_CYCLE_1)
	s_mov_b32 s2, exec_lo
	v_cmpx_gt_u32_e64 s9, v40
	s_cbranch_execz .LBB150_12
.LBB150_143:
	global_load_i16 v11, v[1:2], off offset:1024
	s_waitcnt vmcnt(0)
	v_cvt_f32_i32_e32 v11, v11
	s_or_b32 exec_lo, exec_lo, s2
	s_delay_alu instid0(SALU_CYCLE_1)
	s_mov_b32 s2, exec_lo
	v_cmpx_gt_u32_e64 s9, v39
	s_cbranch_execz .LBB150_13
.LBB150_144:
	global_load_i16 v10, v[1:2], off offset:1152
	s_waitcnt vmcnt(0)
	v_cvt_f32_i32_e32 v10, v10
	s_or_b32 exec_lo, exec_lo, s2
	s_delay_alu instid0(SALU_CYCLE_1)
	s_mov_b32 s2, exec_lo
	v_cmpx_gt_u32_e64 s9, v38
	s_cbranch_execz .LBB150_14
.LBB150_145:
	global_load_i16 v9, v[1:2], off offset:1280
	s_waitcnt vmcnt(0)
	v_cvt_f32_i32_e32 v9, v9
	s_or_b32 exec_lo, exec_lo, s2
	s_delay_alu instid0(SALU_CYCLE_1)
	s_mov_b32 s2, exec_lo
	v_cmpx_gt_u32_e64 s9, v37
	s_cbranch_execz .LBB150_15
.LBB150_146:
	global_load_i16 v8, v[1:2], off offset:1408
	s_waitcnt vmcnt(0)
	v_cvt_f32_i32_e32 v8, v8
	s_or_b32 exec_lo, exec_lo, s2
	s_delay_alu instid0(SALU_CYCLE_1)
	s_mov_b32 s2, exec_lo
	v_cmpx_gt_u32_e64 s9, v36
	s_cbranch_execz .LBB150_16
.LBB150_147:
	global_load_i16 v7, v[1:2], off offset:1536
	s_waitcnt vmcnt(0)
	v_cvt_f32_i32_e32 v7, v7
	s_or_b32 exec_lo, exec_lo, s2
	s_delay_alu instid0(SALU_CYCLE_1)
	s_mov_b32 s2, exec_lo
	v_cmpx_gt_u32_e64 s9, v35
	s_cbranch_execz .LBB150_17
.LBB150_148:
	global_load_i16 v6, v[1:2], off offset:1664
	s_waitcnt vmcnt(0)
	v_cvt_f32_i32_e32 v6, v6
	s_or_b32 exec_lo, exec_lo, s2
	s_delay_alu instid0(SALU_CYCLE_1)
	s_mov_b32 s2, exec_lo
	v_cmpx_gt_u32_e64 s9, v34
	s_cbranch_execz .LBB150_18
.LBB150_149:
	global_load_i16 v5, v[1:2], off offset:1792
	s_waitcnt vmcnt(0)
	v_cvt_f32_i32_e32 v5, v5
	s_or_b32 exec_lo, exec_lo, s2
	s_delay_alu instid0(SALU_CYCLE_1)
	s_mov_b32 s2, exec_lo
	v_cmpx_gt_u32_e64 s9, v33
	s_cbranch_execnz .LBB150_19
	s_branch .LBB150_20
.LBB150_150:
	s_waitcnt lgkmcnt(15)
	global_store_b32 v[2:3], v5, off
	s_or_b32 exec_lo, exec_lo, s2
	s_delay_alu instid0(SALU_CYCLE_1)
	s_mov_b32 s2, exec_lo
	v_cmpx_gt_u32_e64 s9, v47
	s_cbranch_execz .LBB150_64
.LBB150_151:
	s_waitcnt lgkmcnt(14)
	global_store_b32 v[2:3], v4, off offset:256
	s_or_b32 exec_lo, exec_lo, s2
	s_delay_alu instid0(SALU_CYCLE_1)
	s_mov_b32 s2, exec_lo
	v_cmpx_gt_u32_e64 s9, v46
	s_cbranch_execz .LBB150_65
.LBB150_152:
	s_waitcnt lgkmcnt(13)
	global_store_b32 v[2:3], v6, off offset:512
	s_or_b32 exec_lo, exec_lo, s2
	s_delay_alu instid0(SALU_CYCLE_1)
	s_mov_b32 s2, exec_lo
	v_cmpx_gt_u32_e64 s9, v45
	s_cbranch_execz .LBB150_66
.LBB150_153:
	s_waitcnt lgkmcnt(12)
	global_store_b32 v[2:3], v7, off offset:768
	s_or_b32 exec_lo, exec_lo, s2
	s_delay_alu instid0(SALU_CYCLE_1)
	s_mov_b32 s2, exec_lo
	v_cmpx_gt_u32_e64 s9, v44
	s_cbranch_execz .LBB150_67
.LBB150_154:
	s_waitcnt lgkmcnt(11)
	global_store_b32 v[2:3], v8, off offset:1024
	s_or_b32 exec_lo, exec_lo, s2
	s_delay_alu instid0(SALU_CYCLE_1)
	s_mov_b32 s2, exec_lo
	v_cmpx_gt_u32_e64 s9, v43
	s_cbranch_execz .LBB150_68
.LBB150_155:
	s_waitcnt lgkmcnt(10)
	global_store_b32 v[2:3], v9, off offset:1280
	s_or_b32 exec_lo, exec_lo, s2
	s_delay_alu instid0(SALU_CYCLE_1)
	s_mov_b32 s2, exec_lo
	v_cmpx_gt_u32_e64 s9, v42
	s_cbranch_execz .LBB150_69
.LBB150_156:
	s_waitcnt lgkmcnt(9)
	global_store_b32 v[2:3], v10, off offset:1536
	s_or_b32 exec_lo, exec_lo, s2
	s_delay_alu instid0(SALU_CYCLE_1)
	s_mov_b32 s2, exec_lo
	v_cmpx_gt_u32_e64 s9, v41
	s_cbranch_execz .LBB150_70
.LBB150_157:
	s_waitcnt lgkmcnt(8)
	global_store_b32 v[2:3], v11, off offset:1792
	s_or_b32 exec_lo, exec_lo, s2
	s_delay_alu instid0(SALU_CYCLE_1)
	s_mov_b32 s2, exec_lo
	v_cmpx_gt_u32_e64 s9, v40
	s_cbranch_execz .LBB150_71
.LBB150_158:
	s_waitcnt lgkmcnt(7)
	global_store_b32 v[2:3], v12, off offset:2048
	s_or_b32 exec_lo, exec_lo, s2
	s_delay_alu instid0(SALU_CYCLE_1)
	s_mov_b32 s2, exec_lo
	v_cmpx_gt_u32_e64 s9, v39
	s_cbranch_execz .LBB150_72
.LBB150_159:
	s_waitcnt lgkmcnt(6)
	global_store_b32 v[2:3], v13, off offset:2304
	s_or_b32 exec_lo, exec_lo, s2
	s_delay_alu instid0(SALU_CYCLE_1)
	s_mov_b32 s2, exec_lo
	v_cmpx_gt_u32_e64 s9, v38
	s_cbranch_execz .LBB150_73
.LBB150_160:
	s_waitcnt lgkmcnt(5)
	global_store_b32 v[2:3], v14, off offset:2560
	s_or_b32 exec_lo, exec_lo, s2
	s_delay_alu instid0(SALU_CYCLE_1)
	s_mov_b32 s2, exec_lo
	v_cmpx_gt_u32_e64 s9, v37
	s_cbranch_execz .LBB150_74
.LBB150_161:
	s_waitcnt lgkmcnt(4)
	global_store_b32 v[2:3], v15, off offset:2816
	s_or_b32 exec_lo, exec_lo, s2
	s_delay_alu instid0(SALU_CYCLE_1)
	s_mov_b32 s2, exec_lo
	v_cmpx_gt_u32_e64 s9, v36
	s_cbranch_execz .LBB150_75
.LBB150_162:
	s_waitcnt lgkmcnt(3)
	global_store_b32 v[2:3], v16, off offset:3072
	s_or_b32 exec_lo, exec_lo, s2
	s_delay_alu instid0(SALU_CYCLE_1)
	s_mov_b32 s2, exec_lo
	v_cmpx_gt_u32_e64 s9, v35
	s_cbranch_execz .LBB150_76
.LBB150_163:
	s_waitcnt lgkmcnt(2)
	global_store_b32 v[2:3], v17, off offset:3328
	s_or_b32 exec_lo, exec_lo, s2
	s_delay_alu instid0(SALU_CYCLE_1)
	s_mov_b32 s2, exec_lo
	v_cmpx_gt_u32_e64 s9, v34
	s_cbranch_execz .LBB150_77
.LBB150_164:
	s_waitcnt lgkmcnt(1)
	global_store_b32 v[2:3], v18, off offset:3584
	s_or_b32 exec_lo, exec_lo, s2
	s_delay_alu instid0(SALU_CYCLE_1)
	s_mov_b32 s2, exec_lo
	v_cmpx_gt_u32_e64 s9, v33
	s_cbranch_execnz .LBB150_78
	s_branch .LBB150_79
	.section	.rodata,"a",@progbits
	.p2align	6, 0x0
	.amdhsa_kernel _ZN7rocprim6detail20lookback_scan_kernelILNS0_25lookback_scan_determinismE0ELb1ENS0_19wrapped_scan_configINS_14default_configEfEEN6hipcub22TransformInputIteratorIsNS6_6CastOpIsEEPslEEPfNS6_3MaxENS_12future_valueIfSC_EEfNS0_19lookback_scan_stateIfLb0ELb1EEEEEvT2_T3_mT5_T4_T7_jPT6_SO_bb
		.amdhsa_group_segment_fixed_size 4224
		.amdhsa_private_segment_fixed_size 0
		.amdhsa_kernarg_size 84
		.amdhsa_user_sgpr_count 15
		.amdhsa_user_sgpr_dispatch_ptr 0
		.amdhsa_user_sgpr_queue_ptr 0
		.amdhsa_user_sgpr_kernarg_segment_ptr 1
		.amdhsa_user_sgpr_dispatch_id 0
		.amdhsa_user_sgpr_private_segment_size 0
		.amdhsa_wavefront_size32 1
		.amdhsa_uses_dynamic_stack 0
		.amdhsa_enable_private_segment 0
		.amdhsa_system_sgpr_workgroup_id_x 1
		.amdhsa_system_sgpr_workgroup_id_y 0
		.amdhsa_system_sgpr_workgroup_id_z 0
		.amdhsa_system_sgpr_workgroup_info 0
		.amdhsa_system_vgpr_workitem_id 0
		.amdhsa_next_free_vgpr 59
		.amdhsa_next_free_sgpr 23
		.amdhsa_reserve_vcc 1
		.amdhsa_float_round_mode_32 0
		.amdhsa_float_round_mode_16_64 0
		.amdhsa_float_denorm_mode_32 3
		.amdhsa_float_denorm_mode_16_64 3
		.amdhsa_dx10_clamp 1
		.amdhsa_ieee_mode 1
		.amdhsa_fp16_overflow 0
		.amdhsa_workgroup_processor_mode 1
		.amdhsa_memory_ordered 1
		.amdhsa_forward_progress 0
		.amdhsa_shared_vgpr_count 0
		.amdhsa_exception_fp_ieee_invalid_op 0
		.amdhsa_exception_fp_denorm_src 0
		.amdhsa_exception_fp_ieee_div_zero 0
		.amdhsa_exception_fp_ieee_overflow 0
		.amdhsa_exception_fp_ieee_underflow 0
		.amdhsa_exception_fp_ieee_inexact 0
		.amdhsa_exception_int_div_zero 0
	.end_amdhsa_kernel
	.section	.text._ZN7rocprim6detail20lookback_scan_kernelILNS0_25lookback_scan_determinismE0ELb1ENS0_19wrapped_scan_configINS_14default_configEfEEN6hipcub22TransformInputIteratorIsNS6_6CastOpIsEEPslEEPfNS6_3MaxENS_12future_valueIfSC_EEfNS0_19lookback_scan_stateIfLb0ELb1EEEEEvT2_T3_mT5_T4_T7_jPT6_SO_bb,"axG",@progbits,_ZN7rocprim6detail20lookback_scan_kernelILNS0_25lookback_scan_determinismE0ELb1ENS0_19wrapped_scan_configINS_14default_configEfEEN6hipcub22TransformInputIteratorIsNS6_6CastOpIsEEPslEEPfNS6_3MaxENS_12future_valueIfSC_EEfNS0_19lookback_scan_stateIfLb0ELb1EEEEEvT2_T3_mT5_T4_T7_jPT6_SO_bb,comdat
.Lfunc_end150:
	.size	_ZN7rocprim6detail20lookback_scan_kernelILNS0_25lookback_scan_determinismE0ELb1ENS0_19wrapped_scan_configINS_14default_configEfEEN6hipcub22TransformInputIteratorIsNS6_6CastOpIsEEPslEEPfNS6_3MaxENS_12future_valueIfSC_EEfNS0_19lookback_scan_stateIfLb0ELb1EEEEEvT2_T3_mT5_T4_T7_jPT6_SO_bb, .Lfunc_end150-_ZN7rocprim6detail20lookback_scan_kernelILNS0_25lookback_scan_determinismE0ELb1ENS0_19wrapped_scan_configINS_14default_configEfEEN6hipcub22TransformInputIteratorIsNS6_6CastOpIsEEPslEEPfNS6_3MaxENS_12future_valueIfSC_EEfNS0_19lookback_scan_stateIfLb0ELb1EEEEEvT2_T3_mT5_T4_T7_jPT6_SO_bb
                                        ; -- End function
	.section	.AMDGPU.csdata,"",@progbits
; Kernel info:
; codeLenInByte = 8284
; NumSgprs: 25
; NumVgprs: 59
; ScratchSize: 0
; MemoryBound: 0
; FloatMode: 240
; IeeeMode: 1
; LDSByteSize: 4224 bytes/workgroup (compile time only)
; SGPRBlocks: 3
; VGPRBlocks: 7
; NumSGPRsForWavesPerEU: 25
; NumVGPRsForWavesPerEU: 59
; Occupancy: 16
; WaveLimiterHint : 1
; COMPUTE_PGM_RSRC2:SCRATCH_EN: 0
; COMPUTE_PGM_RSRC2:USER_SGPR: 15
; COMPUTE_PGM_RSRC2:TRAP_HANDLER: 0
; COMPUTE_PGM_RSRC2:TGID_X_EN: 1
; COMPUTE_PGM_RSRC2:TGID_Y_EN: 0
; COMPUTE_PGM_RSRC2:TGID_Z_EN: 0
; COMPUTE_PGM_RSRC2:TIDIG_COMP_CNT: 0
	.section	.text._ZN7rocprim6detail16transform_kernelINS0_24wrapped_transform_configINS_14default_configEfEEfPfS5_NS_8identityIfEEEEvT1_mT2_T3_,"axG",@progbits,_ZN7rocprim6detail16transform_kernelINS0_24wrapped_transform_configINS_14default_configEfEEfPfS5_NS_8identityIfEEEEvT1_mT2_T3_,comdat
	.protected	_ZN7rocprim6detail16transform_kernelINS0_24wrapped_transform_configINS_14default_configEfEEfPfS5_NS_8identityIfEEEEvT1_mT2_T3_ ; -- Begin function _ZN7rocprim6detail16transform_kernelINS0_24wrapped_transform_configINS_14default_configEfEEfPfS5_NS_8identityIfEEEEvT1_mT2_T3_
	.globl	_ZN7rocprim6detail16transform_kernelINS0_24wrapped_transform_configINS_14default_configEfEEfPfS5_NS_8identityIfEEEEvT1_mT2_T3_
	.p2align	8
	.type	_ZN7rocprim6detail16transform_kernelINS0_24wrapped_transform_configINS_14default_configEfEEfPfS5_NS_8identityIfEEEEvT1_mT2_T3_,@function
_ZN7rocprim6detail16transform_kernelINS0_24wrapped_transform_configINS_14default_configEfEEfPfS5_NS_8identityIfEEEEvT1_mT2_T3_: ; @_ZN7rocprim6detail16transform_kernelINS0_24wrapped_transform_configINS_14default_configEfEEfPfS5_NS_8identityIfEEEEvT1_mT2_T3_
; %bb.0:
	s_clause 0x2
	s_load_b32 s3, s[0:1], 0x20
	s_load_b128 s[4:7], s[0:1], 0x0
	s_load_b64 s[0:1], s[0:1], 0x10
	v_lshlrev_b32_e32 v1, 2, v0
	s_lshl_b32 s2, s15, 10
	s_waitcnt lgkmcnt(0)
	s_add_i32 s7, s3, -1
	s_mov_b32 s3, 0
	s_cmp_lg_u32 s15, s7
	s_mov_b32 s7, -1
	s_cbranch_scc0 .LBB151_2
; %bb.1:
	s_lshl_b64 s[8:9], s[2:3], 2
	s_mov_b32 s7, s3
	s_add_u32 s10, s4, s8
	s_addc_u32 s11, s5, s9
	s_add_u32 s8, s0, s8
	global_load_b32 v2, v1, s[10:11]
	s_addc_u32 s9, s1, s9
	s_waitcnt vmcnt(0)
	global_store_b32 v1, v2, s[8:9]
.LBB151_2:
	s_and_not1_b32 vcc_lo, exec_lo, s7
	s_cbranch_vccnz .LBB151_7
; %bb.3:
	s_sub_i32 s6, s6, s2
	s_delay_alu instid0(SALU_CYCLE_1)
	v_cmp_gt_u32_e32 vcc_lo, s6, v0
                                        ; implicit-def: $vgpr0
	s_and_saveexec_b32 s6, vcc_lo
	s_cbranch_execz .LBB151_5
; %bb.4:
	s_lshl_b64 s[8:9], s[2:3], 2
	s_delay_alu instid0(SALU_CYCLE_1)
	s_add_u32 s4, s4, s8
	s_addc_u32 s5, s5, s9
	global_load_b32 v0, v1, s[4:5]
.LBB151_5:
	s_or_b32 exec_lo, exec_lo, s6
	s_and_saveexec_b32 s4, vcc_lo
	s_cbranch_execz .LBB151_7
; %bb.6:
	s_lshl_b64 s[2:3], s[2:3], 2
	s_delay_alu instid0(SALU_CYCLE_1)
	s_add_u32 s0, s0, s2
	s_addc_u32 s1, s1, s3
	s_waitcnt vmcnt(0)
	global_store_b32 v1, v0, s[0:1]
.LBB151_7:
	s_nop 0
	s_sendmsg sendmsg(MSG_DEALLOC_VGPRS)
	s_endpgm
	.section	.rodata,"a",@progbits
	.p2align	6, 0x0
	.amdhsa_kernel _ZN7rocprim6detail16transform_kernelINS0_24wrapped_transform_configINS_14default_configEfEEfPfS5_NS_8identityIfEEEEvT1_mT2_T3_
		.amdhsa_group_segment_fixed_size 0
		.amdhsa_private_segment_fixed_size 0
		.amdhsa_kernarg_size 288
		.amdhsa_user_sgpr_count 15
		.amdhsa_user_sgpr_dispatch_ptr 0
		.amdhsa_user_sgpr_queue_ptr 0
		.amdhsa_user_sgpr_kernarg_segment_ptr 1
		.amdhsa_user_sgpr_dispatch_id 0
		.amdhsa_user_sgpr_private_segment_size 0
		.amdhsa_wavefront_size32 1
		.amdhsa_uses_dynamic_stack 0
		.amdhsa_enable_private_segment 0
		.amdhsa_system_sgpr_workgroup_id_x 1
		.amdhsa_system_sgpr_workgroup_id_y 0
		.amdhsa_system_sgpr_workgroup_id_z 0
		.amdhsa_system_sgpr_workgroup_info 0
		.amdhsa_system_vgpr_workitem_id 0
		.amdhsa_next_free_vgpr 3
		.amdhsa_next_free_sgpr 16
		.amdhsa_reserve_vcc 1
		.amdhsa_float_round_mode_32 0
		.amdhsa_float_round_mode_16_64 0
		.amdhsa_float_denorm_mode_32 3
		.amdhsa_float_denorm_mode_16_64 3
		.amdhsa_dx10_clamp 1
		.amdhsa_ieee_mode 1
		.amdhsa_fp16_overflow 0
		.amdhsa_workgroup_processor_mode 1
		.amdhsa_memory_ordered 1
		.amdhsa_forward_progress 0
		.amdhsa_shared_vgpr_count 0
		.amdhsa_exception_fp_ieee_invalid_op 0
		.amdhsa_exception_fp_denorm_src 0
		.amdhsa_exception_fp_ieee_div_zero 0
		.amdhsa_exception_fp_ieee_overflow 0
		.amdhsa_exception_fp_ieee_underflow 0
		.amdhsa_exception_fp_ieee_inexact 0
		.amdhsa_exception_int_div_zero 0
	.end_amdhsa_kernel
	.section	.text._ZN7rocprim6detail16transform_kernelINS0_24wrapped_transform_configINS_14default_configEfEEfPfS5_NS_8identityIfEEEEvT1_mT2_T3_,"axG",@progbits,_ZN7rocprim6detail16transform_kernelINS0_24wrapped_transform_configINS_14default_configEfEEfPfS5_NS_8identityIfEEEEvT1_mT2_T3_,comdat
.Lfunc_end151:
	.size	_ZN7rocprim6detail16transform_kernelINS0_24wrapped_transform_configINS_14default_configEfEEfPfS5_NS_8identityIfEEEEvT1_mT2_T3_, .Lfunc_end151-_ZN7rocprim6detail16transform_kernelINS0_24wrapped_transform_configINS_14default_configEfEEfPfS5_NS_8identityIfEEEEvT1_mT2_T3_
                                        ; -- End function
	.section	.AMDGPU.csdata,"",@progbits
; Kernel info:
; codeLenInByte = 208
; NumSgprs: 18
; NumVgprs: 3
; ScratchSize: 0
; MemoryBound: 0
; FloatMode: 240
; IeeeMode: 1
; LDSByteSize: 0 bytes/workgroup (compile time only)
; SGPRBlocks: 2
; VGPRBlocks: 0
; NumSGPRsForWavesPerEU: 18
; NumVGPRsForWavesPerEU: 3
; Occupancy: 16
; WaveLimiterHint : 0
; COMPUTE_PGM_RSRC2:SCRATCH_EN: 0
; COMPUTE_PGM_RSRC2:USER_SGPR: 15
; COMPUTE_PGM_RSRC2:TRAP_HANDLER: 0
; COMPUTE_PGM_RSRC2:TGID_X_EN: 1
; COMPUTE_PGM_RSRC2:TGID_Y_EN: 0
; COMPUTE_PGM_RSRC2:TGID_Z_EN: 0
; COMPUTE_PGM_RSRC2:TIDIG_COMP_CNT: 0
	.section	.text._ZN7rocprim6detail18single_scan_kernelILb1ENS0_19wrapped_scan_configINS_14default_configEfEEN6hipcub22TransformInputIteratorIsNS5_6CastOpIsEEPslEEPfNS5_3MaxENS_12future_valueIfSB_EEfEEvT1_mT4_T2_T3_,"axG",@progbits,_ZN7rocprim6detail18single_scan_kernelILb1ENS0_19wrapped_scan_configINS_14default_configEfEEN6hipcub22TransformInputIteratorIsNS5_6CastOpIsEEPslEEPfNS5_3MaxENS_12future_valueIfSB_EEfEEvT1_mT4_T2_T3_,comdat
	.protected	_ZN7rocprim6detail18single_scan_kernelILb1ENS0_19wrapped_scan_configINS_14default_configEfEEN6hipcub22TransformInputIteratorIsNS5_6CastOpIsEEPslEEPfNS5_3MaxENS_12future_valueIfSB_EEfEEvT1_mT4_T2_T3_ ; -- Begin function _ZN7rocprim6detail18single_scan_kernelILb1ENS0_19wrapped_scan_configINS_14default_configEfEEN6hipcub22TransformInputIteratorIsNS5_6CastOpIsEEPslEEPfNS5_3MaxENS_12future_valueIfSB_EEfEEvT1_mT4_T2_T3_
	.globl	_ZN7rocprim6detail18single_scan_kernelILb1ENS0_19wrapped_scan_configINS_14default_configEfEEN6hipcub22TransformInputIteratorIsNS5_6CastOpIsEEPslEEPfNS5_3MaxENS_12future_valueIfSB_EEfEEvT1_mT4_T2_T3_
	.p2align	8
	.type	_ZN7rocprim6detail18single_scan_kernelILb1ENS0_19wrapped_scan_configINS_14default_configEfEEN6hipcub22TransformInputIteratorIsNS5_6CastOpIsEEPslEEPfNS5_3MaxENS_12future_valueIfSB_EEfEEvT1_mT4_T2_T3_,@function
_ZN7rocprim6detail18single_scan_kernelILb1ENS0_19wrapped_scan_configINS_14default_configEfEEN6hipcub22TransformInputIteratorIsNS5_6CastOpIsEEPslEEPfNS5_3MaxENS_12future_valueIfSB_EEfEEvT1_mT4_T2_T3_: ; @_ZN7rocprim6detail18single_scan_kernelILb1ENS0_19wrapped_scan_configINS_14default_configEfEEN6hipcub22TransformInputIteratorIsNS5_6CastOpIsEEPslEEPfNS5_3MaxENS_12future_valueIfSB_EEfEEvT1_mT4_T2_T3_
; %bb.0:
	s_clause 0x1
	s_load_b64 s[2:3], s[0:1], 0x0
	s_load_b128 s[16:19], s[0:1], 0x10
	v_dual_mov_b32 v1, 0 :: v_dual_lshlrev_b32 v2, 1, v0
	s_waitcnt lgkmcnt(0)
	global_load_i16 v1, v1, s[2:3]
	v_cmp_gt_u32_e32 vcc_lo, s16, v0
	s_waitcnt vmcnt(0)
	v_cvt_f32_i32_e32 v18, v1
	v_add_co_u32 v1, s2, s2, v2
	s_delay_alu instid0(VALU_DEP_1) | instskip(NEXT) | instid1(VALU_DEP_3)
	v_add_co_ci_u32_e64 v2, null, s3, 0, s2
	v_mov_b32_e32 v16, v18
	v_mov_b32_e32 v15, v18
	;; [unrolled: 1-line block ×15, first 2 shown]
	s_and_saveexec_b32 s2, vcc_lo
	s_cbranch_execz .LBB152_2
; %bb.1:
	global_load_i16 v17, v[1:2], off
	s_waitcnt vmcnt(0)
	v_cvt_f32_i32_e32 v20, v17
.LBB152_2:
	s_or_b32 exec_lo, exec_lo, s2
	v_or_b32_e32 v17, 64, v0
	s_delay_alu instid0(VALU_DEP_1) | instskip(NEXT) | instid1(VALU_DEP_1)
	v_cmp_gt_u32_e64 s2, s16, v17
	s_and_saveexec_b32 s3, s2
	s_cbranch_execz .LBB152_4
; %bb.3:
	global_load_i16 v18, v[1:2], off offset:128
	s_waitcnt vmcnt(0)
	v_cvt_f32_i32_e32 v18, v18
.LBB152_4:
	s_or_b32 exec_lo, exec_lo, s3
	v_or_b32_e32 v19, 0x80, v0
	s_delay_alu instid0(VALU_DEP_1) | instskip(NEXT) | instid1(VALU_DEP_1)
	v_cmp_gt_u32_e64 s3, s16, v19
	s_and_saveexec_b32 s4, s3
	s_cbranch_execz .LBB152_6
; %bb.5:
	global_load_i16 v16, v[1:2], off offset:256
	s_waitcnt vmcnt(0)
	v_cvt_f32_i32_e32 v16, v16
.LBB152_6:
	;; [unrolled: 11-line block ×15, first 2 shown]
	s_or_b32 exec_lo, exec_lo, s17
	v_lshrrev_b32_e32 v1, 3, v0
	v_lshrrev_b32_e32 v2, 3, v17
	v_lshlrev_b32_e32 v17, 2, v0
	v_lshrrev_b32_e32 v35, 3, v19
	v_lshrrev_b32_e32 v23, 3, v23
	v_and_b32_e32 v30, 4, v1
	v_and_b32_e32 v1, 12, v2
	v_lshrrev_b32_e32 v2, 3, v21
	v_lshrrev_b32_e32 v22, 3, v22
	s_load_b32 s20, s[18:19], 0x0
	v_add_nc_u32_e32 v19, v30, v17
	v_add_nc_u32_e32 v21, v1, v17
	v_and_b32_e32 v1, 28, v35
	v_and_b32_e32 v2, 28, v2
	;; [unrolled: 1-line block ×3, first 2 shown]
	ds_store_b32 v19, v20
	ds_store_b32 v21, v18 offset:256
	v_add_nc_u32_e32 v18, v1, v17
	v_and_b32_e32 v1, 60, v23
	v_add_nc_u32_e32 v20, v2, v17
	v_lshrrev_b32_e32 v2, 3, v24
	v_add_nc_u32_e32 v22, v22, v17
	ds_store_b32 v18, v16 offset:512
	v_add_nc_u32_e32 v23, v1, v17
	ds_store_b32 v20, v15 offset:768
	ds_store_b32 v22, v14 offset:1024
	v_and_b32_e32 v1, 60, v2
	v_lshrrev_b32_e32 v2, 3, v25
	ds_store_b32 v23, v13 offset:1280
	v_lshrrev_b32_e32 v13, 3, v26
	v_lshrrev_b32_e32 v14, 3, v27
	v_add_nc_u32_e32 v24, v1, v17
	v_and_b32_e32 v1, 60, v2
	v_lshrrev_b32_e32 v2, 3, v28
	v_and_b32_e32 v13, 0x7c, v13
	v_and_b32_e32 v14, 0x7c, v14
	ds_store_b32 v24, v12 offset:1536
	v_add_nc_u32_e32 v25, v1, v17
	v_and_b32_e32 v1, 0x7c, v2
	v_lshrrev_b32_e32 v2, 3, v29
	v_add_nc_u32_e32 v26, v13, v17
	v_add_nc_u32_e32 v27, v14, v17
	ds_store_b32 v25, v11 offset:1792
	v_add_nc_u32_e32 v28, v1, v17
	v_and_b32_e32 v1, 0x7c, v2
	v_lshrrev_b32_e32 v2, 3, v31
	ds_store_b32 v26, v10 offset:2048
	ds_store_b32 v27, v9 offset:2304
	v_lshrrev_b32_e32 v9, 3, v33
	ds_store_b32 v28, v8 offset:2560
	v_add_nc_u32_e32 v29, v1, v17
	v_and_b32_e32 v1, 0x7c, v2
	v_lshrrev_b32_e32 v2, 3, v34
	v_lshrrev_b32_e32 v8, 3, v32
	v_and_b32_e32 v9, 0x7c, v9
	ds_store_b32 v29, v7 offset:2816
	v_add_nc_u32_e32 v31, v1, v17
	v_and_b32_e32 v1, 0x7c, v2
	v_lshlrev_b32_e32 v2, 4, v0
	v_lshrrev_b32_e32 v7, 1, v0
	v_and_b32_e32 v8, 0x7c, v8
	v_add_nc_u32_e32 v33, v9, v17
	v_add_nc_u32_e32 v34, v1, v17
	s_delay_alu instid0(VALU_DEP_4) | instskip(NEXT) | instid1(VALU_DEP_4)
	v_add_lshl_u32 v35, v7, v2, 2
	v_add_nc_u32_e32 v32, v8, v17
	ds_store_b32 v31, v6 offset:3072
	ds_store_b32 v32, v5 offset:3328
	;; [unrolled: 1-line block ×4, first 2 shown]
	s_waitcnt lgkmcnt(0)
	s_barrier
	buffer_gl0_inv
	ds_load_2addr_b32 v[9:10], v35 offset1:1
	ds_load_2addr_b32 v[5:6], v35 offset0:2 offset1:3
	ds_load_2addr_b32 v[3:4], v35 offset0:4 offset1:5
	;; [unrolled: 1-line block ×5, first 2 shown]
	s_waitcnt lgkmcnt(5)
	v_cmp_lt_f32_e64 s17, v9, v10
	s_delay_alu instid0(VALU_DEP_1) | instskip(SKIP_1) | instid1(VALU_DEP_1)
	v_cndmask_b32_e64 v7, v9, v10, s17
	s_waitcnt lgkmcnt(4)
	v_cmp_lt_f32_e64 s17, v7, v5
	s_delay_alu instid0(VALU_DEP_1) | instskip(NEXT) | instid1(VALU_DEP_1)
	v_cndmask_b32_e64 v7, v7, v5, s17
	v_cmp_lt_f32_e64 s17, v7, v6
	s_delay_alu instid0(VALU_DEP_1) | instskip(SKIP_1) | instid1(VALU_DEP_1)
	v_cndmask_b32_e64 v7, v7, v6, s17
	s_waitcnt lgkmcnt(3)
	v_cmp_lt_f32_e64 s17, v7, v3
	s_delay_alu instid0(VALU_DEP_1) | instskip(NEXT) | instid1(VALU_DEP_1)
	v_cndmask_b32_e64 v7, v7, v3, s17
	;; [unrolled: 7-line block ×3, first 2 shown]
	v_cmp_lt_f32_e64 s17, v7, v2
	s_delay_alu instid0(VALU_DEP_1)
	v_cndmask_b32_e64 v36, v7, v2, s17
	ds_load_2addr_b32 v[13:14], v35 offset0:12 offset1:13
	ds_load_2addr_b32 v[7:8], v35 offset0:14 offset1:15
	s_waitcnt lgkmcnt(0)
	s_barrier
	buffer_gl0_inv
	v_cmp_lt_f32_e64 s17, v36, v11
	s_delay_alu instid0(VALU_DEP_1) | instskip(NEXT) | instid1(VALU_DEP_1)
	v_cndmask_b32_e64 v36, v36, v11, s17
	v_cmp_lt_f32_e64 s17, v36, v12
	s_delay_alu instid0(VALU_DEP_1) | instskip(NEXT) | instid1(VALU_DEP_1)
	v_cndmask_b32_e64 v36, v36, v12, s17
	;; [unrolled: 3-line block ×6, first 2 shown]
	v_cmp_lt_f32_e64 s17, v36, v7
	s_delay_alu instid0(VALU_DEP_1) | instskip(SKIP_1) | instid1(VALU_DEP_2)
	v_cndmask_b32_e64 v37, v36, v7, s17
	v_mbcnt_lo_u32_b32 v36, -1, 0
	v_cmp_lt_f32_e64 s17, v37, v8
	s_delay_alu instid0(VALU_DEP_1) | instskip(NEXT) | instid1(VALU_DEP_3)
	v_cndmask_b32_e64 v8, v37, v8, s17
	v_and_b32_e32 v37, 15, v36
	s_delay_alu instid0(VALU_DEP_2) | instskip(NEXT) | instid1(VALU_DEP_2)
	v_mov_b32_dpp v38, v8 row_shr:1 row_mask:0xf bank_mask:0xf
	v_cmp_eq_u32_e64 s17, 0, v37
	s_delay_alu instid0(VALU_DEP_2) | instskip(NEXT) | instid1(VALU_DEP_1)
	v_cmp_gt_f32_e64 s18, v8, v38
	s_or_b32 s17, s17, s18
	s_load_b64 s[18:19], s[0:1], 0x20
	v_cndmask_b32_e64 v8, v38, v8, s17
	s_delay_alu instid0(VALU_DEP_1) | instskip(NEXT) | instid1(VALU_DEP_1)
	v_mov_b32_dpp v38, v8 row_shr:2 row_mask:0xf bank_mask:0xf
	v_cmp_gt_f32_e64 s17, v8, v38
	s_delay_alu instid0(VALU_DEP_1) | instskip(SKIP_1) | instid1(VALU_DEP_1)
	v_cndmask_b32_e64 v38, v38, v8, s17
	v_cmp_lt_u32_e64 s17, 1, v37
	v_cndmask_b32_e64 v8, v8, v38, s17
	s_delay_alu instid0(VALU_DEP_1) | instskip(NEXT) | instid1(VALU_DEP_1)
	v_mov_b32_dpp v38, v8 row_shr:4 row_mask:0xf bank_mask:0xf
	v_cmp_gt_f32_e64 s17, v8, v38
	s_delay_alu instid0(VALU_DEP_1) | instskip(SKIP_1) | instid1(VALU_DEP_1)
	v_cndmask_b32_e64 v38, v38, v8, s17
	v_cmp_lt_u32_e64 s17, 3, v37
	;; [unrolled: 7-line block ×3, first 2 shown]
	v_cndmask_b32_e64 v8, v8, v38, s17
	v_and_b32_e32 v38, 16, v36
	ds_swizzle_b32 v37, v8 offset:swizzle(BROADCAST,32,15)
	v_cmp_eq_u32_e64 s0, 0, v38
	v_or_b32_e32 v38, 31, v0
	s_waitcnt lgkmcnt(0)
	v_cmp_gt_f32_e64 s1, v8, v37
	s_delay_alu instid0(VALU_DEP_1)
	s_or_b32 s0, s0, s1
	s_mov_b32 s1, exec_lo
	v_cndmask_b32_e64 v8, v37, v8, s0
	v_cmpx_eq_u32_e64 v38, v0
	s_cbranch_execz .LBB152_34
; %bb.33:
	ds_store_b32 v30, v8
.LBB152_34:
	s_or_b32 exec_lo, exec_lo, s1
	s_delay_alu instid0(SALU_CYCLE_1)
	s_mov_b32 s17, exec_lo
	s_waitcnt lgkmcnt(0)
	s_barrier
	buffer_gl0_inv
	v_cmpx_gt_u32_e32 2, v0
	s_cbranch_execz .LBB152_36
; %bb.35:
	ds_load_b32 v37, v17
	v_and_b32_e32 v38, 1, v36
	s_delay_alu instid0(VALU_DEP_1) | instskip(SKIP_2) | instid1(VALU_DEP_1)
	v_cmp_eq_u32_e64 s0, 0, v38
	s_waitcnt lgkmcnt(0)
	v_mov_b32_dpp v39, v37 row_shr:1 row_mask:0xf bank_mask:0xf
	v_cmp_gt_f32_e64 s1, v37, v39
	s_delay_alu instid0(VALU_DEP_1) | instskip(NEXT) | instid1(SALU_CYCLE_1)
	s_or_b32 s0, s0, s1
	v_cndmask_b32_e64 v37, v39, v37, s0
	ds_store_b32 v17, v37
.LBB152_36:
	s_or_b32 exec_lo, exec_lo, s17
	v_mov_b32_e32 v37, s20
	s_mov_b32 s1, exec_lo
	s_waitcnt lgkmcnt(0)
	s_barrier
	buffer_gl0_inv
	v_cmpx_lt_u32_e32 31, v0
	s_cbranch_execz .LBB152_38
; %bb.37:
	v_add_nc_u32_e32 v30, -4, v30
	ds_load_b32 v30, v30
	s_waitcnt lgkmcnt(0)
	v_cmp_lt_f32_e64 s0, s20, v30
	s_delay_alu instid0(VALU_DEP_1)
	v_cndmask_b32_e64 v37, s20, v30, s0
.LBB152_38:
	s_or_b32 exec_lo, exec_lo, s1
	v_add_nc_u32_e32 v30, -1, v36
	s_barrier
	buffer_gl0_inv
	v_cmp_gt_i32_e64 s0, 0, v30
	s_delay_alu instid0(VALU_DEP_1) | instskip(SKIP_1) | instid1(VALU_DEP_2)
	v_cndmask_b32_e64 v30, v30, v36, s0
	v_cmp_lt_f32_e64 s0, v37, v8
	v_lshlrev_b32_e32 v30, 2, v30
	s_delay_alu instid0(VALU_DEP_2)
	v_cndmask_b32_e64 v8, v37, v8, s0
	v_cmp_eq_u32_e64 s0, 0, v36
	ds_bpermute_b32 v8, v30, v8
	s_waitcnt lgkmcnt(0)
	v_cndmask_b32_e64 v8, v8, v37, s0
	v_cmp_eq_u32_e64 s0, 0, v0
	s_delay_alu instid0(VALU_DEP_1) | instskip(NEXT) | instid1(VALU_DEP_1)
	v_cndmask_b32_e64 v0, v8, s20, s0
	v_cmp_lt_f32_e64 s0, v0, v9
	s_delay_alu instid0(VALU_DEP_1) | instskip(NEXT) | instid1(VALU_DEP_1)
	v_cndmask_b32_e64 v8, v0, v9, s0
	v_cmp_lt_f32_e64 s0, v8, v10
	;; [unrolled: 3-line block ×15, first 2 shown]
	s_delay_alu instid0(VALU_DEP_1)
	v_cndmask_b32_e64 v7, v14, v7, s0
	ds_store_2addr_b32 v35, v0, v8 offset1:1
	ds_store_2addr_b32 v35, v9, v5 offset0:2 offset1:3
	ds_store_2addr_b32 v35, v6, v3 offset0:4 offset1:5
	ds_store_2addr_b32 v35, v4, v1 offset0:6 offset1:7
	ds_store_2addr_b32 v35, v2, v10 offset0:8 offset1:9
	ds_store_2addr_b32 v35, v11, v12 offset0:10 offset1:11
	ds_store_2addr_b32 v35, v15, v13 offset0:12 offset1:13
	ds_store_2addr_b32 v35, v14, v7 offset0:14 offset1:15
	s_waitcnt lgkmcnt(0)
	s_barrier
	buffer_gl0_inv
	ds_load_b32 v16, v21 offset:256
	ds_load_b32 v15, v18 offset:512
	;; [unrolled: 1-line block ×15, first 2 shown]
	v_add_co_u32 v0, s0, s18, v17
	s_delay_alu instid0(VALU_DEP_1)
	v_add_co_ci_u32_e64 v1, null, s19, 0, s0
	s_and_saveexec_b32 s0, vcc_lo
	s_cbranch_execnz .LBB152_55
; %bb.39:
	s_or_b32 exec_lo, exec_lo, s0
	s_and_saveexec_b32 s0, s2
	s_cbranch_execnz .LBB152_56
.LBB152_40:
	s_or_b32 exec_lo, exec_lo, s0
	s_and_saveexec_b32 s0, s3
	s_cbranch_execnz .LBB152_57
.LBB152_41:
	s_or_b32 exec_lo, exec_lo, s0
	s_and_saveexec_b32 s0, s4
	s_cbranch_execnz .LBB152_58
.LBB152_42:
	s_or_b32 exec_lo, exec_lo, s0
	s_and_saveexec_b32 s0, s5
	s_cbranch_execnz .LBB152_59
.LBB152_43:
	s_or_b32 exec_lo, exec_lo, s0
	s_and_saveexec_b32 s0, s6
	s_cbranch_execnz .LBB152_60
.LBB152_44:
	s_or_b32 exec_lo, exec_lo, s0
	s_and_saveexec_b32 s0, s7
	s_cbranch_execnz .LBB152_61
.LBB152_45:
	s_or_b32 exec_lo, exec_lo, s0
	s_and_saveexec_b32 s0, s8
	s_cbranch_execnz .LBB152_62
.LBB152_46:
	s_or_b32 exec_lo, exec_lo, s0
	s_and_saveexec_b32 s0, s9
	s_cbranch_execnz .LBB152_63
.LBB152_47:
	s_or_b32 exec_lo, exec_lo, s0
	s_and_saveexec_b32 s0, s10
	s_cbranch_execnz .LBB152_64
.LBB152_48:
	s_or_b32 exec_lo, exec_lo, s0
	s_and_saveexec_b32 s0, s11
	s_cbranch_execnz .LBB152_65
.LBB152_49:
	s_or_b32 exec_lo, exec_lo, s0
	s_and_saveexec_b32 s0, s12
	s_cbranch_execnz .LBB152_66
.LBB152_50:
	s_or_b32 exec_lo, exec_lo, s0
	s_and_saveexec_b32 s0, s13
	s_cbranch_execnz .LBB152_67
.LBB152_51:
	s_or_b32 exec_lo, exec_lo, s0
	s_and_saveexec_b32 s0, s14
	s_cbranch_execnz .LBB152_68
.LBB152_52:
	s_or_b32 exec_lo, exec_lo, s0
	s_and_saveexec_b32 s0, s15
	s_cbranch_execnz .LBB152_69
.LBB152_53:
	s_or_b32 exec_lo, exec_lo, s0
	s_and_saveexec_b32 s0, s16
	s_cbranch_execnz .LBB152_70
.LBB152_54:
	s_nop 0
	s_sendmsg sendmsg(MSG_DEALLOC_VGPRS)
	s_endpgm
.LBB152_55:
	ds_load_b32 v17, v19
	s_waitcnt lgkmcnt(0)
	global_store_b32 v[0:1], v17, off
	s_or_b32 exec_lo, exec_lo, s0
	s_and_saveexec_b32 s0, s2
	s_cbranch_execz .LBB152_40
.LBB152_56:
	s_waitcnt lgkmcnt(14)
	global_store_b32 v[0:1], v16, off offset:256
	s_or_b32 exec_lo, exec_lo, s0
	s_and_saveexec_b32 s0, s3
	s_cbranch_execz .LBB152_41
.LBB152_57:
	s_waitcnt lgkmcnt(13)
	global_store_b32 v[0:1], v15, off offset:512
	s_or_b32 exec_lo, exec_lo, s0
	s_and_saveexec_b32 s0, s4
	s_cbranch_execz .LBB152_42
.LBB152_58:
	s_waitcnt lgkmcnt(12)
	global_store_b32 v[0:1], v14, off offset:768
	s_or_b32 exec_lo, exec_lo, s0
	s_and_saveexec_b32 s0, s5
	s_cbranch_execz .LBB152_43
.LBB152_59:
	s_waitcnt lgkmcnt(11)
	global_store_b32 v[0:1], v13, off offset:1024
	s_or_b32 exec_lo, exec_lo, s0
	s_and_saveexec_b32 s0, s6
	s_cbranch_execz .LBB152_44
.LBB152_60:
	s_waitcnt lgkmcnt(10)
	global_store_b32 v[0:1], v12, off offset:1280
	s_or_b32 exec_lo, exec_lo, s0
	s_and_saveexec_b32 s0, s7
	s_cbranch_execz .LBB152_45
.LBB152_61:
	s_waitcnt lgkmcnt(9)
	global_store_b32 v[0:1], v11, off offset:1536
	s_or_b32 exec_lo, exec_lo, s0
	s_and_saveexec_b32 s0, s8
	s_cbranch_execz .LBB152_46
.LBB152_62:
	s_waitcnt lgkmcnt(8)
	global_store_b32 v[0:1], v10, off offset:1792
	s_or_b32 exec_lo, exec_lo, s0
	s_and_saveexec_b32 s0, s9
	s_cbranch_execz .LBB152_47
.LBB152_63:
	s_waitcnt lgkmcnt(7)
	global_store_b32 v[0:1], v9, off offset:2048
	s_or_b32 exec_lo, exec_lo, s0
	s_and_saveexec_b32 s0, s10
	s_cbranch_execz .LBB152_48
.LBB152_64:
	s_waitcnt lgkmcnt(6)
	global_store_b32 v[0:1], v8, off offset:2304
	s_or_b32 exec_lo, exec_lo, s0
	s_and_saveexec_b32 s0, s11
	s_cbranch_execz .LBB152_49
.LBB152_65:
	s_waitcnt lgkmcnt(5)
	global_store_b32 v[0:1], v7, off offset:2560
	s_or_b32 exec_lo, exec_lo, s0
	s_and_saveexec_b32 s0, s12
	s_cbranch_execz .LBB152_50
.LBB152_66:
	s_waitcnt lgkmcnt(4)
	global_store_b32 v[0:1], v6, off offset:2816
	s_or_b32 exec_lo, exec_lo, s0
	s_and_saveexec_b32 s0, s13
	s_cbranch_execz .LBB152_51
.LBB152_67:
	s_waitcnt lgkmcnt(3)
	global_store_b32 v[0:1], v5, off offset:3072
	s_or_b32 exec_lo, exec_lo, s0
	s_and_saveexec_b32 s0, s14
	s_cbranch_execz .LBB152_52
.LBB152_68:
	s_waitcnt lgkmcnt(2)
	global_store_b32 v[0:1], v4, off offset:3328
	s_or_b32 exec_lo, exec_lo, s0
	s_and_saveexec_b32 s0, s15
	s_cbranch_execz .LBB152_53
.LBB152_69:
	s_waitcnt lgkmcnt(1)
	global_store_b32 v[0:1], v3, off offset:3584
	s_or_b32 exec_lo, exec_lo, s0
	s_and_saveexec_b32 s0, s16
	s_cbranch_execz .LBB152_54
.LBB152_70:
	s_waitcnt lgkmcnt(0)
	global_store_b32 v[0:1], v2, off offset:3840
	s_nop 0
	s_sendmsg sendmsg(MSG_DEALLOC_VGPRS)
	s_endpgm
	.section	.rodata,"a",@progbits
	.p2align	6, 0x0
	.amdhsa_kernel _ZN7rocprim6detail18single_scan_kernelILb1ENS0_19wrapped_scan_configINS_14default_configEfEEN6hipcub22TransformInputIteratorIsNS5_6CastOpIsEEPslEEPfNS5_3MaxENS_12future_valueIfSB_EEfEEvT1_mT4_T2_T3_
		.amdhsa_group_segment_fixed_size 4224
		.amdhsa_private_segment_fixed_size 0
		.amdhsa_kernarg_size 44
		.amdhsa_user_sgpr_count 15
		.amdhsa_user_sgpr_dispatch_ptr 0
		.amdhsa_user_sgpr_queue_ptr 0
		.amdhsa_user_sgpr_kernarg_segment_ptr 1
		.amdhsa_user_sgpr_dispatch_id 0
		.amdhsa_user_sgpr_private_segment_size 0
		.amdhsa_wavefront_size32 1
		.amdhsa_uses_dynamic_stack 0
		.amdhsa_enable_private_segment 0
		.amdhsa_system_sgpr_workgroup_id_x 1
		.amdhsa_system_sgpr_workgroup_id_y 0
		.amdhsa_system_sgpr_workgroup_id_z 0
		.amdhsa_system_sgpr_workgroup_info 0
		.amdhsa_system_vgpr_workitem_id 0
		.amdhsa_next_free_vgpr 40
		.amdhsa_next_free_sgpr 21
		.amdhsa_reserve_vcc 1
		.amdhsa_float_round_mode_32 0
		.amdhsa_float_round_mode_16_64 0
		.amdhsa_float_denorm_mode_32 3
		.amdhsa_float_denorm_mode_16_64 3
		.amdhsa_dx10_clamp 1
		.amdhsa_ieee_mode 1
		.amdhsa_fp16_overflow 0
		.amdhsa_workgroup_processor_mode 1
		.amdhsa_memory_ordered 1
		.amdhsa_forward_progress 0
		.amdhsa_shared_vgpr_count 0
		.amdhsa_exception_fp_ieee_invalid_op 0
		.amdhsa_exception_fp_denorm_src 0
		.amdhsa_exception_fp_ieee_div_zero 0
		.amdhsa_exception_fp_ieee_overflow 0
		.amdhsa_exception_fp_ieee_underflow 0
		.amdhsa_exception_fp_ieee_inexact 0
		.amdhsa_exception_int_div_zero 0
	.end_amdhsa_kernel
	.section	.text._ZN7rocprim6detail18single_scan_kernelILb1ENS0_19wrapped_scan_configINS_14default_configEfEEN6hipcub22TransformInputIteratorIsNS5_6CastOpIsEEPslEEPfNS5_3MaxENS_12future_valueIfSB_EEfEEvT1_mT4_T2_T3_,"axG",@progbits,_ZN7rocprim6detail18single_scan_kernelILb1ENS0_19wrapped_scan_configINS_14default_configEfEEN6hipcub22TransformInputIteratorIsNS5_6CastOpIsEEPslEEPfNS5_3MaxENS_12future_valueIfSB_EEfEEvT1_mT4_T2_T3_,comdat
.Lfunc_end152:
	.size	_ZN7rocprim6detail18single_scan_kernelILb1ENS0_19wrapped_scan_configINS_14default_configEfEEN6hipcub22TransformInputIteratorIsNS5_6CastOpIsEEPslEEPfNS5_3MaxENS_12future_valueIfSB_EEfEEvT1_mT4_T2_T3_, .Lfunc_end152-_ZN7rocprim6detail18single_scan_kernelILb1ENS0_19wrapped_scan_configINS_14default_configEfEEN6hipcub22TransformInputIteratorIsNS5_6CastOpIsEEPslEEPfNS5_3MaxENS_12future_valueIfSB_EEfEEvT1_mT4_T2_T3_
                                        ; -- End function
	.section	.AMDGPU.csdata,"",@progbits
; Kernel info:
; codeLenInByte = 3356
; NumSgprs: 23
; NumVgprs: 40
; ScratchSize: 0
; MemoryBound: 0
; FloatMode: 240
; IeeeMode: 1
; LDSByteSize: 4224 bytes/workgroup (compile time only)
; SGPRBlocks: 2
; VGPRBlocks: 4
; NumSGPRsForWavesPerEU: 23
; NumVGPRsForWavesPerEU: 40
; Occupancy: 16
; WaveLimiterHint : 0
; COMPUTE_PGM_RSRC2:SCRATCH_EN: 0
; COMPUTE_PGM_RSRC2:USER_SGPR: 15
; COMPUTE_PGM_RSRC2:TRAP_HANDLER: 0
; COMPUTE_PGM_RSRC2:TGID_X_EN: 1
; COMPUTE_PGM_RSRC2:TGID_Y_EN: 0
; COMPUTE_PGM_RSRC2:TGID_Z_EN: 0
; COMPUTE_PGM_RSRC2:TIDIG_COMP_CNT: 0
	.section	.text._ZL18fill_initial_valueIfEvPT_S0_,"axG",@progbits,_ZL18fill_initial_valueIfEvPT_S0_,comdat
	.globl	_ZL18fill_initial_valueIfEvPT_S0_ ; -- Begin function _ZL18fill_initial_valueIfEvPT_S0_
	.p2align	8
	.type	_ZL18fill_initial_valueIfEvPT_S0_,@function
_ZL18fill_initial_valueIfEvPT_S0_:      ; @_ZL18fill_initial_valueIfEvPT_S0_
; %bb.0:
	s_clause 0x1
	s_load_b32 s2, s[0:1], 0x8
	s_load_b64 s[0:1], s[0:1], 0x0
	s_waitcnt lgkmcnt(0)
	v_dual_mov_b32 v0, 0 :: v_dual_mov_b32 v1, s2
	global_store_b32 v0, v1, s[0:1]
	s_nop 0
	s_sendmsg sendmsg(MSG_DEALLOC_VGPRS)
	s_endpgm
	.section	.rodata,"a",@progbits
	.p2align	6, 0x0
	.amdhsa_kernel _ZL18fill_initial_valueIfEvPT_S0_
		.amdhsa_group_segment_fixed_size 0
		.amdhsa_private_segment_fixed_size 0
		.amdhsa_kernarg_size 12
		.amdhsa_user_sgpr_count 15
		.amdhsa_user_sgpr_dispatch_ptr 0
		.amdhsa_user_sgpr_queue_ptr 0
		.amdhsa_user_sgpr_kernarg_segment_ptr 1
		.amdhsa_user_sgpr_dispatch_id 0
		.amdhsa_user_sgpr_private_segment_size 0
		.amdhsa_wavefront_size32 1
		.amdhsa_uses_dynamic_stack 0
		.amdhsa_enable_private_segment 0
		.amdhsa_system_sgpr_workgroup_id_x 1
		.amdhsa_system_sgpr_workgroup_id_y 0
		.amdhsa_system_sgpr_workgroup_id_z 0
		.amdhsa_system_sgpr_workgroup_info 0
		.amdhsa_system_vgpr_workitem_id 0
		.amdhsa_next_free_vgpr 2
		.amdhsa_next_free_sgpr 3
		.amdhsa_reserve_vcc 0
		.amdhsa_float_round_mode_32 0
		.amdhsa_float_round_mode_16_64 0
		.amdhsa_float_denorm_mode_32 3
		.amdhsa_float_denorm_mode_16_64 3
		.amdhsa_dx10_clamp 1
		.amdhsa_ieee_mode 1
		.amdhsa_fp16_overflow 0
		.amdhsa_workgroup_processor_mode 1
		.amdhsa_memory_ordered 1
		.amdhsa_forward_progress 0
		.amdhsa_shared_vgpr_count 0
		.amdhsa_exception_fp_ieee_invalid_op 0
		.amdhsa_exception_fp_denorm_src 0
		.amdhsa_exception_fp_ieee_div_zero 0
		.amdhsa_exception_fp_ieee_overflow 0
		.amdhsa_exception_fp_ieee_underflow 0
		.amdhsa_exception_fp_ieee_inexact 0
		.amdhsa_exception_int_div_zero 0
	.end_amdhsa_kernel
	.section	.text._ZL18fill_initial_valueIfEvPT_S0_,"axG",@progbits,_ZL18fill_initial_valueIfEvPT_S0_,comdat
.Lfunc_end153:
	.size	_ZL18fill_initial_valueIfEvPT_S0_, .Lfunc_end153-_ZL18fill_initial_valueIfEvPT_S0_
                                        ; -- End function
	.section	.AMDGPU.csdata,"",@progbits
; Kernel info:
; codeLenInByte = 52
; NumSgprs: 3
; NumVgprs: 2
; ScratchSize: 0
; MemoryBound: 0
; FloatMode: 240
; IeeeMode: 1
; LDSByteSize: 0 bytes/workgroup (compile time only)
; SGPRBlocks: 0
; VGPRBlocks: 0
; NumSGPRsForWavesPerEU: 3
; NumVGPRsForWavesPerEU: 2
; Occupancy: 16
; WaveLimiterHint : 0
; COMPUTE_PGM_RSRC2:SCRATCH_EN: 0
; COMPUTE_PGM_RSRC2:USER_SGPR: 15
; COMPUTE_PGM_RSRC2:TRAP_HANDLER: 0
; COMPUTE_PGM_RSRC2:TGID_X_EN: 1
; COMPUTE_PGM_RSRC2:TGID_Y_EN: 0
; COMPUTE_PGM_RSRC2:TGID_Z_EN: 0
; COMPUTE_PGM_RSRC2:TIDIG_COMP_CNT: 0
	.section	.text._ZN7rocprim6detail20lookback_scan_kernelILNS0_25lookback_scan_determinismE0ELb1ENS0_19wrapped_scan_configINS_14default_configEmEEN6hipcub22TransformInputIteratorImNS6_6CastOpImEEPmlEESA_NS6_3SumENS_12future_valueImSA_EEmNS0_19lookback_scan_stateImLb1ELb1EEEEEvT2_T3_mT5_T4_T7_jPT6_SN_bb,"axG",@progbits,_ZN7rocprim6detail20lookback_scan_kernelILNS0_25lookback_scan_determinismE0ELb1ENS0_19wrapped_scan_configINS_14default_configEmEEN6hipcub22TransformInputIteratorImNS6_6CastOpImEEPmlEESA_NS6_3SumENS_12future_valueImSA_EEmNS0_19lookback_scan_stateImLb1ELb1EEEEEvT2_T3_mT5_T4_T7_jPT6_SN_bb,comdat
	.protected	_ZN7rocprim6detail20lookback_scan_kernelILNS0_25lookback_scan_determinismE0ELb1ENS0_19wrapped_scan_configINS_14default_configEmEEN6hipcub22TransformInputIteratorImNS6_6CastOpImEEPmlEESA_NS6_3SumENS_12future_valueImSA_EEmNS0_19lookback_scan_stateImLb1ELb1EEEEEvT2_T3_mT5_T4_T7_jPT6_SN_bb ; -- Begin function _ZN7rocprim6detail20lookback_scan_kernelILNS0_25lookback_scan_determinismE0ELb1ENS0_19wrapped_scan_configINS_14default_configEmEEN6hipcub22TransformInputIteratorImNS6_6CastOpImEEPmlEESA_NS6_3SumENS_12future_valueImSA_EEmNS0_19lookback_scan_stateImLb1ELb1EEEEEvT2_T3_mT5_T4_T7_jPT6_SN_bb
	.globl	_ZN7rocprim6detail20lookback_scan_kernelILNS0_25lookback_scan_determinismE0ELb1ENS0_19wrapped_scan_configINS_14default_configEmEEN6hipcub22TransformInputIteratorImNS6_6CastOpImEEPmlEESA_NS6_3SumENS_12future_valueImSA_EEmNS0_19lookback_scan_stateImLb1ELb1EEEEEvT2_T3_mT5_T4_T7_jPT6_SN_bb
	.p2align	8
	.type	_ZN7rocprim6detail20lookback_scan_kernelILNS0_25lookback_scan_determinismE0ELb1ENS0_19wrapped_scan_configINS_14default_configEmEEN6hipcub22TransformInputIteratorImNS6_6CastOpImEEPmlEESA_NS6_3SumENS_12future_valueImSA_EEmNS0_19lookback_scan_stateImLb1ELb1EEEEEvT2_T3_mT5_T4_T7_jPT6_SN_bb,@function
_ZN7rocprim6detail20lookback_scan_kernelILNS0_25lookback_scan_determinismE0ELb1ENS0_19wrapped_scan_configINS_14default_configEmEEN6hipcub22TransformInputIteratorImNS6_6CastOpImEEPmlEESA_NS6_3SumENS_12future_valueImSA_EEmNS0_19lookback_scan_stateImLb1ELb1EEEEEvT2_T3_mT5_T4_T7_jPT6_SN_bb: ; @_ZN7rocprim6detail20lookback_scan_kernelILNS0_25lookback_scan_determinismE0ELb1ENS0_19wrapped_scan_configINS_14default_configEmEEN6hipcub22TransformInputIteratorImNS6_6CastOpImEEPmlEESA_NS6_3SumENS_12future_valueImSA_EEmNS0_19lookback_scan_stateImLb1ELb1EEEEEvT2_T3_mT5_T4_T7_jPT6_SN_bb
; %bb.0:
	s_endpgm
	.section	.rodata,"a",@progbits
	.p2align	6, 0x0
	.amdhsa_kernel _ZN7rocprim6detail20lookback_scan_kernelILNS0_25lookback_scan_determinismE0ELb1ENS0_19wrapped_scan_configINS_14default_configEmEEN6hipcub22TransformInputIteratorImNS6_6CastOpImEEPmlEESA_NS6_3SumENS_12future_valueImSA_EEmNS0_19lookback_scan_stateImLb1ELb1EEEEEvT2_T3_mT5_T4_T7_jPT6_SN_bb
		.amdhsa_group_segment_fixed_size 0
		.amdhsa_private_segment_fixed_size 0
		.amdhsa_kernarg_size 84
		.amdhsa_user_sgpr_count 15
		.amdhsa_user_sgpr_dispatch_ptr 0
		.amdhsa_user_sgpr_queue_ptr 0
		.amdhsa_user_sgpr_kernarg_segment_ptr 1
		.amdhsa_user_sgpr_dispatch_id 0
		.amdhsa_user_sgpr_private_segment_size 0
		.amdhsa_wavefront_size32 1
		.amdhsa_uses_dynamic_stack 0
		.amdhsa_enable_private_segment 0
		.amdhsa_system_sgpr_workgroup_id_x 1
		.amdhsa_system_sgpr_workgroup_id_y 0
		.amdhsa_system_sgpr_workgroup_id_z 0
		.amdhsa_system_sgpr_workgroup_info 0
		.amdhsa_system_vgpr_workitem_id 0
		.amdhsa_next_free_vgpr 1
		.amdhsa_next_free_sgpr 1
		.amdhsa_reserve_vcc 0
		.amdhsa_float_round_mode_32 0
		.amdhsa_float_round_mode_16_64 0
		.amdhsa_float_denorm_mode_32 3
		.amdhsa_float_denorm_mode_16_64 3
		.amdhsa_dx10_clamp 1
		.amdhsa_ieee_mode 1
		.amdhsa_fp16_overflow 0
		.amdhsa_workgroup_processor_mode 1
		.amdhsa_memory_ordered 1
		.amdhsa_forward_progress 0
		.amdhsa_shared_vgpr_count 0
		.amdhsa_exception_fp_ieee_invalid_op 0
		.amdhsa_exception_fp_denorm_src 0
		.amdhsa_exception_fp_ieee_div_zero 0
		.amdhsa_exception_fp_ieee_overflow 0
		.amdhsa_exception_fp_ieee_underflow 0
		.amdhsa_exception_fp_ieee_inexact 0
		.amdhsa_exception_int_div_zero 0
	.end_amdhsa_kernel
	.section	.text._ZN7rocprim6detail20lookback_scan_kernelILNS0_25lookback_scan_determinismE0ELb1ENS0_19wrapped_scan_configINS_14default_configEmEEN6hipcub22TransformInputIteratorImNS6_6CastOpImEEPmlEESA_NS6_3SumENS_12future_valueImSA_EEmNS0_19lookback_scan_stateImLb1ELb1EEEEEvT2_T3_mT5_T4_T7_jPT6_SN_bb,"axG",@progbits,_ZN7rocprim6detail20lookback_scan_kernelILNS0_25lookback_scan_determinismE0ELb1ENS0_19wrapped_scan_configINS_14default_configEmEEN6hipcub22TransformInputIteratorImNS6_6CastOpImEEPmlEESA_NS6_3SumENS_12future_valueImSA_EEmNS0_19lookback_scan_stateImLb1ELb1EEEEEvT2_T3_mT5_T4_T7_jPT6_SN_bb,comdat
.Lfunc_end154:
	.size	_ZN7rocprim6detail20lookback_scan_kernelILNS0_25lookback_scan_determinismE0ELb1ENS0_19wrapped_scan_configINS_14default_configEmEEN6hipcub22TransformInputIteratorImNS6_6CastOpImEEPmlEESA_NS6_3SumENS_12future_valueImSA_EEmNS0_19lookback_scan_stateImLb1ELb1EEEEEvT2_T3_mT5_T4_T7_jPT6_SN_bb, .Lfunc_end154-_ZN7rocprim6detail20lookback_scan_kernelILNS0_25lookback_scan_determinismE0ELb1ENS0_19wrapped_scan_configINS_14default_configEmEEN6hipcub22TransformInputIteratorImNS6_6CastOpImEEPmlEESA_NS6_3SumENS_12future_valueImSA_EEmNS0_19lookback_scan_stateImLb1ELb1EEEEEvT2_T3_mT5_T4_T7_jPT6_SN_bb
                                        ; -- End function
	.section	.AMDGPU.csdata,"",@progbits
; Kernel info:
; codeLenInByte = 4
; NumSgprs: 0
; NumVgprs: 0
; ScratchSize: 0
; MemoryBound: 0
; FloatMode: 240
; IeeeMode: 1
; LDSByteSize: 0 bytes/workgroup (compile time only)
; SGPRBlocks: 0
; VGPRBlocks: 0
; NumSGPRsForWavesPerEU: 1
; NumVGPRsForWavesPerEU: 1
; Occupancy: 16
; WaveLimiterHint : 0
; COMPUTE_PGM_RSRC2:SCRATCH_EN: 0
; COMPUTE_PGM_RSRC2:USER_SGPR: 15
; COMPUTE_PGM_RSRC2:TRAP_HANDLER: 0
; COMPUTE_PGM_RSRC2:TGID_X_EN: 1
; COMPUTE_PGM_RSRC2:TGID_Y_EN: 0
; COMPUTE_PGM_RSRC2:TGID_Z_EN: 0
; COMPUTE_PGM_RSRC2:TIDIG_COMP_CNT: 0
	.section	.text._ZN7rocprim6detail20lookback_scan_kernelILNS0_25lookback_scan_determinismE0ELb1ENS0_19wrapped_scan_configINS_14default_configEmEEN6hipcub22TransformInputIteratorImNS6_6CastOpImEEPmlEESA_NS6_3SumENS_12future_valueImSA_EEmNS0_19lookback_scan_stateImLb0ELb1EEEEEvT2_T3_mT5_T4_T7_jPT6_SN_bb,"axG",@progbits,_ZN7rocprim6detail20lookback_scan_kernelILNS0_25lookback_scan_determinismE0ELb1ENS0_19wrapped_scan_configINS_14default_configEmEEN6hipcub22TransformInputIteratorImNS6_6CastOpImEEPmlEESA_NS6_3SumENS_12future_valueImSA_EEmNS0_19lookback_scan_stateImLb0ELb1EEEEEvT2_T3_mT5_T4_T7_jPT6_SN_bb,comdat
	.protected	_ZN7rocprim6detail20lookback_scan_kernelILNS0_25lookback_scan_determinismE0ELb1ENS0_19wrapped_scan_configINS_14default_configEmEEN6hipcub22TransformInputIteratorImNS6_6CastOpImEEPmlEESA_NS6_3SumENS_12future_valueImSA_EEmNS0_19lookback_scan_stateImLb0ELb1EEEEEvT2_T3_mT5_T4_T7_jPT6_SN_bb ; -- Begin function _ZN7rocprim6detail20lookback_scan_kernelILNS0_25lookback_scan_determinismE0ELb1ENS0_19wrapped_scan_configINS_14default_configEmEEN6hipcub22TransformInputIteratorImNS6_6CastOpImEEPmlEESA_NS6_3SumENS_12future_valueImSA_EEmNS0_19lookback_scan_stateImLb0ELb1EEEEEvT2_T3_mT5_T4_T7_jPT6_SN_bb
	.globl	_ZN7rocprim6detail20lookback_scan_kernelILNS0_25lookback_scan_determinismE0ELb1ENS0_19wrapped_scan_configINS_14default_configEmEEN6hipcub22TransformInputIteratorImNS6_6CastOpImEEPmlEESA_NS6_3SumENS_12future_valueImSA_EEmNS0_19lookback_scan_stateImLb0ELb1EEEEEvT2_T3_mT5_T4_T7_jPT6_SN_bb
	.p2align	8
	.type	_ZN7rocprim6detail20lookback_scan_kernelILNS0_25lookback_scan_determinismE0ELb1ENS0_19wrapped_scan_configINS_14default_configEmEEN6hipcub22TransformInputIteratorImNS6_6CastOpImEEPmlEESA_NS6_3SumENS_12future_valueImSA_EEmNS0_19lookback_scan_stateImLb0ELb1EEEEEvT2_T3_mT5_T4_T7_jPT6_SN_bb,@function
_ZN7rocprim6detail20lookback_scan_kernelILNS0_25lookback_scan_determinismE0ELb1ENS0_19wrapped_scan_configINS_14default_configEmEEN6hipcub22TransformInputIteratorImNS6_6CastOpImEEPmlEESA_NS6_3SumENS_12future_valueImSA_EEmNS0_19lookback_scan_stateImLb0ELb1EEEEEvT2_T3_mT5_T4_T7_jPT6_SN_bb: ; @_ZN7rocprim6detail20lookback_scan_kernelILNS0_25lookback_scan_determinismE0ELb1ENS0_19wrapped_scan_configINS_14default_configEmEEN6hipcub22TransformInputIteratorImNS6_6CastOpImEEPmlEESA_NS6_3SumENS_12future_valueImSA_EEmNS0_19lookback_scan_stateImLb0ELb1EEEEEvT2_T3_mT5_T4_T7_jPT6_SN_bb
; %bb.0:
	s_clause 0x3
	s_load_b32 s10, s[0:1], 0x38
	s_load_b64 s[2:3], s[0:1], 0x20
	s_load_b128 s[4:7], s[0:1], 0x10
	s_load_b64 s[12:13], s[0:1], 0x0
	s_lshl_b32 s8, s15, 12
	s_mov_b32 s9, 0
	v_lshlrev_b32_e32 v82, 3, v0
	v_lshrrev_b32_e32 v37, 2, v0
	v_or_b32_e32 v81, 0x100, v0
	v_or_b32_e32 v80, 0x200, v0
	;; [unrolled: 1-line block ×12, first 2 shown]
	s_waitcnt lgkmcnt(0)
	s_add_i32 s10, s10, -1
	s_load_b64 s[16:17], s[2:3], 0x0
	s_lshl_b32 s11, s10, 12
	v_or_b32_e32 v69, 0xd00, v0
	s_sub_u32 s14, s6, s11
	s_subb_u32 s20, s7, 0
	s_cmp_lg_u32 s15, s10
	v_or_b32_e32 v68, 0xe00, v0
	s_cselect_b32 s21, -1, 0
	s_lshl_b64 s[6:7], s[8:9], 3
	v_or_b32_e32 v67, 0xf00, v0
	s_add_u32 s8, s12, s6
	s_addc_u32 s9, s13, s7
	s_and_b32 vcc_lo, exec_lo, s21
	s_mov_b32 s3, -1
	s_cbranch_vccz .LBB155_2
; %bb.1:
	v_add_co_u32 v27, s2, s8, v82
	s_delay_alu instid0(VALU_DEP_1)
	v_add_co_ci_u32_e64 v28, null, s9, 0, s2
	s_clause 0x1
	global_load_b64 v[1:2], v82, s[8:9]
	global_load_b64 v[3:4], v82, s[8:9] offset:2048
	v_add_co_u32 v5, vcc_lo, 0x1000, v27
	v_add_co_ci_u32_e32 v6, vcc_lo, 0, v28, vcc_lo
	v_add_co_u32 v7, vcc_lo, v27, 0x2000
	v_add_co_ci_u32_e32 v8, vcc_lo, 0, v28, vcc_lo
	;; [unrolled: 2-line block ×10, first 2 shown]
	s_clause 0xd
	global_load_b64 v[17:18], v[7:8], off offset:-4096
	global_load_b64 v[7:8], v[7:8], off
	global_load_b64 v[19:20], v[13:14], off offset:-4096
	global_load_b64 v[13:14], v[13:14], off
	global_load_b64 v[5:6], v[5:6], off offset:2048
	global_load_b64 v[9:10], v[9:10], off offset:2048
	;; [unrolled: 1-line block ×4, first 2 shown]
	global_load_b64 v[29:30], v[23:24], off offset:-4096
	global_load_b64 v[21:22], v[21:22], off offset:2048
	global_load_b64 v[23:24], v[23:24], off
	global_load_b64 v[25:26], v[25:26], off offset:2048
	global_load_b64 v[31:32], v[27:28], off
	global_load_b64 v[27:28], v[27:28], off offset:2048
	v_lshrrev_b32_e32 v34, 2, v81
	v_lshrrev_b32_e32 v35, 2, v80
	;; [unrolled: 1-line block ×4, first 2 shown]
	v_and_b32_e32 v33, 56, v37
	v_lshrrev_b32_e32 v39, 2, v77
	v_lshrrev_b32_e32 v40, 2, v76
	;; [unrolled: 1-line block ×11, first 2 shown]
	v_and_b32_e32 v34, 0x78, v34
	v_and_b32_e32 v35, 0xb8, v35
	;; [unrolled: 1-line block ×4, first 2 shown]
	v_add_nc_u32_e32 v33, v33, v82
	v_and_b32_e32 v39, 0x178, v39
	v_and_b32_e32 v40, 0x1b8, v40
	;; [unrolled: 1-line block ×11, first 2 shown]
	v_add_nc_u32_e32 v34, v34, v82
	v_add_nc_u32_e32 v35, v35, v82
	v_add_nc_u32_e32 v36, v36, v82
	v_add_nc_u32_e32 v38, v38, v82
	s_mov_b32 s3, 0
	v_add_nc_u32_e32 v39, v39, v82
	v_add_nc_u32_e32 v40, v40, v82
	;; [unrolled: 1-line block ×11, first 2 shown]
	s_waitcnt vmcnt(15)
	ds_store_b64 v33, v[1:2]
	s_waitcnt vmcnt(14)
	ds_store_b64 v34, v[3:4] offset:2048
	s_waitcnt vmcnt(13)
	ds_store_b64 v35, v[17:18] offset:4096
	;; [unrolled: 2-line block ×3, first 2 shown]
	ds_store_b64 v38, v[7:8] offset:8192
	s_waitcnt vmcnt(8)
	ds_store_b64 v39, v[9:10] offset:10240
	ds_store_b64 v40, v[19:20] offset:12288
	s_waitcnt vmcnt(7)
	ds_store_b64 v41, v[11:12] offset:14336
	;; [unrolled: 3-line block ×3, first 2 shown]
	s_waitcnt vmcnt(5)
	ds_store_b64 v44, v[29:30] offset:20480
	s_waitcnt vmcnt(4)
	ds_store_b64 v45, v[21:22] offset:22528
	;; [unrolled: 2-line block ×6, first 2 shown]
	s_waitcnt lgkmcnt(0)
	s_barrier
.LBB155_2:
	v_cmp_gt_u32_e64 s2, s14, v0
	s_and_not1_b32 vcc_lo, exec_lo, s3
	s_cbranch_vccnz .LBB155_21
; %bb.3:
	s_load_b64 s[36:37], s[8:9], 0x0
	v_add_co_u32 v35, s3, s8, v82
	s_delay_alu instid0(VALU_DEP_1)
	v_add_co_ci_u32_e64 v36, null, s9, 0, s3
	s_waitcnt lgkmcnt(0)
	s_mov_b32 s38, s36
	s_mov_b32 s39, s37
	s_mov_b32 s40, s36
	s_mov_b32 s41, s37
	s_mov_b32 s42, s36
	s_mov_b32 s43, s37
	s_mov_b32 s44, s36
	s_mov_b32 s45, s37
	s_mov_b32 s46, s36
	s_mov_b32 s47, s37
	s_mov_b32 s48, s36
	s_mov_b32 s49, s37
	s_mov_b32 s50, s36
	s_mov_b32 s51, s37
	s_mov_b32 s52, s36
	s_mov_b32 s53, s37
	s_mov_b32 s54, s36
	s_mov_b32 s55, s37
	s_mov_b32 s56, s36
	s_mov_b32 s57, s37
	s_mov_b32 s58, s36
	s_mov_b32 s59, s37
	s_mov_b32 s60, s36
	s_mov_b32 s61, s37
	s_mov_b32 s62, s36
	s_mov_b32 s63, s37
	s_mov_b32 s64, s36
	s_mov_b32 s65, s37
	s_mov_b32 s66, s36
	s_mov_b32 s67, s37
	v_dual_mov_b32 v1, s36 :: v_dual_mov_b32 v2, s37
	v_dual_mov_b32 v3, s38 :: v_dual_mov_b32 v4, s39
	;; [unrolled: 1-line block ×17, first 2 shown]
	s_and_saveexec_b32 s3, s2
	s_cbranch_execnz .LBB155_168
; %bb.4:
	s_or_b32 exec_lo, exec_lo, s3
	s_delay_alu instid0(SALU_CYCLE_1)
	s_mov_b32 s2, exec_lo
	v_cmpx_gt_u32_e64 s14, v81
	s_cbranch_execnz .LBB155_169
.LBB155_5:
	s_or_b32 exec_lo, exec_lo, s2
	s_delay_alu instid0(SALU_CYCLE_1)
	s_mov_b32 s2, exec_lo
	v_cmpx_gt_u32_e64 s14, v80
	s_cbranch_execnz .LBB155_170
.LBB155_6:
	s_or_b32 exec_lo, exec_lo, s2
	s_delay_alu instid0(SALU_CYCLE_1)
	s_mov_b32 s2, exec_lo
	v_cmpx_gt_u32_e64 s14, v79
	s_cbranch_execnz .LBB155_171
.LBB155_7:
	s_or_b32 exec_lo, exec_lo, s2
	s_delay_alu instid0(SALU_CYCLE_1)
	s_mov_b32 s2, exec_lo
	v_cmpx_gt_u32_e64 s14, v78
	s_cbranch_execnz .LBB155_172
.LBB155_8:
	s_or_b32 exec_lo, exec_lo, s2
	s_delay_alu instid0(SALU_CYCLE_1)
	s_mov_b32 s2, exec_lo
	v_cmpx_gt_u32_e64 s14, v77
	s_cbranch_execnz .LBB155_173
.LBB155_9:
	s_or_b32 exec_lo, exec_lo, s2
	s_delay_alu instid0(SALU_CYCLE_1)
	s_mov_b32 s2, exec_lo
	v_cmpx_gt_u32_e64 s14, v76
	s_cbranch_execnz .LBB155_174
.LBB155_10:
	s_or_b32 exec_lo, exec_lo, s2
	s_delay_alu instid0(SALU_CYCLE_1)
	s_mov_b32 s2, exec_lo
	v_cmpx_gt_u32_e64 s14, v75
	s_cbranch_execnz .LBB155_175
.LBB155_11:
	s_or_b32 exec_lo, exec_lo, s2
	s_delay_alu instid0(SALU_CYCLE_1)
	s_mov_b32 s2, exec_lo
	v_cmpx_gt_u32_e64 s14, v74
	s_cbranch_execnz .LBB155_176
.LBB155_12:
	s_or_b32 exec_lo, exec_lo, s2
	s_delay_alu instid0(SALU_CYCLE_1)
	s_mov_b32 s2, exec_lo
	v_cmpx_gt_u32_e64 s14, v73
	s_cbranch_execnz .LBB155_177
.LBB155_13:
	s_or_b32 exec_lo, exec_lo, s2
	s_delay_alu instid0(SALU_CYCLE_1)
	s_mov_b32 s2, exec_lo
	v_cmpx_gt_u32_e64 s14, v72
	s_cbranch_execnz .LBB155_178
.LBB155_14:
	s_or_b32 exec_lo, exec_lo, s2
	s_delay_alu instid0(SALU_CYCLE_1)
	s_mov_b32 s2, exec_lo
	v_cmpx_gt_u32_e64 s14, v71
	s_cbranch_execnz .LBB155_179
.LBB155_15:
	s_or_b32 exec_lo, exec_lo, s2
	s_delay_alu instid0(SALU_CYCLE_1)
	s_mov_b32 s2, exec_lo
	v_cmpx_gt_u32_e64 s14, v70
	s_cbranch_execnz .LBB155_180
.LBB155_16:
	s_or_b32 exec_lo, exec_lo, s2
	s_delay_alu instid0(SALU_CYCLE_1)
	s_mov_b32 s2, exec_lo
	v_cmpx_gt_u32_e64 s14, v69
	s_cbranch_execnz .LBB155_181
.LBB155_17:
	s_or_b32 exec_lo, exec_lo, s2
	s_delay_alu instid0(SALU_CYCLE_1)
	s_mov_b32 s2, exec_lo
	v_cmpx_gt_u32_e64 s14, v68
	s_cbranch_execnz .LBB155_182
.LBB155_18:
	s_or_b32 exec_lo, exec_lo, s2
	s_delay_alu instid0(SALU_CYCLE_1)
	s_mov_b32 s2, exec_lo
	v_cmpx_gt_u32_e64 s14, v67
	s_cbranch_execz .LBB155_20
.LBB155_19:
	v_add_co_u32 v1, vcc_lo, 0x7000, v35
	v_add_co_ci_u32_e32 v2, vcc_lo, 0, v36, vcc_lo
	global_load_b64 v[31:32], v[1:2], off offset:2048
.LBB155_20:
	s_or_b32 exec_lo, exec_lo, s2
	v_lshrrev_b32_e32 v1, 2, v81
	v_lshrrev_b32_e32 v2, 2, v80
	;; [unrolled: 1-line block ×3, first 2 shown]
	v_and_b32_e32 v36, 56, v37
	v_lshrrev_b32_e32 v37, 2, v78
	v_and_b32_e32 v1, 0x78, v1
	v_and_b32_e32 v2, 0xf8, v2
	;; [unrolled: 1-line block ×3, first 2 shown]
	v_lshrrev_b32_e32 v38, 2, v77
	v_add_nc_u32_e32 v36, v36, v82
	v_add_nc_u32_e32 v1, v1, v82
	v_lshrrev_b32_e32 v39, 2, v76
	v_add_nc_u32_e32 v2, v2, v82
	v_lshrrev_b32_e32 v40, 2, v75
	v_add_nc_u32_e32 v35, v35, v82
	v_and_b32_e32 v37, 0x1f8, v37
	v_and_b32_e32 v38, 0x1f8, v38
	s_waitcnt vmcnt(0)
	ds_store_b64 v36, v[33:34]
	ds_store_b64 v1, v[3:4] offset:2048
	ds_store_b64 v2, v[5:6] offset:4096
	;; [unrolled: 1-line block ×3, first 2 shown]
	v_lshrrev_b32_e32 v5, 2, v74
	v_and_b32_e32 v3, 0x1f8, v39
	v_lshrrev_b32_e32 v6, 2, v73
	v_lshrrev_b32_e32 v7, 2, v72
	v_and_b32_e32 v4, 0x1f8, v40
	v_add_nc_u32_e32 v1, v37, v82
	v_add_nc_u32_e32 v2, v38, v82
	v_and_b32_e32 v5, 0x3f8, v5
	v_add_nc_u32_e32 v3, v3, v82
	v_and_b32_e32 v6, 0x3f8, v6
	v_and_b32_e32 v7, 0x3f8, v7
	v_add_nc_u32_e32 v4, v4, v82
	ds_store_b64 v1, v[9:10] offset:8192
	ds_store_b64 v2, v[11:12] offset:10240
	;; [unrolled: 1-line block ×4, first 2 shown]
	v_lshrrev_b32_e32 v4, 2, v71
	v_add_nc_u32_e32 v1, v5, v82
	v_lshrrev_b32_e32 v5, 2, v70
	v_add_nc_u32_e32 v2, v6, v82
	v_add_nc_u32_e32 v3, v7, v82
	v_lshrrev_b32_e32 v6, 2, v69
	v_lshrrev_b32_e32 v7, 2, v68
	;; [unrolled: 1-line block ×3, first 2 shown]
	v_and_b32_e32 v4, 0x3f8, v4
	v_and_b32_e32 v5, 0x3f8, v5
	;; [unrolled: 1-line block ×5, first 2 shown]
	v_add_nc_u32_e32 v4, v4, v82
	v_add_nc_u32_e32 v5, v5, v82
	;; [unrolled: 1-line block ×5, first 2 shown]
	ds_store_b64 v1, v[17:18] offset:16384
	ds_store_b64 v2, v[19:20] offset:18432
	;; [unrolled: 1-line block ×8, first 2 shown]
	s_waitcnt lgkmcnt(0)
	s_barrier
.LBB155_21:
	v_lshlrev_b32_e32 v1, 4, v0
	v_lshrrev_b32_e32 v84, 1, v0
	s_waitcnt lgkmcnt(0)
	buffer_gl0_inv
	s_load_b64 s[18:19], s[0:1], 0x30
	v_lshrrev_b32_e32 v83, 5, v0
	v_cmp_gt_u32_e32 vcc_lo, 32, v0
	v_add_lshl_u32 v1, v84, v1, 3
	s_cmp_lg_u32 s15, 0
	ds_load_2addr_b64 v[61:64], v1 offset1:1
	ds_load_2addr_b64 v[57:60], v1 offset0:2 offset1:3
	ds_load_2addr_b64 v[53:56], v1 offset0:4 offset1:5
	;; [unrolled: 1-line block ×7, first 2 shown]
	s_waitcnt lgkmcnt(0)
	s_barrier
	buffer_gl0_inv
	s_cbranch_scc0 .LBB155_74
; %bb.22:
	v_add_co_u32 v1, s2, v63, v61
	s_delay_alu instid0(VALU_DEP_1) | instskip(SKIP_1) | instid1(VALU_DEP_3)
	v_add_co_ci_u32_e64 v2, s2, v64, v62, s2
	v_add_lshl_u32 v3, v83, v0, 3
	v_add_co_u32 v1, s2, v1, v57
	s_delay_alu instid0(VALU_DEP_1) | instskip(NEXT) | instid1(VALU_DEP_2)
	v_add_co_ci_u32_e64 v2, s2, v2, v58, s2
	v_add_co_u32 v1, s2, v1, v59
	s_delay_alu instid0(VALU_DEP_1) | instskip(NEXT) | instid1(VALU_DEP_2)
	v_add_co_ci_u32_e64 v2, s2, v2, v60, s2
	;; [unrolled: 3-line block ×13, first 2 shown]
	v_add_co_u32 v17, s2, v1, v35
	s_delay_alu instid0(VALU_DEP_1)
	v_add_co_ci_u32_e64 v18, s2, v2, v36, s2
	ds_store_b64 v3, v[17:18]
	s_waitcnt lgkmcnt(0)
	s_barrier
	buffer_gl0_inv
	s_and_saveexec_b32 s3, vcc_lo
	s_cbranch_execz .LBB155_32
; %bb.23:
	v_lshlrev_b32_e32 v1, 1, v0
	v_mbcnt_lo_u32_b32 v24, -1, 0
	s_mov_b32 s8, exec_lo
	s_delay_alu instid0(VALU_DEP_2) | instskip(NEXT) | instid1(VALU_DEP_2)
	v_and_b32_e32 v1, 0x1f8, v1
	v_and_b32_e32 v25, 15, v24
	s_delay_alu instid0(VALU_DEP_2)
	v_lshl_or_b32 v23, v0, 6, v1
	ds_load_2addr_b64 v[1:4], v23 offset1:1
	ds_load_2addr_b64 v[5:8], v23 offset0:2 offset1:3
	ds_load_2addr_b64 v[9:12], v23 offset0:4 offset1:5
	;; [unrolled: 1-line block ×3, first 2 shown]
	s_waitcnt lgkmcnt(3)
	v_add_co_u32 v19, s2, v3, v1
	s_delay_alu instid0(VALU_DEP_1) | instskip(SKIP_1) | instid1(VALU_DEP_2)
	v_add_co_ci_u32_e64 v20, s2, v4, v2, s2
	s_waitcnt lgkmcnt(2)
	v_add_co_u32 v19, s2, v19, v5
	s_delay_alu instid0(VALU_DEP_1) | instskip(NEXT) | instid1(VALU_DEP_2)
	v_add_co_ci_u32_e64 v20, s2, v20, v6, s2
	v_add_co_u32 v19, s2, v19, v7
	s_delay_alu instid0(VALU_DEP_1) | instskip(SKIP_1) | instid1(VALU_DEP_2)
	v_add_co_ci_u32_e64 v20, s2, v20, v8, s2
	s_waitcnt lgkmcnt(1)
	v_add_co_u32 v19, s2, v19, v9
	s_delay_alu instid0(VALU_DEP_1) | instskip(NEXT) | instid1(VALU_DEP_2)
	v_add_co_ci_u32_e64 v20, s2, v20, v10, s2
	;; [unrolled: 7-line block ×3, first 2 shown]
	v_add_co_u32 v19, s2, v19, v15
	s_delay_alu instid0(VALU_DEP_1) | instskip(NEXT) | instid1(VALU_DEP_2)
	v_add_co_ci_u32_e64 v20, s2, v20, v16, s2
	v_mov_b32_dpp v27, v19 row_shr:1 row_mask:0xf bank_mask:0xf
	s_delay_alu instid0(VALU_DEP_2)
	v_mov_b32_e32 v22, v20
	v_mov_b32_dpp v26, v20 row_shr:1 row_mask:0xf bank_mask:0xf
	v_mov_b32_e32 v21, v19
	v_cmpx_ne_u32_e32 0, v25
; %bb.24:
	v_add_co_u32 v19, s2, v19, v27
	s_delay_alu instid0(VALU_DEP_1) | instskip(NEXT) | instid1(VALU_DEP_2)
	v_add_co_ci_u32_e64 v20, s2, 0, v20, s2
	v_add_co_u32 v21, s2, 0, v19
	s_delay_alu instid0(VALU_DEP_1) | instskip(NEXT) | instid1(VALU_DEP_1)
	v_add_co_ci_u32_e64 v22, s2, v26, v20, s2
	v_mov_b32_e32 v20, v22
; %bb.25:
	s_or_b32 exec_lo, exec_lo, s8
	v_mov_b32_dpp v27, v19 row_shr:2 row_mask:0xf bank_mask:0xf
	s_delay_alu instid0(VALU_DEP_2)
	v_mov_b32_dpp v26, v20 row_shr:2 row_mask:0xf bank_mask:0xf
	s_mov_b32 s8, exec_lo
	v_cmpx_lt_u32_e32 1, v25
; %bb.26:
	s_delay_alu instid0(VALU_DEP_3) | instskip(NEXT) | instid1(VALU_DEP_1)
	v_add_co_u32 v19, s2, v21, v27
	v_add_co_ci_u32_e64 v20, s2, 0, v22, s2
	s_delay_alu instid0(VALU_DEP_2) | instskip(NEXT) | instid1(VALU_DEP_1)
	v_add_co_u32 v21, s2, 0, v19
	v_add_co_ci_u32_e64 v22, s2, v26, v20, s2
	s_delay_alu instid0(VALU_DEP_1)
	v_mov_b32_e32 v20, v22
; %bb.27:
	s_or_b32 exec_lo, exec_lo, s8
	v_mov_b32_dpp v27, v19 row_shr:4 row_mask:0xf bank_mask:0xf
	s_delay_alu instid0(VALU_DEP_2)
	v_mov_b32_dpp v26, v20 row_shr:4 row_mask:0xf bank_mask:0xf
	s_mov_b32 s8, exec_lo
	v_cmpx_lt_u32_e32 3, v25
; %bb.28:
	s_delay_alu instid0(VALU_DEP_3) | instskip(NEXT) | instid1(VALU_DEP_1)
	v_add_co_u32 v19, s2, v21, v27
	v_add_co_ci_u32_e64 v20, s2, 0, v22, s2
	s_delay_alu instid0(VALU_DEP_2) | instskip(NEXT) | instid1(VALU_DEP_1)
	v_add_co_u32 v21, s2, 0, v19
	v_add_co_ci_u32_e64 v22, s2, v26, v20, s2
	s_delay_alu instid0(VALU_DEP_1)
	;; [unrolled: 16-line block ×3, first 2 shown]
	v_mov_b32_e32 v20, v22
; %bb.31:
	s_or_b32 exec_lo, exec_lo, s8
	ds_swizzle_b32 v25, v19 offset:swizzle(BROADCAST,32,15)
	ds_swizzle_b32 v26, v20 offset:swizzle(BROADCAST,32,15)
	v_add_nc_u32_e32 v27, -1, v24
	v_and_b32_e32 v28, 16, v24
	s_delay_alu instid0(VALU_DEP_2) | instskip(NEXT) | instid1(VALU_DEP_1)
	v_cmp_gt_i32_e64 s2, 0, v27
	v_cndmask_b32_e64 v24, v27, v24, s2
	s_delay_alu instid0(VALU_DEP_1) | instskip(SKIP_2) | instid1(VALU_DEP_1)
	v_lshlrev_b32_e32 v24, 2, v24
	s_waitcnt lgkmcnt(1)
	v_add_co_u32 v21, s2, v21, v25
	v_add_co_ci_u32_e64 v22, s2, 0, v22, s2
	v_cmp_eq_u32_e64 s2, 0, v28
	s_delay_alu instid0(VALU_DEP_1) | instskip(SKIP_1) | instid1(VALU_DEP_3)
	v_cndmask_b32_e64 v19, v21, v19, s2
	s_waitcnt lgkmcnt(0)
	v_add_nc_u32_e32 v21, v26, v22
	ds_bpermute_b32 v19, v24, v19
	v_cndmask_b32_e64 v20, v21, v20, s2
	ds_bpermute_b32 v20, v24, v20
	s_waitcnt lgkmcnt(1)
	v_add_co_u32 v1, s2, v1, v19
	s_delay_alu instid0(VALU_DEP_1) | instskip(NEXT) | instid1(VALU_DEP_2)
	v_add_co_ci_u32_e64 v2, s2, 0, v2, s2
	v_add_co_u32 v1, s2, v1, 0
	s_waitcnt lgkmcnt(0)
	s_delay_alu instid0(VALU_DEP_2) | instskip(SKIP_1) | instid1(VALU_DEP_1)
	v_add_co_ci_u32_e64 v2, s2, v2, v20, s2
	v_cmp_eq_u32_e64 s2, 0, v0
	v_cndmask_b32_e64 v1, v1, v17, s2
	s_delay_alu instid0(VALU_DEP_3) | instskip(NEXT) | instid1(VALU_DEP_2)
	v_cndmask_b32_e64 v2, v2, v18, s2
	v_add_co_u32 v3, s2, v1, v3
	s_delay_alu instid0(VALU_DEP_1) | instskip(NEXT) | instid1(VALU_DEP_2)
	v_add_co_ci_u32_e64 v4, s2, v2, v4, s2
	v_add_co_u32 v5, s2, v3, v5
	s_delay_alu instid0(VALU_DEP_1) | instskip(NEXT) | instid1(VALU_DEP_2)
	v_add_co_ci_u32_e64 v6, s2, v4, v6, s2
	;; [unrolled: 3-line block ×6, first 2 shown]
	v_add_co_u32 v15, s2, v13, v15
	s_delay_alu instid0(VALU_DEP_1)
	v_add_co_ci_u32_e64 v16, s2, v14, v16, s2
	ds_store_2addr_b64 v23, v[1:2], v[3:4] offset1:1
	ds_store_2addr_b64 v23, v[5:6], v[7:8] offset0:2 offset1:3
	ds_store_2addr_b64 v23, v[9:10], v[11:12] offset0:4 offset1:5
	;; [unrolled: 1-line block ×3, first 2 shown]
.LBB155_32:
	s_or_b32 exec_lo, exec_lo, s3
	v_mov_b32_e32 v7, 0
	v_cmp_eq_u32_e64 s2, 0, v0
	v_mov_b32_e32 v8, 0
	s_mov_b32 s8, exec_lo
	s_waitcnt lgkmcnt(0)
	s_barrier
	buffer_gl0_inv
	v_cmpx_ne_u32_e32 0, v0
	s_cbranch_execz .LBB155_34
; %bb.33:
	v_add_nc_u32_e32 v1, -1, v0
	s_delay_alu instid0(VALU_DEP_1) | instskip(NEXT) | instid1(VALU_DEP_1)
	v_lshrrev_b32_e32 v2, 5, v1
	v_add_lshl_u32 v1, v2, v1, 3
	ds_load_b64 v[7:8], v1
.LBB155_34:
	s_or_b32 exec_lo, exec_lo, s8
	s_and_saveexec_b32 s10, vcc_lo
	s_cbranch_execz .LBB155_73
; %bb.35:
	v_mov_b32_e32 v4, 0
	v_mbcnt_lo_u32_b32 v12, -1, 0
	s_mov_b32 s9, 0
	ds_load_b64 v[1:2], v4 offset:2096
	v_cmp_eq_u32_e64 s3, 0, v12
	s_delay_alu instid0(VALU_DEP_1)
	s_and_saveexec_b32 s11, s3
	s_cbranch_execz .LBB155_37
; %bb.36:
	s_add_i32 s8, s15, 32
	s_delay_alu instid0(SALU_CYCLE_1) | instskip(NEXT) | instid1(SALU_CYCLE_1)
	s_lshl_b64 s[8:9], s[8:9], 4
	s_add_u32 s8, s18, s8
	s_addc_u32 s9, s19, s9
	v_mov_b32_e32 v5, s8
	v_dual_mov_b32 v3, 1 :: v_dual_mov_b32 v6, s9
	s_waitcnt lgkmcnt(0)
	;;#ASMSTART
	global_store_dwordx4 v[5:6], v[1:4] off	
s_waitcnt vmcnt(0)
	;;#ASMEND
.LBB155_37:
	s_or_b32 exec_lo, exec_lo, s11
	v_xad_u32 v9, v12, -1, s15
	s_mov_b32 s8, exec_lo
	s_delay_alu instid0(VALU_DEP_1) | instskip(NEXT) | instid1(VALU_DEP_1)
	v_add_nc_u32_e32 v3, 32, v9
	v_lshlrev_b64 v[3:4], 4, v[3:4]
	s_delay_alu instid0(VALU_DEP_1) | instskip(NEXT) | instid1(VALU_DEP_2)
	v_add_co_u32 v10, vcc_lo, s18, v3
	v_add_co_ci_u32_e32 v11, vcc_lo, s19, v4, vcc_lo
	;;#ASMSTART
	global_load_dwordx4 v[3:6], v[10:11] off glc	
s_waitcnt vmcnt(0)
	;;#ASMEND
	v_and_b32_e32 v6, 0xff, v5
	s_delay_alu instid0(VALU_DEP_1)
	v_cmpx_eq_u16_e32 0, v6
	s_cbranch_execz .LBB155_41
; %bb.38:
	s_mov_b32 s9, 0
.LBB155_39:                             ; =>This Inner Loop Header: Depth=1
	;;#ASMSTART
	global_load_dwordx4 v[3:6], v[10:11] off glc	
s_waitcnt vmcnt(0)
	;;#ASMEND
	v_and_b32_e32 v6, 0xff, v5
	s_delay_alu instid0(VALU_DEP_1) | instskip(SKIP_1) | instid1(SALU_CYCLE_1)
	v_cmp_ne_u16_e32 vcc_lo, 0, v6
	s_or_b32 s9, vcc_lo, s9
	s_and_not1_b32 exec_lo, exec_lo, s9
	s_cbranch_execnz .LBB155_39
; %bb.40:
	s_or_b32 exec_lo, exec_lo, s9
.LBB155_41:
	s_delay_alu instid0(SALU_CYCLE_1)
	s_or_b32 exec_lo, exec_lo, s8
	v_cmp_ne_u32_e32 vcc_lo, 31, v12
	v_and_b32_e32 v10, 0xff, v5
	v_lshlrev_b32_e64 v16, v12, -1
	v_add_nc_u32_e32 v17, 1, v12
	s_mov_b32 s8, exec_lo
	v_add_co_ci_u32_e32 v6, vcc_lo, 0, v12, vcc_lo
	v_cmp_eq_u16_e32 vcc_lo, 2, v10
	s_delay_alu instid0(VALU_DEP_2) | instskip(SKIP_4) | instid1(VALU_DEP_1)
	v_dual_mov_b32 v10, v3 :: v_dual_lshlrev_b32 v15, 2, v6
	v_and_or_b32 v6, vcc_lo, v16, 0x80000000
	ds_bpermute_b32 v13, v15, v3
	ds_bpermute_b32 v11, v15, v4
	v_ctz_i32_b32_e32 v6, v6
	v_cmpx_le_u32_e64 v17, v6
	s_cbranch_execz .LBB155_43
; %bb.42:
	s_waitcnt lgkmcnt(1)
	v_add_co_u32 v10, vcc_lo, v3, v13
	v_add_co_ci_u32_e32 v4, vcc_lo, 0, v4, vcc_lo
	s_delay_alu instid0(VALU_DEP_2) | instskip(SKIP_1) | instid1(VALU_DEP_2)
	v_add_co_u32 v3, vcc_lo, 0, v10
	s_waitcnt lgkmcnt(0)
	v_add_co_ci_u32_e32 v4, vcc_lo, v11, v4, vcc_lo
.LBB155_43:
	s_or_b32 exec_lo, exec_lo, s8
	v_cmp_gt_u32_e32 vcc_lo, 30, v12
	v_add_nc_u32_e32 v19, 2, v12
	s_mov_b32 s8, exec_lo
	s_waitcnt lgkmcnt(0)
	v_cndmask_b32_e64 v11, 0, 1, vcc_lo
	s_delay_alu instid0(VALU_DEP_1) | instskip(NEXT) | instid1(VALU_DEP_1)
	v_lshlrev_b32_e32 v11, 1, v11
	v_add_lshl_u32 v18, v11, v12, 2
	ds_bpermute_b32 v13, v18, v10
	ds_bpermute_b32 v11, v18, v4
	v_cmpx_le_u32_e64 v19, v6
	s_cbranch_execz .LBB155_45
; %bb.44:
	s_waitcnt lgkmcnt(1)
	v_add_co_u32 v10, vcc_lo, v3, v13
	v_add_co_ci_u32_e32 v4, vcc_lo, 0, v4, vcc_lo
	s_delay_alu instid0(VALU_DEP_2) | instskip(SKIP_1) | instid1(VALU_DEP_2)
	v_add_co_u32 v3, vcc_lo, 0, v10
	s_waitcnt lgkmcnt(0)
	v_add_co_ci_u32_e32 v4, vcc_lo, v11, v4, vcc_lo
.LBB155_45:
	s_or_b32 exec_lo, exec_lo, s8
	v_cmp_gt_u32_e32 vcc_lo, 28, v12
	v_add_nc_u32_e32 v21, 4, v12
	s_mov_b32 s8, exec_lo
	s_waitcnt lgkmcnt(0)
	v_cndmask_b32_e64 v11, 0, 1, vcc_lo
	s_delay_alu instid0(VALU_DEP_1) | instskip(NEXT) | instid1(VALU_DEP_1)
	v_lshlrev_b32_e32 v11, 2, v11
	v_add_lshl_u32 v20, v11, v12, 2
	ds_bpermute_b32 v13, v20, v10
	ds_bpermute_b32 v11, v20, v4
	;; [unrolled: 22-line block ×4, first 2 shown]
	v_cmpx_le_u32_e64 v25, v6
	s_cbranch_execz .LBB155_51
; %bb.50:
	s_waitcnt lgkmcnt(1)
	v_add_co_u32 v3, vcc_lo, v3, v11
	v_add_co_ci_u32_e32 v4, vcc_lo, 0, v4, vcc_lo
	s_delay_alu instid0(VALU_DEP_2) | instskip(SKIP_1) | instid1(VALU_DEP_2)
	v_add_co_u32 v3, vcc_lo, v3, 0
	s_waitcnt lgkmcnt(0)
	v_add_co_ci_u32_e32 v4, vcc_lo, v4, v10, vcc_lo
.LBB155_51:
	s_or_b32 exec_lo, exec_lo, s8
	s_waitcnt lgkmcnt(0)
	v_mov_b32_e32 v10, 0
	s_branch .LBB155_53
.LBB155_52:                             ;   in Loop: Header=BB155_53 Depth=1
	s_or_b32 exec_lo, exec_lo, s8
	v_add_co_u32 v3, vcc_lo, v3, v11
	v_subrev_nc_u32_e32 v9, 32, v9
	v_add_co_ci_u32_e32 v4, vcc_lo, v4, v12, vcc_lo
.LBB155_53:                             ; =>This Loop Header: Depth=1
                                        ;     Child Loop BB155_56 Depth 2
	s_delay_alu instid0(VALU_DEP_1) | instskip(NEXT) | instid1(VALU_DEP_4)
	v_dual_mov_b32 v12, v4 :: v_dual_and_b32 v5, 0xff, v5
	v_mov_b32_e32 v11, v3
	s_delay_alu instid0(VALU_DEP_2) | instskip(SKIP_2) | instid1(VALU_DEP_1)
	v_cmp_ne_u16_e32 vcc_lo, 2, v5
	v_cndmask_b32_e64 v5, 0, 1, vcc_lo
	;;#ASMSTART
	;;#ASMEND
	v_cmp_ne_u32_e32 vcc_lo, 0, v5
	s_cmp_lg_u32 vcc_lo, exec_lo
	s_cbranch_scc1 .LBB155_68
; %bb.54:                               ;   in Loop: Header=BB155_53 Depth=1
	v_lshlrev_b64 v[3:4], 4, v[9:10]
	s_mov_b32 s8, exec_lo
	s_waitcnt lgkmcnt(0)
	s_delay_alu instid0(VALU_DEP_1) | instskip(NEXT) | instid1(VALU_DEP_2)
	v_add_co_u32 v13, vcc_lo, s18, v3
	v_add_co_ci_u32_e32 v14, vcc_lo, s19, v4, vcc_lo
	;;#ASMSTART
	global_load_dwordx4 v[3:6], v[13:14] off glc	
s_waitcnt vmcnt(0)
	;;#ASMEND
	v_and_b32_e32 v6, 0xff, v5
	s_delay_alu instid0(VALU_DEP_1)
	v_cmpx_eq_u16_e32 0, v6
	s_cbranch_execz .LBB155_58
; %bb.55:                               ;   in Loop: Header=BB155_53 Depth=1
	s_mov_b32 s9, 0
.LBB155_56:                             ;   Parent Loop BB155_53 Depth=1
                                        ; =>  This Inner Loop Header: Depth=2
	;;#ASMSTART
	global_load_dwordx4 v[3:6], v[13:14] off glc	
s_waitcnt vmcnt(0)
	;;#ASMEND
	v_and_b32_e32 v6, 0xff, v5
	s_delay_alu instid0(VALU_DEP_1) | instskip(SKIP_1) | instid1(SALU_CYCLE_1)
	v_cmp_ne_u16_e32 vcc_lo, 0, v6
	s_or_b32 s9, vcc_lo, s9
	s_and_not1_b32 exec_lo, exec_lo, s9
	s_cbranch_execnz .LBB155_56
; %bb.57:                               ;   in Loop: Header=BB155_53 Depth=1
	s_or_b32 exec_lo, exec_lo, s9
.LBB155_58:                             ;   in Loop: Header=BB155_53 Depth=1
	s_delay_alu instid0(SALU_CYCLE_1)
	s_or_b32 exec_lo, exec_lo, s8
	v_dual_mov_b32 v13, v3 :: v_dual_and_b32 v6, 0xff, v5
	ds_bpermute_b32 v26, v15, v3
	ds_bpermute_b32 v14, v15, v4
	s_mov_b32 s8, exec_lo
	v_cmp_eq_u16_e32 vcc_lo, 2, v6
	v_and_or_b32 v6, vcc_lo, v16, 0x80000000
	s_delay_alu instid0(VALU_DEP_1) | instskip(NEXT) | instid1(VALU_DEP_1)
	v_ctz_i32_b32_e32 v6, v6
	v_cmpx_le_u32_e64 v17, v6
	s_cbranch_execz .LBB155_60
; %bb.59:                               ;   in Loop: Header=BB155_53 Depth=1
	s_waitcnt lgkmcnt(1)
	v_add_co_u32 v13, vcc_lo, v3, v26
	v_add_co_ci_u32_e32 v4, vcc_lo, 0, v4, vcc_lo
	s_delay_alu instid0(VALU_DEP_2) | instskip(SKIP_1) | instid1(VALU_DEP_2)
	v_add_co_u32 v3, vcc_lo, 0, v13
	s_waitcnt lgkmcnt(0)
	v_add_co_ci_u32_e32 v4, vcc_lo, v14, v4, vcc_lo
.LBB155_60:                             ;   in Loop: Header=BB155_53 Depth=1
	s_or_b32 exec_lo, exec_lo, s8
	s_waitcnt lgkmcnt(1)
	ds_bpermute_b32 v26, v18, v13
	s_waitcnt lgkmcnt(1)
	ds_bpermute_b32 v14, v18, v4
	s_mov_b32 s8, exec_lo
	v_cmpx_le_u32_e64 v19, v6
	s_cbranch_execz .LBB155_62
; %bb.61:                               ;   in Loop: Header=BB155_53 Depth=1
	s_waitcnt lgkmcnt(1)
	v_add_co_u32 v13, vcc_lo, v3, v26
	v_add_co_ci_u32_e32 v4, vcc_lo, 0, v4, vcc_lo
	s_delay_alu instid0(VALU_DEP_2) | instskip(SKIP_1) | instid1(VALU_DEP_2)
	v_add_co_u32 v3, vcc_lo, 0, v13
	s_waitcnt lgkmcnt(0)
	v_add_co_ci_u32_e32 v4, vcc_lo, v14, v4, vcc_lo
.LBB155_62:                             ;   in Loop: Header=BB155_53 Depth=1
	s_or_b32 exec_lo, exec_lo, s8
	s_waitcnt lgkmcnt(1)
	ds_bpermute_b32 v26, v20, v13
	s_waitcnt lgkmcnt(1)
	ds_bpermute_b32 v14, v20, v4
	s_mov_b32 s8, exec_lo
	v_cmpx_le_u32_e64 v21, v6
	s_cbranch_execz .LBB155_64
; %bb.63:                               ;   in Loop: Header=BB155_53 Depth=1
	s_waitcnt lgkmcnt(1)
	v_add_co_u32 v13, vcc_lo, v3, v26
	v_add_co_ci_u32_e32 v4, vcc_lo, 0, v4, vcc_lo
	s_delay_alu instid0(VALU_DEP_2) | instskip(SKIP_1) | instid1(VALU_DEP_2)
	v_add_co_u32 v3, vcc_lo, 0, v13
	s_waitcnt lgkmcnt(0)
	v_add_co_ci_u32_e32 v4, vcc_lo, v14, v4, vcc_lo
.LBB155_64:                             ;   in Loop: Header=BB155_53 Depth=1
	s_or_b32 exec_lo, exec_lo, s8
	s_waitcnt lgkmcnt(1)
	ds_bpermute_b32 v26, v22, v13
	s_waitcnt lgkmcnt(1)
	ds_bpermute_b32 v14, v22, v4
	s_mov_b32 s8, exec_lo
	v_cmpx_le_u32_e64 v23, v6
	s_cbranch_execz .LBB155_66
; %bb.65:                               ;   in Loop: Header=BB155_53 Depth=1
	s_waitcnt lgkmcnt(1)
	v_add_co_u32 v13, vcc_lo, v3, v26
	v_add_co_ci_u32_e32 v4, vcc_lo, 0, v4, vcc_lo
	s_delay_alu instid0(VALU_DEP_2) | instskip(SKIP_1) | instid1(VALU_DEP_2)
	v_add_co_u32 v3, vcc_lo, 0, v13
	s_waitcnt lgkmcnt(0)
	v_add_co_ci_u32_e32 v4, vcc_lo, v14, v4, vcc_lo
.LBB155_66:                             ;   in Loop: Header=BB155_53 Depth=1
	s_or_b32 exec_lo, exec_lo, s8
	s_waitcnt lgkmcnt(0)
	ds_bpermute_b32 v14, v24, v13
	ds_bpermute_b32 v13, v24, v4
	s_mov_b32 s8, exec_lo
	v_cmpx_le_u32_e64 v25, v6
	s_cbranch_execz .LBB155_52
; %bb.67:                               ;   in Loop: Header=BB155_53 Depth=1
	s_waitcnt lgkmcnt(1)
	v_add_co_u32 v3, vcc_lo, v3, v14
	v_add_co_ci_u32_e32 v4, vcc_lo, 0, v4, vcc_lo
	s_delay_alu instid0(VALU_DEP_2) | instskip(SKIP_1) | instid1(VALU_DEP_2)
	v_add_co_u32 v3, vcc_lo, v3, 0
	s_waitcnt lgkmcnt(0)
	v_add_co_ci_u32_e32 v4, vcc_lo, v4, v13, vcc_lo
	s_branch .LBB155_52
.LBB155_68:                             ;   in Loop: Header=BB155_53 Depth=1
                                        ; implicit-def: $vgpr3_vgpr4
	s_cbranch_execz .LBB155_53
; %bb.69:
	s_and_saveexec_b32 s8, s3
	s_cbranch_execz .LBB155_71
; %bb.70:
	s_add_i32 s22, s15, 32
	s_mov_b32 s23, 0
	v_add_co_u32 v1, vcc_lo, v11, v1
	s_lshl_b64 s[22:23], s[22:23], 4
	v_add_co_ci_u32_e32 v2, vcc_lo, v12, v2, vcc_lo
	s_add_u32 s22, s18, s22
	s_addc_u32 s23, s19, s23
	v_dual_mov_b32 v3, 2 :: v_dual_mov_b32 v4, 0
	v_dual_mov_b32 v5, s22 :: v_dual_mov_b32 v6, s23
	;;#ASMSTART
	global_store_dwordx4 v[5:6], v[1:4] off	
s_waitcnt vmcnt(0)
	;;#ASMEND
.LBB155_71:
	s_or_b32 exec_lo, exec_lo, s8
	s_delay_alu instid0(SALU_CYCLE_1)
	s_and_b32 exec_lo, exec_lo, s2
	s_cbranch_execz .LBB155_73
; %bb.72:
	v_mov_b32_e32 v1, 0
	ds_store_b64 v1, v[11:12]
.LBB155_73:
	s_or_b32 exec_lo, exec_lo, s10
	v_mov_b32_e32 v1, 0
	s_waitcnt lgkmcnt(0)
	s_barrier
	buffer_gl0_inv
	ds_load_b64 v[1:2], v1
	s_waitcnt lgkmcnt(0)
	v_add_co_u32 v1, vcc_lo, v1, v7
	v_add_co_ci_u32_e32 v2, vcc_lo, v2, v8, vcc_lo
	s_delay_alu instid0(VALU_DEP_2) | instskip(NEXT) | instid1(VALU_DEP_2)
	v_add_co_u32 v3, vcc_lo, v1, v61
	v_add_co_ci_u32_e32 v4, vcc_lo, v2, v62, vcc_lo
	s_delay_alu instid0(VALU_DEP_2) | instskip(NEXT) | instid1(VALU_DEP_2)
	;; [unrolled: 3-line block ×15, first 2 shown]
	v_add_co_u32 v31, vcc_lo, v29, v33
	v_add_co_ci_u32_e32 v32, vcc_lo, v30, v34, vcc_lo
	s_load_b128 s[8:11], s[0:1], 0x40
	s_branch .LBB155_92
.LBB155_74:
                                        ; implicit-def: $vgpr1_vgpr2_vgpr3_vgpr4_vgpr5_vgpr6_vgpr7_vgpr8_vgpr9_vgpr10_vgpr11_vgpr12_vgpr13_vgpr14_vgpr15_vgpr16_vgpr17_vgpr18_vgpr19_vgpr20_vgpr21_vgpr22_vgpr23_vgpr24_vgpr25_vgpr26_vgpr27_vgpr28_vgpr29_vgpr30_vgpr31_vgpr32
	s_load_b128 s[8:11], s[0:1], 0x40
	s_cbranch_execz .LBB155_92
; %bb.75:
	s_load_b32 s2, s[0:1], 0x50
	v_dual_mov_b32 v66, s17 :: v_dual_mov_b32 v65, s16
	s_waitcnt lgkmcnt(0)
	s_bitcmp0_b32 s2, 0
	s_cbranch_scc1 .LBB155_77
; %bb.76:
	v_mov_b32_e32 v1, 0
	s_load_b64 s[2:3], s[8:9], 0x0
	global_load_b64 v[1:2], v1, s[12:13] offset:-8
	s_waitcnt vmcnt(0) lgkmcnt(0)
	v_add_co_u32 v65, vcc_lo, s2, v1
	v_add_co_ci_u32_e32 v66, vcc_lo, s3, v2, vcc_lo
.LBB155_77:
	v_add_co_u32 v1, vcc_lo, v63, v61
	v_add_co_ci_u32_e32 v2, vcc_lo, v64, v62, vcc_lo
	v_add_lshl_u32 v3, v83, v0, 3
	s_delay_alu instid0(VALU_DEP_3) | instskip(NEXT) | instid1(VALU_DEP_3)
	v_add_co_u32 v1, vcc_lo, v1, v57
	v_add_co_ci_u32_e32 v2, vcc_lo, v2, v58, vcc_lo
	s_mov_b32 s2, exec_lo
	s_delay_alu instid0(VALU_DEP_2) | instskip(NEXT) | instid1(VALU_DEP_2)
	v_add_co_u32 v1, vcc_lo, v1, v59
	v_add_co_ci_u32_e32 v2, vcc_lo, v2, v60, vcc_lo
	s_delay_alu instid0(VALU_DEP_2) | instskip(NEXT) | instid1(VALU_DEP_2)
	v_add_co_u32 v1, vcc_lo, v1, v53
	v_add_co_ci_u32_e32 v2, vcc_lo, v2, v54, vcc_lo
	;; [unrolled: 3-line block ×13, first 2 shown]
	ds_store_b64 v3, v[17:18]
	s_waitcnt lgkmcnt(0)
	s_barrier
	buffer_gl0_inv
	v_cmpx_gt_u32_e32 32, v0
	s_cbranch_execz .LBB155_87
; %bb.78:
	v_lshlrev_b32_e32 v1, 1, v0
	v_mbcnt_lo_u32_b32 v24, -1, 0
	s_mov_b32 s3, exec_lo
	s_delay_alu instid0(VALU_DEP_2) | instskip(NEXT) | instid1(VALU_DEP_2)
	v_and_b32_e32 v1, 0x1f8, v1
	v_and_b32_e32 v25, 15, v24
	s_delay_alu instid0(VALU_DEP_2)
	v_lshl_or_b32 v23, v0, 6, v1
	ds_load_2addr_b64 v[1:4], v23 offset1:1
	ds_load_2addr_b64 v[5:8], v23 offset0:2 offset1:3
	ds_load_2addr_b64 v[9:12], v23 offset0:4 offset1:5
	;; [unrolled: 1-line block ×3, first 2 shown]
	s_waitcnt lgkmcnt(3)
	v_add_co_u32 v19, vcc_lo, v3, v1
	v_add_co_ci_u32_e32 v20, vcc_lo, v4, v2, vcc_lo
	s_waitcnt lgkmcnt(2)
	s_delay_alu instid0(VALU_DEP_2) | instskip(NEXT) | instid1(VALU_DEP_2)
	v_add_co_u32 v19, vcc_lo, v19, v5
	v_add_co_ci_u32_e32 v20, vcc_lo, v20, v6, vcc_lo
	s_delay_alu instid0(VALU_DEP_2) | instskip(NEXT) | instid1(VALU_DEP_2)
	v_add_co_u32 v19, vcc_lo, v19, v7
	v_add_co_ci_u32_e32 v20, vcc_lo, v20, v8, vcc_lo
	s_waitcnt lgkmcnt(1)
	s_delay_alu instid0(VALU_DEP_2) | instskip(NEXT) | instid1(VALU_DEP_2)
	v_add_co_u32 v19, vcc_lo, v19, v9
	v_add_co_ci_u32_e32 v20, vcc_lo, v20, v10, vcc_lo
	s_delay_alu instid0(VALU_DEP_2) | instskip(NEXT) | instid1(VALU_DEP_2)
	;; [unrolled: 7-line block ×3, first 2 shown]
	v_add_co_u32 v19, vcc_lo, v19, v15
	v_add_co_ci_u32_e32 v20, vcc_lo, v20, v16, vcc_lo
	s_delay_alu instid0(VALU_DEP_2) | instskip(NEXT) | instid1(VALU_DEP_2)
	v_mov_b32_dpp v27, v19 row_shr:1 row_mask:0xf bank_mask:0xf
	v_mov_b32_e32 v22, v20
	v_mov_b32_dpp v26, v20 row_shr:1 row_mask:0xf bank_mask:0xf
	v_mov_b32_e32 v21, v19
	v_cmpx_ne_u32_e32 0, v25
; %bb.79:
	v_add_co_u32 v19, vcc_lo, v19, v27
	v_add_co_ci_u32_e32 v20, vcc_lo, 0, v20, vcc_lo
	s_delay_alu instid0(VALU_DEP_2) | instskip(NEXT) | instid1(VALU_DEP_2)
	v_add_co_u32 v21, vcc_lo, 0, v19
	v_add_co_ci_u32_e32 v22, vcc_lo, v26, v20, vcc_lo
	s_delay_alu instid0(VALU_DEP_1)
	v_mov_b32_e32 v20, v22
; %bb.80:
	s_or_b32 exec_lo, exec_lo, s3
	v_mov_b32_dpp v27, v19 row_shr:2 row_mask:0xf bank_mask:0xf
	s_delay_alu instid0(VALU_DEP_2)
	v_mov_b32_dpp v26, v20 row_shr:2 row_mask:0xf bank_mask:0xf
	s_mov_b32 s3, exec_lo
	v_cmpx_lt_u32_e32 1, v25
; %bb.81:
	s_delay_alu instid0(VALU_DEP_3) | instskip(SKIP_1) | instid1(VALU_DEP_2)
	v_add_co_u32 v19, vcc_lo, v21, v27
	v_add_co_ci_u32_e32 v20, vcc_lo, 0, v22, vcc_lo
	v_add_co_u32 v21, vcc_lo, 0, v19
	s_delay_alu instid0(VALU_DEP_2) | instskip(NEXT) | instid1(VALU_DEP_1)
	v_add_co_ci_u32_e32 v22, vcc_lo, v26, v20, vcc_lo
	v_mov_b32_e32 v20, v22
; %bb.82:
	s_or_b32 exec_lo, exec_lo, s3
	v_mov_b32_dpp v27, v19 row_shr:4 row_mask:0xf bank_mask:0xf
	s_delay_alu instid0(VALU_DEP_2)
	v_mov_b32_dpp v26, v20 row_shr:4 row_mask:0xf bank_mask:0xf
	s_mov_b32 s3, exec_lo
	v_cmpx_lt_u32_e32 3, v25
; %bb.83:
	s_delay_alu instid0(VALU_DEP_3) | instskip(SKIP_1) | instid1(VALU_DEP_2)
	v_add_co_u32 v19, vcc_lo, v21, v27
	v_add_co_ci_u32_e32 v20, vcc_lo, 0, v22, vcc_lo
	v_add_co_u32 v21, vcc_lo, 0, v19
	s_delay_alu instid0(VALU_DEP_2) | instskip(NEXT) | instid1(VALU_DEP_1)
	v_add_co_ci_u32_e32 v22, vcc_lo, v26, v20, vcc_lo
	v_mov_b32_e32 v20, v22
; %bb.84:
	s_or_b32 exec_lo, exec_lo, s3
	v_mov_b32_dpp v27, v19 row_shr:8 row_mask:0xf bank_mask:0xf
	s_delay_alu instid0(VALU_DEP_2)
	v_mov_b32_dpp v26, v20 row_shr:8 row_mask:0xf bank_mask:0xf
	s_mov_b32 s3, exec_lo
	v_cmpx_lt_u32_e32 7, v25
; %bb.85:
	s_delay_alu instid0(VALU_DEP_3) | instskip(SKIP_1) | instid1(VALU_DEP_2)
	v_add_co_u32 v19, vcc_lo, v21, v27
	v_add_co_ci_u32_e32 v20, vcc_lo, 0, v22, vcc_lo
	v_add_co_u32 v21, vcc_lo, 0, v19
	s_delay_alu instid0(VALU_DEP_2) | instskip(NEXT) | instid1(VALU_DEP_1)
	v_add_co_ci_u32_e32 v22, vcc_lo, v26, v20, vcc_lo
	v_mov_b32_e32 v20, v22
; %bb.86:
	s_or_b32 exec_lo, exec_lo, s3
	ds_swizzle_b32 v25, v19 offset:swizzle(BROADCAST,32,15)
	ds_swizzle_b32 v26, v20 offset:swizzle(BROADCAST,32,15)
	v_add_nc_u32_e32 v27, -1, v24
	v_and_b32_e32 v28, 16, v24
	s_delay_alu instid0(VALU_DEP_2)
	v_cmp_gt_i32_e32 vcc_lo, 0, v27
	v_cndmask_b32_e32 v24, v27, v24, vcc_lo
	s_waitcnt lgkmcnt(1)
	v_add_co_u32 v21, vcc_lo, v21, v25
	v_add_co_ci_u32_e32 v22, vcc_lo, 0, v22, vcc_lo
	v_cmp_eq_u32_e32 vcc_lo, 0, v28
	s_delay_alu instid0(VALU_DEP_3) | instskip(SKIP_1) | instid1(VALU_DEP_3)
	v_cndmask_b32_e32 v19, v21, v19, vcc_lo
	s_waitcnt lgkmcnt(0)
	v_add_nc_u32_e32 v21, v26, v22
	v_lshlrev_b32_e32 v24, 2, v24
	s_delay_alu instid0(VALU_DEP_2)
	v_cndmask_b32_e32 v20, v21, v20, vcc_lo
	ds_bpermute_b32 v19, v24, v19
	ds_bpermute_b32 v20, v24, v20
	s_waitcnt lgkmcnt(1)
	v_add_co_u32 v1, vcc_lo, v1, v19
	v_add_co_ci_u32_e32 v2, vcc_lo, 0, v2, vcc_lo
	s_delay_alu instid0(VALU_DEP_2) | instskip(SKIP_1) | instid1(VALU_DEP_2)
	v_add_co_u32 v1, vcc_lo, v1, 0
	s_waitcnt lgkmcnt(0)
	v_add_co_ci_u32_e32 v2, vcc_lo, v2, v20, vcc_lo
	v_cmp_eq_u32_e32 vcc_lo, 0, v0
	s_delay_alu instid0(VALU_DEP_2) | instskip(NEXT) | instid1(VALU_DEP_1)
	v_dual_cndmask_b32 v1, v1, v17 :: v_dual_cndmask_b32 v2, v2, v18
	v_add_co_u32 v3, vcc_lo, v1, v3
	s_delay_alu instid0(VALU_DEP_2) | instskip(NEXT) | instid1(VALU_DEP_2)
	v_add_co_ci_u32_e32 v4, vcc_lo, v2, v4, vcc_lo
	v_add_co_u32 v5, vcc_lo, v3, v5
	s_delay_alu instid0(VALU_DEP_2) | instskip(NEXT) | instid1(VALU_DEP_2)
	v_add_co_ci_u32_e32 v6, vcc_lo, v4, v6, vcc_lo
	;; [unrolled: 3-line block ×6, first 2 shown]
	v_add_co_u32 v15, vcc_lo, v13, v15
	s_delay_alu instid0(VALU_DEP_2)
	v_add_co_ci_u32_e32 v16, vcc_lo, v14, v16, vcc_lo
	ds_store_2addr_b64 v23, v[1:2], v[3:4] offset1:1
	ds_store_2addr_b64 v23, v[5:6], v[7:8] offset0:2 offset1:3
	ds_store_2addr_b64 v23, v[9:10], v[11:12] offset0:4 offset1:5
	;; [unrolled: 1-line block ×3, first 2 shown]
.LBB155_87:
	s_or_b32 exec_lo, exec_lo, s2
	v_cmp_eq_u32_e32 vcc_lo, 0, v0
	v_dual_mov_b32 v1, v65 :: v_dual_mov_b32 v2, v66
	s_mov_b32 s3, exec_lo
	s_waitcnt lgkmcnt(0)
	s_barrier
	buffer_gl0_inv
	v_cmpx_ne_u32_e32 0, v0
	s_cbranch_execz .LBB155_89
; %bb.88:
	v_add_nc_u32_e32 v1, -1, v0
	s_delay_alu instid0(VALU_DEP_1) | instskip(NEXT) | instid1(VALU_DEP_1)
	v_lshrrev_b32_e32 v2, 5, v1
	v_add_lshl_u32 v1, v2, v1, 3
	ds_load_b64 v[1:2], v1
	s_waitcnt lgkmcnt(0)
	v_add_co_u32 v1, s2, v1, v65
	s_delay_alu instid0(VALU_DEP_1)
	v_add_co_ci_u32_e64 v2, s2, v2, v66, s2
.LBB155_89:
	s_or_b32 exec_lo, exec_lo, s3
	s_delay_alu instid0(VALU_DEP_2) | instskip(NEXT) | instid1(VALU_DEP_1)
	v_add_co_u32 v3, s2, v1, v61
	v_add_co_ci_u32_e64 v4, s2, v2, v62, s2
	s_delay_alu instid0(VALU_DEP_2) | instskip(NEXT) | instid1(VALU_DEP_1)
	v_add_co_u32 v5, s2, v3, v63
	v_add_co_ci_u32_e64 v6, s2, v4, v64, s2
	;; [unrolled: 3-line block ×15, first 2 shown]
	s_and_saveexec_b32 s2, vcc_lo
	s_cbranch_execz .LBB155_91
; %bb.90:
	v_dual_mov_b32 v36, 0 :: v_dual_mov_b32 v35, 2
	s_add_u32 s8, s18, 0x200
	s_addc_u32 s9, s19, 0
	s_delay_alu instid0(SALU_CYCLE_1)
	v_dual_mov_b32 v38, s9 :: v_dual_mov_b32 v37, s8
	ds_load_b64 v[33:34], v36 offset:2096
	s_waitcnt lgkmcnt(0)
	v_add_co_u32 v33, vcc_lo, v33, v65
	v_add_co_ci_u32_e32 v34, vcc_lo, v34, v66, vcc_lo
	;;#ASMSTART
	global_store_dwordx4 v[37:38], v[33:36] off	
s_waitcnt vmcnt(0)
	;;#ASMEND
.LBB155_91:
	s_or_b32 exec_lo, exec_lo, s2
.LBB155_92:
	v_lshlrev_b32_e32 v33, 7, v0
	s_add_u32 s2, s4, s6
	s_addc_u32 s3, s5, s7
	s_and_b32 vcc_lo, exec_lo, s21
	s_mov_b32 s4, -1
	s_waitcnt lgkmcnt(0)
	s_barrier
	buffer_gl0_inv
	s_cbranch_vccz .LBB155_94
; %bb.93:
	v_lshl_add_u32 v34, v84, 3, v33
	v_lshrrev_b32_e32 v35, 5, v80
	v_lshrrev_b32_e32 v36, 5, v79
	v_add_lshl_u32 v37, v83, v0, 3
	v_lshrrev_b32_e32 v42, 5, v78
	ds_store_2addr_b64 v34, v[1:2], v[3:4] offset1:1
	ds_store_2addr_b64 v34, v[5:6], v[7:8] offset0:2 offset1:3
	ds_store_2addr_b64 v34, v[9:10], v[11:12] offset0:4 offset1:5
	ds_store_2addr_b64 v34, v[13:14], v[15:16] offset0:6 offset1:7
	ds_store_2addr_b64 v34, v[17:18], v[19:20] offset0:8 offset1:9
	ds_store_2addr_b64 v34, v[21:22], v[23:24] offset0:10 offset1:11
	ds_store_2addr_b64 v34, v[25:26], v[27:28] offset0:12 offset1:13
	ds_store_2addr_b64 v34, v[29:30], v[31:32] offset0:14 offset1:15
	v_lshrrev_b32_e32 v34, 5, v81
	v_add_lshl_u32 v39, v35, v0, 3
	v_add_lshl_u32 v40, v36, v0, 3
	s_waitcnt lgkmcnt(0)
	s_barrier
	v_add_lshl_u32 v38, v34, v0, 3
	buffer_gl0_inv
	v_lshrrev_b32_e32 v51, 5, v73
	ds_load_b64 v[34:35], v37
	ds_load_b64 v[36:37], v38 offset:2048
	ds_load_b64 v[38:39], v39 offset:4096
	;; [unrolled: 1-line block ×3, first 2 shown]
	v_lshrrev_b32_e32 v43, 5, v77
	v_lshrrev_b32_e32 v52, 5, v72
	;; [unrolled: 1-line block ×5, first 2 shown]
	v_add_lshl_u32 v42, v42, v0, 3
	v_add_lshl_u32 v53, v51, v0, 3
	v_lshrrev_b32_e32 v51, 5, v71
	v_add_lshl_u32 v46, v43, v0, 3
	v_add_lshl_u32 v54, v52, v0, 3
	v_lshrrev_b32_e32 v52, 5, v70
	v_lshrrev_b32_e32 v55, 5, v69
	;; [unrolled: 1-line block ×4, first 2 shown]
	v_add_lshl_u32 v47, v44, v0, 3
	v_add_lshl_u32 v50, v50, v0, 3
	v_add_co_u32 v66, s5, s2, v82
	v_add_lshl_u32 v48, v45, v0, 3
	v_add_co_ci_u32_e64 v95, null, s3, 0, s5
	ds_load_b64 v[42:43], v42 offset:8192
	ds_load_b64 v[44:45], v46 offset:10240
	;; [unrolled: 1-line block ×4, first 2 shown]
	v_add_lshl_u32 v58, v51, v0, 3
	v_add_lshl_u32 v59, v52, v0, 3
	;; [unrolled: 1-line block ×5, first 2 shown]
	ds_load_b64 v[50:51], v50 offset:16384
	ds_load_b64 v[52:53], v53 offset:18432
	;; [unrolled: 1-line block ×8, first 2 shown]
	s_waitcnt lgkmcnt(14)
	global_store_b64 v82, v[36:37], s[2:3] offset:2048
	v_add_co_u32 v36, vcc_lo, 0x1000, v66
	v_add_co_ci_u32_e32 v37, vcc_lo, 0, v95, vcc_lo
	v_add_co_u32 v85, vcc_lo, v66, 0x2000
	v_add_co_ci_u32_e32 v86, vcc_lo, 0, v95, vcc_lo
	;; [unrolled: 2-line block ×6, first 2 shown]
	s_waitcnt lgkmcnt(13)
	global_store_b64 v[85:86], v[38:39], off offset:-4096
	s_waitcnt lgkmcnt(11)
	global_store_b64 v[85:86], v[42:43], off
	s_waitcnt lgkmcnt(9)
	global_store_b64 v[91:92], v[46:47], off offset:-4096
	s_waitcnt lgkmcnt(7)
	s_clause 0x3
	global_store_b64 v[91:92], v[50:51], off
	global_store_b64 v[36:37], v[40:41], off offset:2048
	global_store_b64 v[87:88], v[44:45], off offset:2048
	;; [unrolled: 1-line block ×3, first 2 shown]
	s_waitcnt lgkmcnt(6)
	global_store_b64 v[93:94], v[52:53], off offset:2048
	v_add_co_u32 v36, vcc_lo, v66, 0x6000
	v_add_co_ci_u32_e32 v37, vcc_lo, 0, v95, vcc_lo
	v_add_co_u32 v38, vcc_lo, 0x5000, v66
	v_add_co_ci_u32_e32 v39, vcc_lo, 0, v95, vcc_lo
	;; [unrolled: 2-line block ×4, first 2 shown]
	s_mov_b32 s4, 0
	s_waitcnt lgkmcnt(5)
	s_clause 0x1
	global_store_b64 v[36:37], v[54:55], off offset:-4096
	global_store_b64 v82, v[34:35], s[2:3]
	s_waitcnt lgkmcnt(3)
	s_clause 0x1
	global_store_b64 v[36:37], v[58:59], off
	global_store_b64 v[38:39], v[56:57], off offset:2048
	s_waitcnt lgkmcnt(2)
	global_store_b64 v[40:41], v[60:61], off offset:2048
	s_waitcnt lgkmcnt(1)
	global_store_b64 v[42:43], v[62:63], off
	s_waitcnt lgkmcnt(0)
	global_store_b64 v[42:43], v[64:65], off offset:2048
.LBB155_94:
	s_and_not1_b32 vcc_lo, exec_lo, s4
	s_cbranch_vccnz .LBB155_167
; %bb.95:
	v_lshl_add_u32 v33, v84, 3, v33
	v_add_co_u32 v34, s2, s2, v82
	s_delay_alu instid0(VALU_DEP_1)
	v_add_co_ci_u32_e64 v35, null, s3, 0, s2
	ds_store_2addr_b64 v33, v[1:2], v[3:4] offset1:1
	ds_store_2addr_b64 v33, v[5:6], v[7:8] offset0:2 offset1:3
	ds_store_2addr_b64 v33, v[9:10], v[11:12] offset0:4 offset1:5
	;; [unrolled: 1-line block ×7, first 2 shown]
	v_lshrrev_b32_e32 v1, 5, v81
	v_lshrrev_b32_e32 v2, 5, v80
	;; [unrolled: 1-line block ×3, first 2 shown]
	v_add_lshl_u32 v4, v83, v0, 3
	v_lshrrev_b32_e32 v10, 5, v78
	v_add_lshl_u32 v1, v1, v0, 3
	v_lshrrev_b32_e32 v11, 5, v77
	;; [unrolled: 2-line block ×4, first 2 shown]
	s_waitcnt lgkmcnt(0)
	s_waitcnt_vscnt null, 0x0
	s_barrier
	buffer_gl0_inv
	ds_load_b64 v[4:5], v4
	ds_load_b64 v[2:3], v1 offset:2048
	ds_load_b64 v[6:7], v6 offset:4096
	;; [unrolled: 1-line block ×3, first 2 shown]
	v_add_lshl_u32 v1, v10, v0, 3
	v_lshrrev_b32_e32 v18, 5, v74
	v_add_lshl_u32 v14, v11, v0, 3
	v_lshrrev_b32_e32 v19, 5, v73
	v_lshrrev_b32_e32 v20, 5, v72
	v_add_lshl_u32 v15, v12, v0, 3
	v_add_lshl_u32 v16, v13, v0, 3
	ds_load_b64 v[10:11], v1 offset:8192
	ds_load_b64 v[12:13], v14 offset:10240
	;; [unrolled: 1-line block ×4, first 2 shown]
	v_add_lshl_u32 v1, v18, v0, 3
	v_lshrrev_b32_e32 v18, 5, v71
	v_add_lshl_u32 v21, v19, v0, 3
	v_add_lshl_u32 v22, v20, v0, 3
	v_lshrrev_b32_e32 v19, 5, v70
	v_lshrrev_b32_e32 v20, 5, v69
	;; [unrolled: 1-line block ×4, first 2 shown]
	v_add_lshl_u32 v25, v18, v0, 3
	v_add_lshl_u32 v26, v19, v0, 3
	v_add_lshl_u32 v28, v20, v0, 3
	v_add_lshl_u32 v30, v23, v0, 3
	v_add_lshl_u32 v32, v24, v0, 3
	ds_load_b64 v[18:19], v1 offset:16384
	ds_load_b64 v[20:21], v21 offset:18432
	;; [unrolled: 1-line block ×8, first 2 shown]
	v_mov_b32_e32 v1, 0
	s_mov_b32 s2, exec_lo
	v_cmpx_gt_u32_e64 s14, v0
	s_cbranch_execnz .LBB155_183
; %bb.96:
	s_or_b32 exec_lo, exec_lo, s2
	s_delay_alu instid0(SALU_CYCLE_1)
	s_mov_b32 s2, exec_lo
	v_cmpx_gt_u32_e64 s14, v81
	s_cbranch_execnz .LBB155_184
.LBB155_97:
	s_or_b32 exec_lo, exec_lo, s2
	s_delay_alu instid0(SALU_CYCLE_1)
	s_mov_b32 s2, exec_lo
	v_cmpx_gt_u32_e64 s14, v80
	s_cbranch_execnz .LBB155_185
.LBB155_98:
	s_or_b32 exec_lo, exec_lo, s2
	s_delay_alu instid0(SALU_CYCLE_1)
	s_mov_b32 s2, exec_lo
	v_cmpx_gt_u32_e64 s14, v79
	s_cbranch_execnz .LBB155_186
.LBB155_99:
	s_or_b32 exec_lo, exec_lo, s2
	s_delay_alu instid0(SALU_CYCLE_1)
	s_mov_b32 s2, exec_lo
	v_cmpx_gt_u32_e64 s14, v78
	s_cbranch_execnz .LBB155_187
.LBB155_100:
	s_or_b32 exec_lo, exec_lo, s2
	s_delay_alu instid0(SALU_CYCLE_1)
	s_mov_b32 s2, exec_lo
	v_cmpx_gt_u32_e64 s14, v77
	s_cbranch_execnz .LBB155_188
.LBB155_101:
	s_or_b32 exec_lo, exec_lo, s2
	s_delay_alu instid0(SALU_CYCLE_1)
	s_mov_b32 s2, exec_lo
	v_cmpx_gt_u32_e64 s14, v76
	s_cbranch_execnz .LBB155_189
.LBB155_102:
	s_or_b32 exec_lo, exec_lo, s2
	s_delay_alu instid0(SALU_CYCLE_1)
	s_mov_b32 s2, exec_lo
	v_cmpx_gt_u32_e64 s14, v75
	s_cbranch_execnz .LBB155_190
.LBB155_103:
	s_or_b32 exec_lo, exec_lo, s2
	s_delay_alu instid0(SALU_CYCLE_1)
	s_mov_b32 s2, exec_lo
	v_cmpx_gt_u32_e64 s14, v74
	s_cbranch_execnz .LBB155_191
.LBB155_104:
	s_or_b32 exec_lo, exec_lo, s2
	s_delay_alu instid0(SALU_CYCLE_1)
	s_mov_b32 s2, exec_lo
	v_cmpx_gt_u32_e64 s14, v73
	s_cbranch_execnz .LBB155_192
.LBB155_105:
	s_or_b32 exec_lo, exec_lo, s2
	s_delay_alu instid0(SALU_CYCLE_1)
	s_mov_b32 s2, exec_lo
	v_cmpx_gt_u32_e64 s14, v72
	s_cbranch_execnz .LBB155_193
.LBB155_106:
	s_or_b32 exec_lo, exec_lo, s2
	s_delay_alu instid0(SALU_CYCLE_1)
	s_mov_b32 s2, exec_lo
	v_cmpx_gt_u32_e64 s14, v71
	s_cbranch_execnz .LBB155_194
.LBB155_107:
	s_or_b32 exec_lo, exec_lo, s2
	s_delay_alu instid0(SALU_CYCLE_1)
	s_mov_b32 s2, exec_lo
	v_cmpx_gt_u32_e64 s14, v70
	s_cbranch_execnz .LBB155_195
.LBB155_108:
	s_or_b32 exec_lo, exec_lo, s2
	s_delay_alu instid0(SALU_CYCLE_1)
	s_mov_b32 s2, exec_lo
	v_cmpx_gt_u32_e64 s14, v69
	s_cbranch_execnz .LBB155_196
.LBB155_109:
	s_or_b32 exec_lo, exec_lo, s2
	s_delay_alu instid0(SALU_CYCLE_1)
	s_mov_b32 s2, exec_lo
	v_cmpx_gt_u32_e64 s14, v68
	s_cbranch_execnz .LBB155_197
.LBB155_110:
	s_or_b32 exec_lo, exec_lo, s2
	s_delay_alu instid0(SALU_CYCLE_1)
	s_mov_b32 s2, exec_lo
	v_cmpx_gt_u32_e64 s14, v67
	s_cbranch_execz .LBB155_112
.LBB155_111:
	v_add_co_u32 v34, vcc_lo, 0x7000, v34
	v_add_co_ci_u32_e32 v35, vcc_lo, 0, v35, vcc_lo
	s_waitcnt lgkmcnt(0)
	global_store_b64 v[34:35], v[32:33], off offset:2048
.LBB155_112:
	s_or_b32 exec_lo, exec_lo, s2
	s_load_b32 s0, s[0:1], 0x50
	s_waitcnt lgkmcnt(0)
	s_bfe_u32 s0, s0, 0x10008
	s_delay_alu instid0(SALU_CYCLE_1)
	s_cmp_eq_u32 s0, 0
	s_cbranch_scc1 .LBB155_167
; %bb.113:
	s_add_u32 s0, s14, -1
	s_addc_u32 s1, s20, -1
	s_delay_alu instid0(SALU_CYCLE_1)
	s_lshr_b64 s[2:3], s[0:1], 4
	s_mov_b32 s1, exec_lo
	v_cmpx_eq_u64_e64 s[2:3], v[0:1]
	s_cbranch_execz .LBB155_167
; %bb.114:
	s_and_b32 s0, s0, 15
	s_mov_b32 s1, 0
	s_delay_alu instid0(SALU_CYCLE_1) | instskip(NEXT) | instid1(VALU_DEP_1)
	v_cmp_lt_i64_e64 s2, s[0:1], 8
	s_and_b32 vcc_lo, exec_lo, s2
	s_mov_b32 s2, -1
	s_cbranch_vccnz .LBB155_141
; %bb.115:
	v_cmp_lt_i64_e64 s2, s[0:1], 12
	s_delay_alu instid0(VALU_DEP_1)
	s_and_b32 vcc_lo, exec_lo, s2
	s_mov_b32 s2, -1
	s_cbranch_vccnz .LBB155_128
; %bb.116:
	v_cmp_lt_i64_e64 s2, s[0:1], 14
	s_delay_alu instid0(VALU_DEP_1)
	s_and_b32 vcc_lo, exec_lo, s2
	s_mov_b32 s2, -1
	s_cbranch_vccnz .LBB155_122
; %bb.117:
	v_cmp_gt_i64_e64 s2, s[0:1], 14
	s_delay_alu instid0(VALU_DEP_1)
	s_and_b32 vcc_lo, exec_lo, s2
	s_mov_b32 s2, -1
	s_cbranch_vccz .LBB155_119
; %bb.118:
	v_mov_b32_e32 v0, 0
	s_mov_b32 s2, 0
	global_store_b64 v0, v[32:33], s[10:11]
.LBB155_119:
	s_and_not1_b32 vcc_lo, exec_lo, s2
	s_cbranch_vccnz .LBB155_121
; %bb.120:
	v_mov_b32_e32 v0, 0
	global_store_b64 v0, v[30:31], s[10:11]
.LBB155_121:
	s_mov_b32 s2, 0
.LBB155_122:
	s_delay_alu instid0(SALU_CYCLE_1)
	s_and_not1_b32 vcc_lo, exec_lo, s2
	s_cbranch_vccnz .LBB155_127
; %bb.123:
	v_cmp_gt_i64_e64 s2, s[0:1], 12
	s_delay_alu instid0(VALU_DEP_1)
	s_and_b32 vcc_lo, exec_lo, s2
	s_mov_b32 s2, -1
	s_cbranch_vccz .LBB155_125
; %bb.124:
	v_mov_b32_e32 v0, 0
	s_mov_b32 s2, 0
	global_store_b64 v0, v[28:29], s[10:11]
.LBB155_125:
	s_and_not1_b32 vcc_lo, exec_lo, s2
	s_cbranch_vccnz .LBB155_127
; %bb.126:
	v_mov_b32_e32 v0, 0
	global_store_b64 v0, v[26:27], s[10:11]
.LBB155_127:
	s_mov_b32 s2, 0
.LBB155_128:
	s_delay_alu instid0(SALU_CYCLE_1)
	s_and_not1_b32 vcc_lo, exec_lo, s2
	s_cbranch_vccnz .LBB155_140
; %bb.129:
	v_cmp_lt_i64_e64 s2, s[0:1], 10
	s_delay_alu instid0(VALU_DEP_1)
	s_and_b32 vcc_lo, exec_lo, s2
	s_mov_b32 s2, -1
	s_cbranch_vccnz .LBB155_135
; %bb.130:
	v_cmp_gt_i64_e64 s2, s[0:1], 10
	s_delay_alu instid0(VALU_DEP_1)
	s_and_b32 vcc_lo, exec_lo, s2
	s_mov_b32 s2, -1
	s_cbranch_vccz .LBB155_132
; %bb.131:
	v_mov_b32_e32 v0, 0
	s_mov_b32 s2, 0
	global_store_b64 v0, v[24:25], s[10:11]
.LBB155_132:
	s_and_not1_b32 vcc_lo, exec_lo, s2
	s_cbranch_vccnz .LBB155_134
; %bb.133:
	v_mov_b32_e32 v0, 0
	global_store_b64 v0, v[22:23], s[10:11]
.LBB155_134:
	s_mov_b32 s2, 0
.LBB155_135:
	s_delay_alu instid0(SALU_CYCLE_1)
	s_and_not1_b32 vcc_lo, exec_lo, s2
	s_cbranch_vccnz .LBB155_140
; %bb.136:
	v_cmp_gt_i64_e64 s2, s[0:1], 8
	s_delay_alu instid0(VALU_DEP_1)
	s_and_b32 vcc_lo, exec_lo, s2
	s_mov_b32 s2, -1
	s_cbranch_vccz .LBB155_138
; %bb.137:
	v_mov_b32_e32 v0, 0
	s_mov_b32 s2, 0
	global_store_b64 v0, v[20:21], s[10:11]
.LBB155_138:
	s_and_not1_b32 vcc_lo, exec_lo, s2
	s_cbranch_vccnz .LBB155_140
; %bb.139:
	v_mov_b32_e32 v0, 0
	global_store_b64 v0, v[18:19], s[10:11]
.LBB155_140:
	s_mov_b32 s2, 0
.LBB155_141:
	s_delay_alu instid0(SALU_CYCLE_1)
	s_and_not1_b32 vcc_lo, exec_lo, s2
	s_cbranch_vccnz .LBB155_167
; %bb.142:
	v_cmp_lt_i64_e64 s2, s[0:1], 4
	s_delay_alu instid0(VALU_DEP_1)
	s_and_b32 vcc_lo, exec_lo, s2
	s_mov_b32 s2, -1
	s_cbranch_vccnz .LBB155_155
; %bb.143:
	v_cmp_lt_i64_e64 s2, s[0:1], 6
	s_delay_alu instid0(VALU_DEP_1)
	s_and_b32 vcc_lo, exec_lo, s2
	s_mov_b32 s2, -1
	s_cbranch_vccnz .LBB155_149
; %bb.144:
	v_cmp_gt_i64_e64 s2, s[0:1], 6
	s_delay_alu instid0(VALU_DEP_1)
	s_and_b32 vcc_lo, exec_lo, s2
	s_mov_b32 s2, -1
	s_cbranch_vccz .LBB155_146
; %bb.145:
	v_mov_b32_e32 v0, 0
	s_mov_b32 s2, 0
	global_store_b64 v0, v[16:17], s[10:11]
.LBB155_146:
	s_and_not1_b32 vcc_lo, exec_lo, s2
	s_cbranch_vccnz .LBB155_148
; %bb.147:
	v_mov_b32_e32 v0, 0
	global_store_b64 v0, v[14:15], s[10:11]
.LBB155_148:
	s_mov_b32 s2, 0
.LBB155_149:
	s_delay_alu instid0(SALU_CYCLE_1)
	s_and_not1_b32 vcc_lo, exec_lo, s2
	s_cbranch_vccnz .LBB155_154
; %bb.150:
	v_cmp_gt_i64_e64 s2, s[0:1], 4
	s_delay_alu instid0(VALU_DEP_1)
	s_and_b32 vcc_lo, exec_lo, s2
	s_mov_b32 s2, -1
	s_cbranch_vccz .LBB155_152
; %bb.151:
	v_mov_b32_e32 v0, 0
	s_mov_b32 s2, 0
	global_store_b64 v0, v[12:13], s[10:11]
.LBB155_152:
	s_and_not1_b32 vcc_lo, exec_lo, s2
	s_cbranch_vccnz .LBB155_154
; %bb.153:
	v_mov_b32_e32 v0, 0
	global_store_b64 v0, v[10:11], s[10:11]
.LBB155_154:
	s_mov_b32 s2, 0
.LBB155_155:
	s_delay_alu instid0(SALU_CYCLE_1)
	s_and_not1_b32 vcc_lo, exec_lo, s2
	s_cbranch_vccnz .LBB155_167
; %bb.156:
	v_cmp_lt_i64_e64 s2, s[0:1], 2
	s_delay_alu instid0(VALU_DEP_1)
	s_and_b32 vcc_lo, exec_lo, s2
	s_mov_b32 s2, -1
	s_cbranch_vccnz .LBB155_162
; %bb.157:
	v_cmp_gt_i64_e64 s2, s[0:1], 2
	s_delay_alu instid0(VALU_DEP_1)
	s_and_b32 vcc_lo, exec_lo, s2
	s_mov_b32 s2, -1
	s_cbranch_vccz .LBB155_159
; %bb.158:
	v_mov_b32_e32 v0, 0
	s_mov_b32 s2, 0
	global_store_b64 v0, v[8:9], s[10:11]
.LBB155_159:
	s_and_not1_b32 vcc_lo, exec_lo, s2
	s_cbranch_vccnz .LBB155_161
; %bb.160:
	v_mov_b32_e32 v0, 0
	global_store_b64 v0, v[6:7], s[10:11]
.LBB155_161:
	s_mov_b32 s2, 0
.LBB155_162:
	s_delay_alu instid0(SALU_CYCLE_1)
	s_and_not1_b32 vcc_lo, exec_lo, s2
	s_cbranch_vccnz .LBB155_167
; %bb.163:
	s_cmp_eq_u64 s[0:1], 1
	s_mov_b32 s0, -1
	s_cbranch_scc1 .LBB155_165
; %bb.164:
	v_mov_b32_e32 v0, 0
	s_mov_b32 s0, 0
	global_store_b64 v0, v[4:5], s[10:11]
.LBB155_165:
	s_and_not1_b32 vcc_lo, exec_lo, s0
	s_cbranch_vccnz .LBB155_167
; %bb.166:
	v_mov_b32_e32 v0, 0
	global_store_b64 v0, v[2:3], s[10:11]
.LBB155_167:
	s_nop 0
	s_sendmsg sendmsg(MSG_DEALLOC_VGPRS)
	s_endpgm
.LBB155_168:
	global_load_b64 v[33:34], v[35:36], off
	v_dual_mov_b32 v1, s36 :: v_dual_mov_b32 v2, s37
	v_dual_mov_b32 v3, s38 :: v_dual_mov_b32 v4, s39
	;; [unrolled: 1-line block ×16, first 2 shown]
	s_or_b32 exec_lo, exec_lo, s3
	s_delay_alu instid0(SALU_CYCLE_1)
	s_mov_b32 s2, exec_lo
	v_cmpx_gt_u32_e64 s14, v81
	s_cbranch_execz .LBB155_5
.LBB155_169:
	global_load_b64 v[3:4], v[35:36], off offset:2048
	s_or_b32 exec_lo, exec_lo, s2
	s_delay_alu instid0(SALU_CYCLE_1)
	s_mov_b32 s2, exec_lo
	v_cmpx_gt_u32_e64 s14, v80
	s_cbranch_execz .LBB155_6
.LBB155_170:
	v_add_co_u32 v1, vcc_lo, 0x1000, v35
	v_add_co_ci_u32_e32 v2, vcc_lo, 0, v36, vcc_lo
	global_load_b64 v[5:6], v[1:2], off
	s_or_b32 exec_lo, exec_lo, s2
	s_delay_alu instid0(SALU_CYCLE_1)
	s_mov_b32 s2, exec_lo
	v_cmpx_gt_u32_e64 s14, v79
	s_cbranch_execz .LBB155_7
.LBB155_171:
	v_add_co_u32 v1, vcc_lo, 0x1000, v35
	v_add_co_ci_u32_e32 v2, vcc_lo, 0, v36, vcc_lo
	global_load_b64 v[7:8], v[1:2], off offset:2048
	s_or_b32 exec_lo, exec_lo, s2
	s_delay_alu instid0(SALU_CYCLE_1)
	s_mov_b32 s2, exec_lo
	v_cmpx_gt_u32_e64 s14, v78
	s_cbranch_execz .LBB155_8
.LBB155_172:
	v_add_co_u32 v1, vcc_lo, 0x2000, v35
	v_add_co_ci_u32_e32 v2, vcc_lo, 0, v36, vcc_lo
	global_load_b64 v[9:10], v[1:2], off
	s_or_b32 exec_lo, exec_lo, s2
	s_delay_alu instid0(SALU_CYCLE_1)
	s_mov_b32 s2, exec_lo
	v_cmpx_gt_u32_e64 s14, v77
	s_cbranch_execz .LBB155_9
.LBB155_173:
	v_add_co_u32 v1, vcc_lo, 0x2000, v35
	v_add_co_ci_u32_e32 v2, vcc_lo, 0, v36, vcc_lo
	global_load_b64 v[11:12], v[1:2], off offset:2048
	s_or_b32 exec_lo, exec_lo, s2
	s_delay_alu instid0(SALU_CYCLE_1)
	s_mov_b32 s2, exec_lo
	v_cmpx_gt_u32_e64 s14, v76
	s_cbranch_execz .LBB155_10
.LBB155_174:
	v_add_co_u32 v1, vcc_lo, 0x3000, v35
	v_add_co_ci_u32_e32 v2, vcc_lo, 0, v36, vcc_lo
	global_load_b64 v[13:14], v[1:2], off
	s_or_b32 exec_lo, exec_lo, s2
	s_delay_alu instid0(SALU_CYCLE_1)
	s_mov_b32 s2, exec_lo
	v_cmpx_gt_u32_e64 s14, v75
	s_cbranch_execz .LBB155_11
.LBB155_175:
	v_add_co_u32 v1, vcc_lo, 0x3000, v35
	v_add_co_ci_u32_e32 v2, vcc_lo, 0, v36, vcc_lo
	global_load_b64 v[15:16], v[1:2], off offset:2048
	s_or_b32 exec_lo, exec_lo, s2
	s_delay_alu instid0(SALU_CYCLE_1)
	s_mov_b32 s2, exec_lo
	v_cmpx_gt_u32_e64 s14, v74
	s_cbranch_execz .LBB155_12
.LBB155_176:
	v_add_co_u32 v1, vcc_lo, 0x4000, v35
	v_add_co_ci_u32_e32 v2, vcc_lo, 0, v36, vcc_lo
	global_load_b64 v[17:18], v[1:2], off
	s_or_b32 exec_lo, exec_lo, s2
	s_delay_alu instid0(SALU_CYCLE_1)
	s_mov_b32 s2, exec_lo
	v_cmpx_gt_u32_e64 s14, v73
	s_cbranch_execz .LBB155_13
.LBB155_177:
	v_add_co_u32 v1, vcc_lo, 0x4000, v35
	v_add_co_ci_u32_e32 v2, vcc_lo, 0, v36, vcc_lo
	global_load_b64 v[19:20], v[1:2], off offset:2048
	s_or_b32 exec_lo, exec_lo, s2
	s_delay_alu instid0(SALU_CYCLE_1)
	s_mov_b32 s2, exec_lo
	v_cmpx_gt_u32_e64 s14, v72
	s_cbranch_execz .LBB155_14
.LBB155_178:
	v_add_co_u32 v1, vcc_lo, 0x5000, v35
	v_add_co_ci_u32_e32 v2, vcc_lo, 0, v36, vcc_lo
	global_load_b64 v[21:22], v[1:2], off
	s_or_b32 exec_lo, exec_lo, s2
	s_delay_alu instid0(SALU_CYCLE_1)
	s_mov_b32 s2, exec_lo
	v_cmpx_gt_u32_e64 s14, v71
	s_cbranch_execz .LBB155_15
.LBB155_179:
	v_add_co_u32 v1, vcc_lo, 0x5000, v35
	v_add_co_ci_u32_e32 v2, vcc_lo, 0, v36, vcc_lo
	global_load_b64 v[23:24], v[1:2], off offset:2048
	s_or_b32 exec_lo, exec_lo, s2
	s_delay_alu instid0(SALU_CYCLE_1)
	s_mov_b32 s2, exec_lo
	v_cmpx_gt_u32_e64 s14, v70
	s_cbranch_execz .LBB155_16
.LBB155_180:
	v_add_co_u32 v1, vcc_lo, 0x6000, v35
	v_add_co_ci_u32_e32 v2, vcc_lo, 0, v36, vcc_lo
	global_load_b64 v[25:26], v[1:2], off
	s_or_b32 exec_lo, exec_lo, s2
	s_delay_alu instid0(SALU_CYCLE_1)
	s_mov_b32 s2, exec_lo
	v_cmpx_gt_u32_e64 s14, v69
	s_cbranch_execz .LBB155_17
.LBB155_181:
	v_add_co_u32 v1, vcc_lo, 0x6000, v35
	v_add_co_ci_u32_e32 v2, vcc_lo, 0, v36, vcc_lo
	global_load_b64 v[27:28], v[1:2], off offset:2048
	s_or_b32 exec_lo, exec_lo, s2
	s_delay_alu instid0(SALU_CYCLE_1)
	s_mov_b32 s2, exec_lo
	v_cmpx_gt_u32_e64 s14, v68
	s_cbranch_execz .LBB155_18
.LBB155_182:
	v_add_co_u32 v1, vcc_lo, 0x7000, v35
	v_add_co_ci_u32_e32 v2, vcc_lo, 0, v36, vcc_lo
	global_load_b64 v[29:30], v[1:2], off
	s_or_b32 exec_lo, exec_lo, s2
	s_delay_alu instid0(SALU_CYCLE_1)
	s_mov_b32 s2, exec_lo
	v_cmpx_gt_u32_e64 s14, v67
	s_cbranch_execnz .LBB155_19
	s_branch .LBB155_20
.LBB155_183:
	s_waitcnt lgkmcnt(15)
	global_store_b64 v[34:35], v[4:5], off
	s_or_b32 exec_lo, exec_lo, s2
	s_delay_alu instid0(SALU_CYCLE_1)
	s_mov_b32 s2, exec_lo
	v_cmpx_gt_u32_e64 s14, v81
	s_cbranch_execz .LBB155_97
.LBB155_184:
	s_waitcnt lgkmcnt(14)
	global_store_b64 v[34:35], v[2:3], off offset:2048
	s_or_b32 exec_lo, exec_lo, s2
	s_delay_alu instid0(SALU_CYCLE_1)
	s_mov_b32 s2, exec_lo
	v_cmpx_gt_u32_e64 s14, v80
	s_cbranch_execz .LBB155_98
.LBB155_185:
	v_add_co_u32 v36, vcc_lo, 0x1000, v34
	v_add_co_ci_u32_e32 v37, vcc_lo, 0, v35, vcc_lo
	s_waitcnt lgkmcnt(13)
	global_store_b64 v[36:37], v[6:7], off
	s_or_b32 exec_lo, exec_lo, s2
	s_delay_alu instid0(SALU_CYCLE_1)
	s_mov_b32 s2, exec_lo
	v_cmpx_gt_u32_e64 s14, v79
	s_cbranch_execz .LBB155_99
.LBB155_186:
	v_add_co_u32 v36, vcc_lo, 0x1000, v34
	v_add_co_ci_u32_e32 v37, vcc_lo, 0, v35, vcc_lo
	s_waitcnt lgkmcnt(12)
	global_store_b64 v[36:37], v[8:9], off offset:2048
	s_or_b32 exec_lo, exec_lo, s2
	s_delay_alu instid0(SALU_CYCLE_1)
	s_mov_b32 s2, exec_lo
	v_cmpx_gt_u32_e64 s14, v78
	s_cbranch_execz .LBB155_100
.LBB155_187:
	v_add_co_u32 v36, vcc_lo, 0x2000, v34
	v_add_co_ci_u32_e32 v37, vcc_lo, 0, v35, vcc_lo
	s_waitcnt lgkmcnt(11)
	global_store_b64 v[36:37], v[10:11], off
	s_or_b32 exec_lo, exec_lo, s2
	s_delay_alu instid0(SALU_CYCLE_1)
	s_mov_b32 s2, exec_lo
	v_cmpx_gt_u32_e64 s14, v77
	s_cbranch_execz .LBB155_101
.LBB155_188:
	v_add_co_u32 v36, vcc_lo, 0x2000, v34
	v_add_co_ci_u32_e32 v37, vcc_lo, 0, v35, vcc_lo
	s_waitcnt lgkmcnt(10)
	global_store_b64 v[36:37], v[12:13], off offset:2048
	s_or_b32 exec_lo, exec_lo, s2
	s_delay_alu instid0(SALU_CYCLE_1)
	s_mov_b32 s2, exec_lo
	v_cmpx_gt_u32_e64 s14, v76
	s_cbranch_execz .LBB155_102
.LBB155_189:
	v_add_co_u32 v36, vcc_lo, 0x3000, v34
	v_add_co_ci_u32_e32 v37, vcc_lo, 0, v35, vcc_lo
	s_waitcnt lgkmcnt(9)
	global_store_b64 v[36:37], v[14:15], off
	s_or_b32 exec_lo, exec_lo, s2
	s_delay_alu instid0(SALU_CYCLE_1)
	s_mov_b32 s2, exec_lo
	v_cmpx_gt_u32_e64 s14, v75
	s_cbranch_execz .LBB155_103
.LBB155_190:
	v_add_co_u32 v36, vcc_lo, 0x3000, v34
	v_add_co_ci_u32_e32 v37, vcc_lo, 0, v35, vcc_lo
	s_waitcnt lgkmcnt(8)
	global_store_b64 v[36:37], v[16:17], off offset:2048
	s_or_b32 exec_lo, exec_lo, s2
	s_delay_alu instid0(SALU_CYCLE_1)
	s_mov_b32 s2, exec_lo
	v_cmpx_gt_u32_e64 s14, v74
	s_cbranch_execz .LBB155_104
.LBB155_191:
	v_add_co_u32 v36, vcc_lo, 0x4000, v34
	v_add_co_ci_u32_e32 v37, vcc_lo, 0, v35, vcc_lo
	s_waitcnt lgkmcnt(7)
	global_store_b64 v[36:37], v[18:19], off
	s_or_b32 exec_lo, exec_lo, s2
	s_delay_alu instid0(SALU_CYCLE_1)
	s_mov_b32 s2, exec_lo
	v_cmpx_gt_u32_e64 s14, v73
	s_cbranch_execz .LBB155_105
.LBB155_192:
	v_add_co_u32 v36, vcc_lo, 0x4000, v34
	v_add_co_ci_u32_e32 v37, vcc_lo, 0, v35, vcc_lo
	s_waitcnt lgkmcnt(6)
	global_store_b64 v[36:37], v[20:21], off offset:2048
	s_or_b32 exec_lo, exec_lo, s2
	s_delay_alu instid0(SALU_CYCLE_1)
	s_mov_b32 s2, exec_lo
	v_cmpx_gt_u32_e64 s14, v72
	s_cbranch_execz .LBB155_106
.LBB155_193:
	v_add_co_u32 v36, vcc_lo, 0x5000, v34
	v_add_co_ci_u32_e32 v37, vcc_lo, 0, v35, vcc_lo
	s_waitcnt lgkmcnt(5)
	global_store_b64 v[36:37], v[22:23], off
	s_or_b32 exec_lo, exec_lo, s2
	s_delay_alu instid0(SALU_CYCLE_1)
	s_mov_b32 s2, exec_lo
	v_cmpx_gt_u32_e64 s14, v71
	s_cbranch_execz .LBB155_107
.LBB155_194:
	v_add_co_u32 v36, vcc_lo, 0x5000, v34
	v_add_co_ci_u32_e32 v37, vcc_lo, 0, v35, vcc_lo
	s_waitcnt lgkmcnt(4)
	global_store_b64 v[36:37], v[24:25], off offset:2048
	s_or_b32 exec_lo, exec_lo, s2
	s_delay_alu instid0(SALU_CYCLE_1)
	s_mov_b32 s2, exec_lo
	v_cmpx_gt_u32_e64 s14, v70
	s_cbranch_execz .LBB155_108
.LBB155_195:
	v_add_co_u32 v36, vcc_lo, 0x6000, v34
	v_add_co_ci_u32_e32 v37, vcc_lo, 0, v35, vcc_lo
	s_waitcnt lgkmcnt(3)
	global_store_b64 v[36:37], v[26:27], off
	s_or_b32 exec_lo, exec_lo, s2
	s_delay_alu instid0(SALU_CYCLE_1)
	s_mov_b32 s2, exec_lo
	v_cmpx_gt_u32_e64 s14, v69
	s_cbranch_execz .LBB155_109
.LBB155_196:
	v_add_co_u32 v36, vcc_lo, 0x6000, v34
	v_add_co_ci_u32_e32 v37, vcc_lo, 0, v35, vcc_lo
	s_waitcnt lgkmcnt(2)
	global_store_b64 v[36:37], v[28:29], off offset:2048
	s_or_b32 exec_lo, exec_lo, s2
	s_delay_alu instid0(SALU_CYCLE_1)
	s_mov_b32 s2, exec_lo
	v_cmpx_gt_u32_e64 s14, v68
	s_cbranch_execz .LBB155_110
.LBB155_197:
	v_add_co_u32 v36, vcc_lo, 0x7000, v34
	v_add_co_ci_u32_e32 v37, vcc_lo, 0, v35, vcc_lo
	s_waitcnt lgkmcnt(1)
	global_store_b64 v[36:37], v[30:31], off
	s_or_b32 exec_lo, exec_lo, s2
	s_delay_alu instid0(SALU_CYCLE_1)
	s_mov_b32 s2, exec_lo
	v_cmpx_gt_u32_e64 s14, v67
	s_cbranch_execnz .LBB155_111
	s_branch .LBB155_112
	.section	.rodata,"a",@progbits
	.p2align	6, 0x0
	.amdhsa_kernel _ZN7rocprim6detail20lookback_scan_kernelILNS0_25lookback_scan_determinismE0ELb1ENS0_19wrapped_scan_configINS_14default_configEmEEN6hipcub22TransformInputIteratorImNS6_6CastOpImEEPmlEESA_NS6_3SumENS_12future_valueImSA_EEmNS0_19lookback_scan_stateImLb0ELb1EEEEEvT2_T3_mT5_T4_T7_jPT6_SN_bb
		.amdhsa_group_segment_fixed_size 33792
		.amdhsa_private_segment_fixed_size 0
		.amdhsa_kernarg_size 84
		.amdhsa_user_sgpr_count 15
		.amdhsa_user_sgpr_dispatch_ptr 0
		.amdhsa_user_sgpr_queue_ptr 0
		.amdhsa_user_sgpr_kernarg_segment_ptr 1
		.amdhsa_user_sgpr_dispatch_id 0
		.amdhsa_user_sgpr_private_segment_size 0
		.amdhsa_wavefront_size32 1
		.amdhsa_uses_dynamic_stack 0
		.amdhsa_enable_private_segment 0
		.amdhsa_system_sgpr_workgroup_id_x 1
		.amdhsa_system_sgpr_workgroup_id_y 0
		.amdhsa_system_sgpr_workgroup_id_z 0
		.amdhsa_system_sgpr_workgroup_info 0
		.amdhsa_system_vgpr_workitem_id 0
		.amdhsa_next_free_vgpr 96
		.amdhsa_next_free_sgpr 68
		.amdhsa_reserve_vcc 1
		.amdhsa_float_round_mode_32 0
		.amdhsa_float_round_mode_16_64 0
		.amdhsa_float_denorm_mode_32 3
		.amdhsa_float_denorm_mode_16_64 3
		.amdhsa_dx10_clamp 1
		.amdhsa_ieee_mode 1
		.amdhsa_fp16_overflow 0
		.amdhsa_workgroup_processor_mode 1
		.amdhsa_memory_ordered 1
		.amdhsa_forward_progress 0
		.amdhsa_shared_vgpr_count 0
		.amdhsa_exception_fp_ieee_invalid_op 0
		.amdhsa_exception_fp_denorm_src 0
		.amdhsa_exception_fp_ieee_div_zero 0
		.amdhsa_exception_fp_ieee_overflow 0
		.amdhsa_exception_fp_ieee_underflow 0
		.amdhsa_exception_fp_ieee_inexact 0
		.amdhsa_exception_int_div_zero 0
	.end_amdhsa_kernel
	.section	.text._ZN7rocprim6detail20lookback_scan_kernelILNS0_25lookback_scan_determinismE0ELb1ENS0_19wrapped_scan_configINS_14default_configEmEEN6hipcub22TransformInputIteratorImNS6_6CastOpImEEPmlEESA_NS6_3SumENS_12future_valueImSA_EEmNS0_19lookback_scan_stateImLb0ELb1EEEEEvT2_T3_mT5_T4_T7_jPT6_SN_bb,"axG",@progbits,_ZN7rocprim6detail20lookback_scan_kernelILNS0_25lookback_scan_determinismE0ELb1ENS0_19wrapped_scan_configINS_14default_configEmEEN6hipcub22TransformInputIteratorImNS6_6CastOpImEEPmlEESA_NS6_3SumENS_12future_valueImSA_EEmNS0_19lookback_scan_stateImLb0ELb1EEEEEvT2_T3_mT5_T4_T7_jPT6_SN_bb,comdat
.Lfunc_end155:
	.size	_ZN7rocprim6detail20lookback_scan_kernelILNS0_25lookback_scan_determinismE0ELb1ENS0_19wrapped_scan_configINS_14default_configEmEEN6hipcub22TransformInputIteratorImNS6_6CastOpImEEPmlEESA_NS6_3SumENS_12future_valueImSA_EEmNS0_19lookback_scan_stateImLb0ELb1EEEEEvT2_T3_mT5_T4_T7_jPT6_SN_bb, .Lfunc_end155-_ZN7rocprim6detail20lookback_scan_kernelILNS0_25lookback_scan_determinismE0ELb1ENS0_19wrapped_scan_configINS_14default_configEmEEN6hipcub22TransformInputIteratorImNS6_6CastOpImEEPmlEESA_NS6_3SumENS_12future_valueImSA_EEmNS0_19lookback_scan_stateImLb0ELb1EEEEEvT2_T3_mT5_T4_T7_jPT6_SN_bb
                                        ; -- End function
	.section	.AMDGPU.csdata,"",@progbits
; Kernel info:
; codeLenInByte = 11240
; NumSgprs: 70
; NumVgprs: 96
; ScratchSize: 0
; MemoryBound: 1
; FloatMode: 240
; IeeeMode: 1
; LDSByteSize: 33792 bytes/workgroup (compile time only)
; SGPRBlocks: 8
; VGPRBlocks: 11
; NumSGPRsForWavesPerEU: 70
; NumVGPRsForWavesPerEU: 96
; Occupancy: 6
; WaveLimiterHint : 1
; COMPUTE_PGM_RSRC2:SCRATCH_EN: 0
; COMPUTE_PGM_RSRC2:USER_SGPR: 15
; COMPUTE_PGM_RSRC2:TRAP_HANDLER: 0
; COMPUTE_PGM_RSRC2:TGID_X_EN: 1
; COMPUTE_PGM_RSRC2:TGID_Y_EN: 0
; COMPUTE_PGM_RSRC2:TGID_Z_EN: 0
; COMPUTE_PGM_RSRC2:TIDIG_COMP_CNT: 0
	.section	.text._ZN7rocprim6detail18single_scan_kernelILb1ENS0_19wrapped_scan_configINS_14default_configEmEEN6hipcub22TransformInputIteratorImNS5_6CastOpImEEPmlEES9_NS5_3SumENS_12future_valueImS9_EEmEEvT1_mT4_T2_T3_,"axG",@progbits,_ZN7rocprim6detail18single_scan_kernelILb1ENS0_19wrapped_scan_configINS_14default_configEmEEN6hipcub22TransformInputIteratorImNS5_6CastOpImEEPmlEES9_NS5_3SumENS_12future_valueImS9_EEmEEvT1_mT4_T2_T3_,comdat
	.protected	_ZN7rocprim6detail18single_scan_kernelILb1ENS0_19wrapped_scan_configINS_14default_configEmEEN6hipcub22TransformInputIteratorImNS5_6CastOpImEEPmlEES9_NS5_3SumENS_12future_valueImS9_EEmEEvT1_mT4_T2_T3_ ; -- Begin function _ZN7rocprim6detail18single_scan_kernelILb1ENS0_19wrapped_scan_configINS_14default_configEmEEN6hipcub22TransformInputIteratorImNS5_6CastOpImEEPmlEES9_NS5_3SumENS_12future_valueImS9_EEmEEvT1_mT4_T2_T3_
	.globl	_ZN7rocprim6detail18single_scan_kernelILb1ENS0_19wrapped_scan_configINS_14default_configEmEEN6hipcub22TransformInputIteratorImNS5_6CastOpImEEPmlEES9_NS5_3SumENS_12future_valueImS9_EEmEEvT1_mT4_T2_T3_
	.p2align	8
	.type	_ZN7rocprim6detail18single_scan_kernelILb1ENS0_19wrapped_scan_configINS_14default_configEmEEN6hipcub22TransformInputIteratorImNS5_6CastOpImEEPmlEES9_NS5_3SumENS_12future_valueImS9_EEmEEvT1_mT4_T2_T3_,@function
_ZN7rocprim6detail18single_scan_kernelILb1ENS0_19wrapped_scan_configINS_14default_configEmEEN6hipcub22TransformInputIteratorImNS5_6CastOpImEEPmlEES9_NS5_3SumENS_12future_valueImS9_EEmEEvT1_mT4_T2_T3_: ; @_ZN7rocprim6detail18single_scan_kernelILb1ENS0_19wrapped_scan_configINS_14default_configEmEEN6hipcub22TransformInputIteratorImNS5_6CastOpImEEPmlEES9_NS5_3SumENS_12future_valueImS9_EEmEEvT1_mT4_T2_T3_
; %bb.0:
	s_clause 0x1
	s_load_b64 s[2:3], s[0:1], 0x0
	s_load_b128 s[20:23], s[0:1], 0x10
	s_waitcnt lgkmcnt(0)
	s_load_b64 s[36:37], s[2:3], 0x0
	v_cmp_gt_u32_e32 vcc_lo, s20, v0
	s_waitcnt lgkmcnt(0)
	s_mov_b32 s38, s36
	s_mov_b32 s39, s37
	;; [unrolled: 1-line block ×30, first 2 shown]
	v_lshlrev_b32_e32 v53, 3, v0
	v_dual_mov_b32 v1, s36 :: v_dual_mov_b32 v4, s39
	v_dual_mov_b32 v2, s37 :: v_dual_mov_b32 v33, s36
	s_delay_alu instid0(VALU_DEP_3) | instskip(NEXT) | instid1(VALU_DEP_1)
	v_add_co_u32 v35, s2, s2, v53
	v_add_co_ci_u32_e64 v36, null, s3, 0, s2
	v_dual_mov_b32 v3, s38 :: v_dual_mov_b32 v6, s41
	v_dual_mov_b32 v5, s40 :: v_dual_mov_b32 v8, s43
	;; [unrolled: 1-line block ×15, first 2 shown]
	s_and_saveexec_b32 s2, vcc_lo
	s_cbranch_execz .LBB156_2
; %bb.1:
	global_load_b64 v[33:34], v[35:36], off
	v_dual_mov_b32 v1, s36 :: v_dual_mov_b32 v2, s37
	v_dual_mov_b32 v3, s38 :: v_dual_mov_b32 v4, s39
	;; [unrolled: 1-line block ×16, first 2 shown]
.LBB156_2:
	s_or_b32 exec_lo, exec_lo, s2
	v_or_b32_e32 v1, 0x100, v0
	s_delay_alu instid0(VALU_DEP_1) | instskip(NEXT) | instid1(VALU_DEP_1)
	v_cmp_gt_u32_e64 s2, s20, v1
	s_and_saveexec_b32 s3, s2
	s_cbranch_execz .LBB156_4
; %bb.3:
	global_load_b64 v[3:4], v[35:36], off offset:2048
.LBB156_4:
	s_or_b32 exec_lo, exec_lo, s3
	v_or_b32_e32 v2, 0x200, v0
	s_delay_alu instid0(VALU_DEP_1) | instskip(NEXT) | instid1(VALU_DEP_1)
	v_cmp_gt_u32_e64 s3, s20, v2
	s_and_saveexec_b32 s5, s3
	s_cbranch_execz .LBB156_6
; %bb.5:
	v_add_co_u32 v5, s4, 0x1000, v35
	s_delay_alu instid0(VALU_DEP_1)
	v_add_co_ci_u32_e64 v6, s4, 0, v36, s4
	global_load_b64 v[5:6], v[5:6], off
.LBB156_6:
	s_or_b32 exec_lo, exec_lo, s5
	v_or_b32_e32 v37, 0x300, v0
	s_delay_alu instid0(VALU_DEP_1) | instskip(NEXT) | instid1(VALU_DEP_1)
	v_cmp_gt_u32_e64 s4, s20, v37
	s_and_saveexec_b32 s6, s4
	s_cbranch_execz .LBB156_8
; %bb.7:
	v_add_co_u32 v7, s5, 0x1000, v35
	s_delay_alu instid0(VALU_DEP_1)
	v_add_co_ci_u32_e64 v8, s5, 0, v36, s5
	global_load_b64 v[7:8], v[7:8], off offset:2048
.LBB156_8:
	s_or_b32 exec_lo, exec_lo, s6
	v_or_b32_e32 v38, 0x400, v0
	s_delay_alu instid0(VALU_DEP_1) | instskip(NEXT) | instid1(VALU_DEP_1)
	v_cmp_gt_u32_e64 s5, s20, v38
	s_and_saveexec_b32 s7, s5
	s_cbranch_execz .LBB156_10
; %bb.9:
	v_add_co_u32 v9, s6, 0x2000, v35
	s_delay_alu instid0(VALU_DEP_1)
	v_add_co_ci_u32_e64 v10, s6, 0, v36, s6
	global_load_b64 v[9:10], v[9:10], off
.LBB156_10:
	s_or_b32 exec_lo, exec_lo, s7
	v_or_b32_e32 v39, 0x500, v0
	s_delay_alu instid0(VALU_DEP_1) | instskip(NEXT) | instid1(VALU_DEP_1)
	v_cmp_gt_u32_e64 s6, s20, v39
	s_and_saveexec_b32 s8, s6
	s_cbranch_execz .LBB156_12
; %bb.11:
	v_add_co_u32 v11, s7, 0x2000, v35
	s_delay_alu instid0(VALU_DEP_1)
	v_add_co_ci_u32_e64 v12, s7, 0, v36, s7
	global_load_b64 v[11:12], v[11:12], off offset:2048
.LBB156_12:
	;; [unrolled: 24-line block ×6, first 2 shown]
	s_or_b32 exec_lo, exec_lo, s16
	v_or_b32_e32 v48, 0xe00, v0
	s_delay_alu instid0(VALU_DEP_1) | instskip(NEXT) | instid1(VALU_DEP_1)
	v_cmp_gt_u32_e64 s15, s20, v48
	s_and_saveexec_b32 s17, s15
	s_cbranch_execz .LBB156_30
; %bb.29:
	v_add_co_u32 v29, s16, 0x7000, v35
	s_delay_alu instid0(VALU_DEP_1)
	v_add_co_ci_u32_e64 v30, s16, 0, v36, s16
	global_load_b64 v[29:30], v[29:30], off
.LBB156_30:
	s_or_b32 exec_lo, exec_lo, s17
	s_load_b64 s[16:17], s[0:1], 0x20
	v_or_b32_e32 v49, 0xf00, v0
	s_delay_alu instid0(VALU_DEP_1) | instskip(NEXT) | instid1(VALU_DEP_1)
	v_cmp_gt_u32_e64 s0, s20, v49
	s_and_saveexec_b32 s18, s0
	s_cbranch_execz .LBB156_32
; %bb.31:
	v_add_co_u32 v31, s1, 0x7000, v35
	s_delay_alu instid0(VALU_DEP_1)
	v_add_co_ci_u32_e64 v32, s1, 0, v36, s1
	global_load_b64 v[31:32], v[31:32], off offset:2048
.LBB156_32:
	s_or_b32 exec_lo, exec_lo, s18
	v_lshrrev_b32_e32 v1, 2, v1
	v_lshrrev_b32_e32 v2, 2, v2
	;; [unrolled: 1-line block ×5, first 2 shown]
	v_and_b32_e32 v1, 0x78, v1
	v_lshrrev_b32_e32 v38, 2, v39
	s_load_b64 s[18:19], s[22:23], 0x0
	v_and_b32_e32 v35, 56, v35
	s_mov_b32 s20, exec_lo
	v_add_nc_u32_e32 v55, v1, v53
	v_and_b32_e32 v1, 0xf8, v2
	v_and_b32_e32 v2, 0xf8, v36
	v_add_nc_u32_e32 v54, v35, v53
	v_and_b32_e32 v35, 0x1f8, v37
	s_waitcnt vmcnt(0)
	ds_store_b64 v54, v[33:34]
	ds_store_b64 v55, v[3:4] offset:2048
	v_add_nc_u32_e32 v56, v1, v53
	v_and_b32_e32 v1, 0x1f8, v38
	v_add_nc_u32_e32 v57, v2, v53
	v_lshrrev_b32_e32 v2, 2, v40
	v_lshrrev_b32_e32 v3, 2, v42
	;; [unrolled: 1-line block ×3, first 2 shown]
	v_add_nc_u32_e32 v59, v1, v53
	v_add_nc_u32_e32 v58, v35, v53
	v_and_b32_e32 v1, 0x1f8, v2
	v_lshrrev_b32_e32 v2, 2, v41
	v_and_b32_e32 v3, 0x3f8, v3
	v_and_b32_e32 v4, 0x3f8, v4
	ds_store_b64 v56, v[5:6] offset:4096
	v_add_nc_u32_e32 v60, v1, v53
	v_and_b32_e32 v1, 0x1f8, v2
	v_lshrrev_b32_e32 v2, 2, v44
	v_add_nc_u32_e32 v62, v3, v53
	v_lshrrev_b32_e32 v3, 2, v47
	v_add_nc_u32_e32 v63, v4, v53
	v_add_nc_u32_e32 v61, v1, v53
	v_and_b32_e32 v1, 0x3f8, v2
	v_lshrrev_b32_e32 v2, 2, v45
	v_and_b32_e32 v3, 0x3f8, v3
	v_lshrrev_b32_e32 v4, 2, v48
	ds_store_b64 v57, v[7:8] offset:6144
	ds_store_b64 v58, v[9:10] offset:8192
	v_add_nc_u32_e32 v64, v1, v53
	v_and_b32_e32 v1, 0x3f8, v2
	v_lshrrev_b32_e32 v2, 2, v46
	v_add_nc_u32_e32 v67, v3, v53
	v_lshrrev_b32_e32 v3, 1, v0
	v_and_b32_e32 v4, 0x3f8, v4
	v_add_nc_u32_e32 v65, v1, v53
	v_and_b32_e32 v1, 0x3f8, v2
	v_lshrrev_b32_e32 v2, 2, v49
	ds_store_b64 v59, v[11:12] offset:10240
	v_add_nc_u32_e32 v68, v4, v53
	ds_store_b64 v60, v[13:14] offset:12288
	v_add_nc_u32_e32 v66, v1, v53
	v_and_b32_e32 v1, 0x3f8, v2
	v_lshlrev_b32_e32 v2, 4, v0
	ds_store_b64 v61, v[15:16] offset:14336
	ds_store_b64 v62, v[17:18] offset:16384
	;; [unrolled: 1-line block ×4, first 2 shown]
	v_add_nc_u32_e32 v69, v1, v53
	v_add_lshl_u32 v70, v3, v2, 3
	ds_store_b64 v65, v[23:24] offset:22528
	ds_store_b64 v66, v[25:26] offset:24576
	;; [unrolled: 1-line block ×5, first 2 shown]
	s_waitcnt lgkmcnt(0)
	s_barrier
	buffer_gl0_inv
	ds_load_2addr_b64 v[1:4], v70 offset1:1
	ds_load_2addr_b64 v[5:8], v70 offset0:2 offset1:3
	ds_load_2addr_b64 v[9:12], v70 offset0:4 offset1:5
	;; [unrolled: 1-line block ×6, first 2 shown]
	s_waitcnt lgkmcnt(6)
	v_add_co_u32 v13, s1, v3, v1
	s_delay_alu instid0(VALU_DEP_1) | instskip(SKIP_1) | instid1(VALU_DEP_2)
	v_add_co_ci_u32_e64 v14, s1, v4, v2, s1
	s_waitcnt lgkmcnt(5)
	v_add_co_u32 v13, s1, v13, v5
	s_delay_alu instid0(VALU_DEP_1) | instskip(NEXT) | instid1(VALU_DEP_2)
	v_add_co_ci_u32_e64 v14, s1, v14, v6, s1
	v_add_co_u32 v13, s1, v13, v7
	s_delay_alu instid0(VALU_DEP_1) | instskip(SKIP_1) | instid1(VALU_DEP_2)
	v_add_co_ci_u32_e64 v14, s1, v14, v8, s1
	s_waitcnt lgkmcnt(4)
	v_add_co_u32 v13, s1, v13, v9
	s_delay_alu instid0(VALU_DEP_1) | instskip(NEXT) | instid1(VALU_DEP_2)
	v_add_co_ci_u32_e64 v14, s1, v14, v10, s1
	;; [unrolled: 7-line block ×4, first 2 shown]
	v_add_co_u32 v33, s1, v13, v31
	s_delay_alu instid0(VALU_DEP_1) | instskip(SKIP_3) | instid1(VALU_DEP_1)
	v_add_co_ci_u32_e64 v34, s1, v14, v32, s1
	ds_load_2addr_b64 v[13:16], v70 offset0:14 offset1:15
	s_waitcnt lgkmcnt(2)
	v_add_co_u32 v33, s1, v33, v21
	v_add_co_ci_u32_e64 v34, s1, v34, v22, s1
	s_waitcnt lgkmcnt(0)
	s_delay_alu instid0(VALU_DEP_2) | instskip(NEXT) | instid1(VALU_DEP_1)
	v_add_co_u32 v33, s1, v33, v23
	v_add_co_ci_u32_e64 v34, s1, v34, v24, s1
	s_barrier
	s_delay_alu instid0(VALU_DEP_2) | instskip(NEXT) | instid1(VALU_DEP_1)
	v_add_co_u32 v33, s1, v33, v17
	v_add_co_ci_u32_e64 v34, s1, v34, v18, s1
	buffer_gl0_inv
	v_add_co_u32 v33, s1, v33, v19
	s_delay_alu instid0(VALU_DEP_1) | instskip(NEXT) | instid1(VALU_DEP_2)
	v_add_co_ci_u32_e64 v34, s1, v34, v20, s1
	v_add_co_u32 v33, s1, v33, v13
	s_delay_alu instid0(VALU_DEP_1) | instskip(NEXT) | instid1(VALU_DEP_2)
	v_add_co_ci_u32_e64 v34, s1, v34, v14, s1
	v_add_co_u32 v15, s1, v33, v15
	s_delay_alu instid0(VALU_DEP_1)
	v_add_co_ci_u32_e64 v16, s1, v34, v16, s1
	ds_store_b64 v54, v[15:16]
	s_waitcnt lgkmcnt(0)
	s_barrier
	buffer_gl0_inv
	v_cmpx_gt_u32_e32 32, v0
	s_cbranch_execz .LBB156_42
; %bb.33:
	v_lshlrev_b32_e32 v33, 1, v0
	v_mbcnt_lo_u32_b32 v72, -1, 0
	s_mov_b32 s21, exec_lo
	s_delay_alu instid0(VALU_DEP_2) | instskip(NEXT) | instid1(VALU_DEP_2)
	v_and_b32_e32 v33, 0x1f8, v33
	v_and_b32_e32 v73, 15, v72
	s_delay_alu instid0(VALU_DEP_2)
	v_lshl_or_b32 v71, v0, 6, v33
	ds_load_2addr_b64 v[33:36], v71 offset1:1
	ds_load_2addr_b64 v[37:40], v71 offset0:2 offset1:3
	ds_load_2addr_b64 v[41:44], v71 offset0:4 offset1:5
	;; [unrolled: 1-line block ×3, first 2 shown]
	s_waitcnt lgkmcnt(3)
	v_add_co_u32 v49, s1, v35, v33
	s_delay_alu instid0(VALU_DEP_1) | instskip(SKIP_1) | instid1(VALU_DEP_2)
	v_add_co_ci_u32_e64 v50, s1, v36, v34, s1
	s_waitcnt lgkmcnt(2)
	v_add_co_u32 v49, s1, v49, v37
	s_delay_alu instid0(VALU_DEP_1) | instskip(NEXT) | instid1(VALU_DEP_2)
	v_add_co_ci_u32_e64 v50, s1, v50, v38, s1
	v_add_co_u32 v49, s1, v49, v39
	s_delay_alu instid0(VALU_DEP_1) | instskip(SKIP_1) | instid1(VALU_DEP_2)
	v_add_co_ci_u32_e64 v50, s1, v50, v40, s1
	s_waitcnt lgkmcnt(1)
	v_add_co_u32 v49, s1, v49, v41
	s_delay_alu instid0(VALU_DEP_1) | instskip(NEXT) | instid1(VALU_DEP_2)
	v_add_co_ci_u32_e64 v50, s1, v50, v42, s1
	;; [unrolled: 7-line block ×3, first 2 shown]
	v_add_co_u32 v49, s1, v49, v47
	s_delay_alu instid0(VALU_DEP_1) | instskip(NEXT) | instid1(VALU_DEP_2)
	v_add_co_ci_u32_e64 v50, s1, v50, v48, s1
	v_mov_b32_dpp v75, v49 row_shr:1 row_mask:0xf bank_mask:0xf
	s_delay_alu instid0(VALU_DEP_2)
	v_mov_b32_e32 v52, v50
	v_mov_b32_dpp v74, v50 row_shr:1 row_mask:0xf bank_mask:0xf
	v_mov_b32_e32 v51, v49
	v_cmpx_ne_u32_e32 0, v73
; %bb.34:
	v_add_co_u32 v49, s1, v49, v75
	s_delay_alu instid0(VALU_DEP_1) | instskip(NEXT) | instid1(VALU_DEP_2)
	v_add_co_ci_u32_e64 v50, s1, 0, v50, s1
	v_add_co_u32 v51, s1, 0, v49
	s_delay_alu instid0(VALU_DEP_1) | instskip(NEXT) | instid1(VALU_DEP_1)
	v_add_co_ci_u32_e64 v52, s1, v74, v50, s1
	v_mov_b32_e32 v50, v52
; %bb.35:
	s_or_b32 exec_lo, exec_lo, s21
	v_mov_b32_dpp v75, v49 row_shr:2 row_mask:0xf bank_mask:0xf
	s_delay_alu instid0(VALU_DEP_2)
	v_mov_b32_dpp v74, v50 row_shr:2 row_mask:0xf bank_mask:0xf
	s_mov_b32 s21, exec_lo
	v_cmpx_lt_u32_e32 1, v73
; %bb.36:
	s_delay_alu instid0(VALU_DEP_3) | instskip(NEXT) | instid1(VALU_DEP_1)
	v_add_co_u32 v49, s1, v51, v75
	v_add_co_ci_u32_e64 v50, s1, 0, v52, s1
	s_delay_alu instid0(VALU_DEP_2) | instskip(NEXT) | instid1(VALU_DEP_1)
	v_add_co_u32 v51, s1, 0, v49
	v_add_co_ci_u32_e64 v52, s1, v74, v50, s1
	s_delay_alu instid0(VALU_DEP_1)
	v_mov_b32_e32 v50, v52
; %bb.37:
	s_or_b32 exec_lo, exec_lo, s21
	v_mov_b32_dpp v75, v49 row_shr:4 row_mask:0xf bank_mask:0xf
	s_delay_alu instid0(VALU_DEP_2)
	v_mov_b32_dpp v74, v50 row_shr:4 row_mask:0xf bank_mask:0xf
	s_mov_b32 s21, exec_lo
	v_cmpx_lt_u32_e32 3, v73
; %bb.38:
	s_delay_alu instid0(VALU_DEP_3) | instskip(NEXT) | instid1(VALU_DEP_1)
	v_add_co_u32 v49, s1, v51, v75
	v_add_co_ci_u32_e64 v50, s1, 0, v52, s1
	s_delay_alu instid0(VALU_DEP_2) | instskip(NEXT) | instid1(VALU_DEP_1)
	v_add_co_u32 v51, s1, 0, v49
	v_add_co_ci_u32_e64 v52, s1, v74, v50, s1
	s_delay_alu instid0(VALU_DEP_1)
	;; [unrolled: 16-line block ×3, first 2 shown]
	v_mov_b32_e32 v50, v52
; %bb.41:
	s_or_b32 exec_lo, exec_lo, s21
	ds_swizzle_b32 v73, v49 offset:swizzle(BROADCAST,32,15)
	ds_swizzle_b32 v74, v50 offset:swizzle(BROADCAST,32,15)
	v_add_nc_u32_e32 v75, -1, v72
	v_and_b32_e32 v76, 16, v72
	s_delay_alu instid0(VALU_DEP_2) | instskip(NEXT) | instid1(VALU_DEP_1)
	v_cmp_gt_i32_e64 s1, 0, v75
	v_cndmask_b32_e64 v72, v75, v72, s1
	s_delay_alu instid0(VALU_DEP_1) | instskip(SKIP_2) | instid1(VALU_DEP_1)
	v_lshlrev_b32_e32 v72, 2, v72
	s_waitcnt lgkmcnt(1)
	v_add_co_u32 v51, s1, v51, v73
	v_add_co_ci_u32_e64 v52, s1, 0, v52, s1
	v_cmp_eq_u32_e64 s1, 0, v76
	s_delay_alu instid0(VALU_DEP_1) | instskip(SKIP_1) | instid1(VALU_DEP_3)
	v_cndmask_b32_e64 v49, v51, v49, s1
	s_waitcnt lgkmcnt(0)
	v_add_nc_u32_e32 v51, v74, v52
	ds_bpermute_b32 v49, v72, v49
	v_cndmask_b32_e64 v50, v51, v50, s1
	ds_bpermute_b32 v50, v72, v50
	s_waitcnt lgkmcnt(1)
	v_add_co_u32 v33, s1, v33, v49
	s_delay_alu instid0(VALU_DEP_1) | instskip(NEXT) | instid1(VALU_DEP_2)
	v_add_co_ci_u32_e64 v34, s1, 0, v34, s1
	v_add_co_u32 v33, s1, v33, 0
	s_waitcnt lgkmcnt(0)
	s_delay_alu instid0(VALU_DEP_2) | instskip(SKIP_1) | instid1(VALU_DEP_1)
	v_add_co_ci_u32_e64 v34, s1, v34, v50, s1
	v_cmp_eq_u32_e64 s1, 0, v0
	v_cndmask_b32_e64 v15, v33, v15, s1
	s_delay_alu instid0(VALU_DEP_3) | instskip(NEXT) | instid1(VALU_DEP_2)
	v_cndmask_b32_e64 v16, v34, v16, s1
	v_add_co_u32 v33, s1, v15, v35
	s_delay_alu instid0(VALU_DEP_1) | instskip(NEXT) | instid1(VALU_DEP_2)
	v_add_co_ci_u32_e64 v34, s1, v16, v36, s1
	v_add_co_u32 v35, s1, v33, v37
	s_delay_alu instid0(VALU_DEP_1) | instskip(NEXT) | instid1(VALU_DEP_2)
	v_add_co_ci_u32_e64 v36, s1, v34, v38, s1
	;; [unrolled: 3-line block ×6, first 2 shown]
	v_add_co_u32 v45, s1, v43, v47
	s_delay_alu instid0(VALU_DEP_1)
	v_add_co_ci_u32_e64 v46, s1, v44, v48, s1
	ds_store_2addr_b64 v71, v[15:16], v[33:34] offset1:1
	ds_store_2addr_b64 v71, v[35:36], v[37:38] offset0:2 offset1:3
	ds_store_2addr_b64 v71, v[39:40], v[41:42] offset0:4 offset1:5
	;; [unrolled: 1-line block ×3, first 2 shown]
.LBB156_42:
	s_or_b32 exec_lo, exec_lo, s20
	v_dual_mov_b32 v15, s18 :: v_dual_mov_b32 v16, s19
	s_mov_b32 s20, exec_lo
	s_waitcnt lgkmcnt(0)
	s_barrier
	buffer_gl0_inv
	v_cmpx_ne_u32_e32 0, v0
	s_cbranch_execz .LBB156_44
; %bb.43:
	v_add_nc_u32_e32 v0, -1, v0
	s_delay_alu instid0(VALU_DEP_1) | instskip(NEXT) | instid1(VALU_DEP_1)
	v_lshrrev_b32_e32 v15, 5, v0
	v_add_lshl_u32 v0, v15, v0, 3
	ds_load_b64 v[15:16], v0
	s_waitcnt lgkmcnt(0)
	v_add_co_u32 v15, s1, v15, s18
	s_delay_alu instid0(VALU_DEP_1)
	v_add_co_ci_u32_e64 v16, s1, s19, v16, s1
.LBB156_44:
	s_or_b32 exec_lo, exec_lo, s20
	s_delay_alu instid0(VALU_DEP_2) | instskip(NEXT) | instid1(VALU_DEP_1)
	v_add_co_u32 v0, s1, v15, v1
	v_add_co_ci_u32_e64 v1, s1, v16, v2, s1
	s_delay_alu instid0(VALU_DEP_2) | instskip(NEXT) | instid1(VALU_DEP_1)
	v_add_co_u32 v2, s1, v0, v3
	v_add_co_ci_u32_e64 v3, s1, v1, v4, s1
	s_barrier
	s_delay_alu instid0(VALU_DEP_2) | instskip(NEXT) | instid1(VALU_DEP_1)
	v_add_co_u32 v4, s1, v2, v5
	v_add_co_ci_u32_e64 v5, s1, v3, v6, s1
	buffer_gl0_inv
	v_add_co_u32 v6, s1, v4, v7
	s_delay_alu instid0(VALU_DEP_1) | instskip(SKIP_3) | instid1(VALU_DEP_1)
	v_add_co_ci_u32_e64 v7, s1, v5, v8, s1
	ds_store_2addr_b64 v70, v[15:16], v[0:1] offset1:1
	ds_store_2addr_b64 v70, v[2:3], v[4:5] offset0:2 offset1:3
	v_add_co_u32 v8, s1, v6, v9
	v_add_co_ci_u32_e64 v9, s1, v7, v10, s1
	s_delay_alu instid0(VALU_DEP_2) | instskip(NEXT) | instid1(VALU_DEP_1)
	v_add_co_u32 v10, s1, v8, v11
	v_add_co_ci_u32_e64 v11, s1, v9, v12, s1
	s_delay_alu instid0(VALU_DEP_2) | instskip(NEXT) | instid1(VALU_DEP_1)
	;; [unrolled: 3-line block ×10, first 2 shown]
	v_add_co_u32 v0, s1, v19, v13
	v_add_co_ci_u32_e64 v1, s1, v20, v14, s1
	ds_store_2addr_b64 v70, v[6:7], v[8:9] offset0:4 offset1:5
	ds_store_2addr_b64 v70, v[10:11], v[25:26] offset0:6 offset1:7
	;; [unrolled: 1-line block ×6, first 2 shown]
	s_waitcnt lgkmcnt(0)
	s_barrier
	buffer_gl0_inv
	ds_load_b64 v[30:31], v55 offset:2048
	ds_load_b64 v[28:29], v56 offset:4096
	;; [unrolled: 1-line block ×15, first 2 shown]
	v_add_co_u32 v2, s1, s16, v53
	s_delay_alu instid0(VALU_DEP_1)
	v_add_co_ci_u32_e64 v3, null, s17, 0, s1
	s_and_saveexec_b32 s1, vcc_lo
	s_cbranch_execnz .LBB156_61
; %bb.45:
	s_or_b32 exec_lo, exec_lo, s1
	s_and_saveexec_b32 s1, s2
	s_cbranch_execnz .LBB156_62
.LBB156_46:
	s_or_b32 exec_lo, exec_lo, s1
	s_and_saveexec_b32 s1, s3
	s_cbranch_execnz .LBB156_63
.LBB156_47:
	s_or_b32 exec_lo, exec_lo, s1
	s_and_saveexec_b32 s1, s4
	s_cbranch_execnz .LBB156_64
.LBB156_48:
	s_or_b32 exec_lo, exec_lo, s1
	s_and_saveexec_b32 s1, s5
	s_cbranch_execnz .LBB156_65
.LBB156_49:
	s_or_b32 exec_lo, exec_lo, s1
	s_and_saveexec_b32 s1, s6
	s_cbranch_execnz .LBB156_66
.LBB156_50:
	s_or_b32 exec_lo, exec_lo, s1
	s_and_saveexec_b32 s1, s7
	s_cbranch_execnz .LBB156_67
.LBB156_51:
	s_or_b32 exec_lo, exec_lo, s1
	s_and_saveexec_b32 s1, s8
	s_cbranch_execnz .LBB156_68
.LBB156_52:
	s_or_b32 exec_lo, exec_lo, s1
	s_and_saveexec_b32 s1, s9
	s_cbranch_execnz .LBB156_69
.LBB156_53:
	s_or_b32 exec_lo, exec_lo, s1
	s_and_saveexec_b32 s1, s10
	s_cbranch_execnz .LBB156_70
.LBB156_54:
	s_or_b32 exec_lo, exec_lo, s1
	s_and_saveexec_b32 s1, s11
	s_cbranch_execnz .LBB156_71
.LBB156_55:
	s_or_b32 exec_lo, exec_lo, s1
	s_and_saveexec_b32 s1, s12
	s_cbranch_execnz .LBB156_72
.LBB156_56:
	s_or_b32 exec_lo, exec_lo, s1
	s_and_saveexec_b32 s1, s13
	s_cbranch_execnz .LBB156_73
.LBB156_57:
	s_or_b32 exec_lo, exec_lo, s1
	s_and_saveexec_b32 s1, s14
	s_cbranch_execnz .LBB156_74
.LBB156_58:
	s_or_b32 exec_lo, exec_lo, s1
	s_and_saveexec_b32 s1, s15
	s_cbranch_execnz .LBB156_75
.LBB156_59:
	s_or_b32 exec_lo, exec_lo, s1
	s_and_saveexec_b32 s1, s0
	s_cbranch_execnz .LBB156_76
.LBB156_60:
	s_nop 0
	s_sendmsg sendmsg(MSG_DEALLOC_VGPRS)
	s_endpgm
.LBB156_61:
	ds_load_b64 v[32:33], v54
	s_waitcnt lgkmcnt(0)
	global_store_b64 v[2:3], v[32:33], off
	s_or_b32 exec_lo, exec_lo, s1
	s_and_saveexec_b32 s1, s2
	s_cbranch_execz .LBB156_46
.LBB156_62:
	s_waitcnt lgkmcnt(14)
	global_store_b64 v[2:3], v[30:31], off offset:2048
	s_or_b32 exec_lo, exec_lo, s1
	s_and_saveexec_b32 s1, s3
	s_cbranch_execz .LBB156_47
.LBB156_63:
	s_waitcnt lgkmcnt(14)
	v_add_co_u32 v30, vcc_lo, 0x1000, v2
	v_add_co_ci_u32_e32 v31, vcc_lo, 0, v3, vcc_lo
	s_waitcnt lgkmcnt(13)
	global_store_b64 v[30:31], v[28:29], off
	s_or_b32 exec_lo, exec_lo, s1
	s_and_saveexec_b32 s1, s4
	s_cbranch_execz .LBB156_48
.LBB156_64:
	s_waitcnt lgkmcnt(13)
	v_add_co_u32 v28, vcc_lo, 0x1000, v2
	v_add_co_ci_u32_e32 v29, vcc_lo, 0, v3, vcc_lo
	s_waitcnt lgkmcnt(12)
	global_store_b64 v[28:29], v[26:27], off offset:2048
	s_or_b32 exec_lo, exec_lo, s1
	s_and_saveexec_b32 s1, s5
	s_cbranch_execz .LBB156_49
.LBB156_65:
	s_waitcnt lgkmcnt(12)
	v_add_co_u32 v26, vcc_lo, 0x2000, v2
	v_add_co_ci_u32_e32 v27, vcc_lo, 0, v3, vcc_lo
	s_waitcnt lgkmcnt(11)
	global_store_b64 v[26:27], v[24:25], off
	s_or_b32 exec_lo, exec_lo, s1
	s_and_saveexec_b32 s1, s6
	s_cbranch_execz .LBB156_50
.LBB156_66:
	s_waitcnt lgkmcnt(11)
	v_add_co_u32 v24, vcc_lo, 0x2000, v2
	v_add_co_ci_u32_e32 v25, vcc_lo, 0, v3, vcc_lo
	s_waitcnt lgkmcnt(10)
	global_store_b64 v[24:25], v[22:23], off offset:2048
	s_or_b32 exec_lo, exec_lo, s1
	s_and_saveexec_b32 s1, s7
	s_cbranch_execz .LBB156_51
.LBB156_67:
	s_waitcnt lgkmcnt(10)
	v_add_co_u32 v22, vcc_lo, 0x3000, v2
	v_add_co_ci_u32_e32 v23, vcc_lo, 0, v3, vcc_lo
	s_waitcnt lgkmcnt(9)
	global_store_b64 v[22:23], v[20:21], off
	s_or_b32 exec_lo, exec_lo, s1
	s_and_saveexec_b32 s1, s8
	s_cbranch_execz .LBB156_52
.LBB156_68:
	s_waitcnt lgkmcnt(9)
	v_add_co_u32 v20, vcc_lo, 0x3000, v2
	v_add_co_ci_u32_e32 v21, vcc_lo, 0, v3, vcc_lo
	s_waitcnt lgkmcnt(8)
	global_store_b64 v[20:21], v[18:19], off offset:2048
	s_or_b32 exec_lo, exec_lo, s1
	s_and_saveexec_b32 s1, s9
	s_cbranch_execz .LBB156_53
.LBB156_69:
	s_waitcnt lgkmcnt(8)
	v_add_co_u32 v18, vcc_lo, 0x4000, v2
	v_add_co_ci_u32_e32 v19, vcc_lo, 0, v3, vcc_lo
	s_waitcnt lgkmcnt(7)
	global_store_b64 v[18:19], v[16:17], off
	s_or_b32 exec_lo, exec_lo, s1
	s_and_saveexec_b32 s1, s10
	s_cbranch_execz .LBB156_54
.LBB156_70:
	s_waitcnt lgkmcnt(7)
	v_add_co_u32 v16, vcc_lo, 0x4000, v2
	v_add_co_ci_u32_e32 v17, vcc_lo, 0, v3, vcc_lo
	s_waitcnt lgkmcnt(6)
	global_store_b64 v[16:17], v[14:15], off offset:2048
	s_or_b32 exec_lo, exec_lo, s1
	s_and_saveexec_b32 s1, s11
	s_cbranch_execz .LBB156_55
.LBB156_71:
	s_waitcnt lgkmcnt(6)
	v_add_co_u32 v14, vcc_lo, 0x5000, v2
	v_add_co_ci_u32_e32 v15, vcc_lo, 0, v3, vcc_lo
	s_waitcnt lgkmcnt(5)
	global_store_b64 v[14:15], v[12:13], off
	s_or_b32 exec_lo, exec_lo, s1
	s_and_saveexec_b32 s1, s12
	s_cbranch_execz .LBB156_56
.LBB156_72:
	s_waitcnt lgkmcnt(5)
	v_add_co_u32 v12, vcc_lo, 0x5000, v2
	v_add_co_ci_u32_e32 v13, vcc_lo, 0, v3, vcc_lo
	s_waitcnt lgkmcnt(4)
	global_store_b64 v[12:13], v[10:11], off offset:2048
	s_or_b32 exec_lo, exec_lo, s1
	s_and_saveexec_b32 s1, s13
	s_cbranch_execz .LBB156_57
.LBB156_73:
	s_waitcnt lgkmcnt(4)
	v_add_co_u32 v10, vcc_lo, 0x6000, v2
	v_add_co_ci_u32_e32 v11, vcc_lo, 0, v3, vcc_lo
	s_waitcnt lgkmcnt(3)
	global_store_b64 v[10:11], v[8:9], off
	s_or_b32 exec_lo, exec_lo, s1
	s_and_saveexec_b32 s1, s14
	s_cbranch_execz .LBB156_58
.LBB156_74:
	s_waitcnt lgkmcnt(3)
	v_add_co_u32 v8, vcc_lo, 0x6000, v2
	v_add_co_ci_u32_e32 v9, vcc_lo, 0, v3, vcc_lo
	s_waitcnt lgkmcnt(2)
	global_store_b64 v[8:9], v[6:7], off offset:2048
	s_or_b32 exec_lo, exec_lo, s1
	s_and_saveexec_b32 s1, s15
	s_cbranch_execz .LBB156_59
.LBB156_75:
	s_waitcnt lgkmcnt(2)
	v_add_co_u32 v6, vcc_lo, 0x7000, v2
	v_add_co_ci_u32_e32 v7, vcc_lo, 0, v3, vcc_lo
	s_waitcnt lgkmcnt(1)
	global_store_b64 v[6:7], v[4:5], off
	s_or_b32 exec_lo, exec_lo, s1
	s_and_saveexec_b32 s1, s0
	s_cbranch_execz .LBB156_60
.LBB156_76:
	v_add_co_u32 v2, vcc_lo, 0x7000, v2
	v_add_co_ci_u32_e32 v3, vcc_lo, 0, v3, vcc_lo
	s_waitcnt lgkmcnt(0)
	global_store_b64 v[2:3], v[0:1], off offset:2048
	s_nop 0
	s_sendmsg sendmsg(MSG_DEALLOC_VGPRS)
	s_endpgm
	.section	.rodata,"a",@progbits
	.p2align	6, 0x0
	.amdhsa_kernel _ZN7rocprim6detail18single_scan_kernelILb1ENS0_19wrapped_scan_configINS_14default_configEmEEN6hipcub22TransformInputIteratorImNS5_6CastOpImEEPmlEES9_NS5_3SumENS_12future_valueImS9_EEmEEvT1_mT4_T2_T3_
		.amdhsa_group_segment_fixed_size 33792
		.amdhsa_private_segment_fixed_size 0
		.amdhsa_kernarg_size 44
		.amdhsa_user_sgpr_count 15
		.amdhsa_user_sgpr_dispatch_ptr 0
		.amdhsa_user_sgpr_queue_ptr 0
		.amdhsa_user_sgpr_kernarg_segment_ptr 1
		.amdhsa_user_sgpr_dispatch_id 0
		.amdhsa_user_sgpr_private_segment_size 0
		.amdhsa_wavefront_size32 1
		.amdhsa_uses_dynamic_stack 0
		.amdhsa_enable_private_segment 0
		.amdhsa_system_sgpr_workgroup_id_x 1
		.amdhsa_system_sgpr_workgroup_id_y 0
		.amdhsa_system_sgpr_workgroup_id_z 0
		.amdhsa_system_sgpr_workgroup_info 0
		.amdhsa_system_vgpr_workitem_id 0
		.amdhsa_next_free_vgpr 77
		.amdhsa_next_free_sgpr 68
		.amdhsa_reserve_vcc 1
		.amdhsa_float_round_mode_32 0
		.amdhsa_float_round_mode_16_64 0
		.amdhsa_float_denorm_mode_32 3
		.amdhsa_float_denorm_mode_16_64 3
		.amdhsa_dx10_clamp 1
		.amdhsa_ieee_mode 1
		.amdhsa_fp16_overflow 0
		.amdhsa_workgroup_processor_mode 1
		.amdhsa_memory_ordered 1
		.amdhsa_forward_progress 0
		.amdhsa_shared_vgpr_count 0
		.amdhsa_exception_fp_ieee_invalid_op 0
		.amdhsa_exception_fp_denorm_src 0
		.amdhsa_exception_fp_ieee_div_zero 0
		.amdhsa_exception_fp_ieee_overflow 0
		.amdhsa_exception_fp_ieee_underflow 0
		.amdhsa_exception_fp_ieee_inexact 0
		.amdhsa_exception_int_div_zero 0
	.end_amdhsa_kernel
	.section	.text._ZN7rocprim6detail18single_scan_kernelILb1ENS0_19wrapped_scan_configINS_14default_configEmEEN6hipcub22TransformInputIteratorImNS5_6CastOpImEEPmlEES9_NS5_3SumENS_12future_valueImS9_EEmEEvT1_mT4_T2_T3_,"axG",@progbits,_ZN7rocprim6detail18single_scan_kernelILb1ENS0_19wrapped_scan_configINS_14default_configEmEEN6hipcub22TransformInputIteratorImNS5_6CastOpImEEPmlEES9_NS5_3SumENS_12future_valueImS9_EEmEEvT1_mT4_T2_T3_,comdat
.Lfunc_end156:
	.size	_ZN7rocprim6detail18single_scan_kernelILb1ENS0_19wrapped_scan_configINS_14default_configEmEEN6hipcub22TransformInputIteratorImNS5_6CastOpImEEPmlEES9_NS5_3SumENS_12future_valueImS9_EEmEEvT1_mT4_T2_T3_, .Lfunc_end156-_ZN7rocprim6detail18single_scan_kernelILb1ENS0_19wrapped_scan_configINS_14default_configEmEEN6hipcub22TransformInputIteratorImNS5_6CastOpImEEPmlEES9_NS5_3SumENS_12future_valueImS9_EEmEEvT1_mT4_T2_T3_
                                        ; -- End function
	.section	.AMDGPU.csdata,"",@progbits
; Kernel info:
; codeLenInByte = 4688
; NumSgprs: 70
; NumVgprs: 77
; ScratchSize: 0
; MemoryBound: 1
; FloatMode: 240
; IeeeMode: 1
; LDSByteSize: 33792 bytes/workgroup (compile time only)
; SGPRBlocks: 8
; VGPRBlocks: 9
; NumSGPRsForWavesPerEU: 70
; NumVGPRsForWavesPerEU: 77
; Occupancy: 6
; WaveLimiterHint : 0
; COMPUTE_PGM_RSRC2:SCRATCH_EN: 0
; COMPUTE_PGM_RSRC2:USER_SGPR: 15
; COMPUTE_PGM_RSRC2:TRAP_HANDLER: 0
; COMPUTE_PGM_RSRC2:TGID_X_EN: 1
; COMPUTE_PGM_RSRC2:TGID_Y_EN: 0
; COMPUTE_PGM_RSRC2:TGID_Z_EN: 0
; COMPUTE_PGM_RSRC2:TIDIG_COMP_CNT: 0
	.section	.text._ZL18fill_initial_valueImEvPT_S0_,"axG",@progbits,_ZL18fill_initial_valueImEvPT_S0_,comdat
	.globl	_ZL18fill_initial_valueImEvPT_S0_ ; -- Begin function _ZL18fill_initial_valueImEvPT_S0_
	.p2align	8
	.type	_ZL18fill_initial_valueImEvPT_S0_,@function
_ZL18fill_initial_valueImEvPT_S0_:      ; @_ZL18fill_initial_valueImEvPT_S0_
; %bb.0:
	s_load_b128 s[0:3], s[0:1], 0x0
	s_waitcnt lgkmcnt(0)
	v_dual_mov_b32 v2, 0 :: v_dual_mov_b32 v1, s3
	v_mov_b32_e32 v0, s2
	global_store_b64 v2, v[0:1], s[0:1]
	s_nop 0
	s_sendmsg sendmsg(MSG_DEALLOC_VGPRS)
	s_endpgm
	.section	.rodata,"a",@progbits
	.p2align	6, 0x0
	.amdhsa_kernel _ZL18fill_initial_valueImEvPT_S0_
		.amdhsa_group_segment_fixed_size 0
		.amdhsa_private_segment_fixed_size 0
		.amdhsa_kernarg_size 16
		.amdhsa_user_sgpr_count 15
		.amdhsa_user_sgpr_dispatch_ptr 0
		.amdhsa_user_sgpr_queue_ptr 0
		.amdhsa_user_sgpr_kernarg_segment_ptr 1
		.amdhsa_user_sgpr_dispatch_id 0
		.amdhsa_user_sgpr_private_segment_size 0
		.amdhsa_wavefront_size32 1
		.amdhsa_uses_dynamic_stack 0
		.amdhsa_enable_private_segment 0
		.amdhsa_system_sgpr_workgroup_id_x 1
		.amdhsa_system_sgpr_workgroup_id_y 0
		.amdhsa_system_sgpr_workgroup_id_z 0
		.amdhsa_system_sgpr_workgroup_info 0
		.amdhsa_system_vgpr_workitem_id 0
		.amdhsa_next_free_vgpr 3
		.amdhsa_next_free_sgpr 4
		.amdhsa_reserve_vcc 0
		.amdhsa_float_round_mode_32 0
		.amdhsa_float_round_mode_16_64 0
		.amdhsa_float_denorm_mode_32 3
		.amdhsa_float_denorm_mode_16_64 3
		.amdhsa_dx10_clamp 1
		.amdhsa_ieee_mode 1
		.amdhsa_fp16_overflow 0
		.amdhsa_workgroup_processor_mode 1
		.amdhsa_memory_ordered 1
		.amdhsa_forward_progress 0
		.amdhsa_shared_vgpr_count 0
		.amdhsa_exception_fp_ieee_invalid_op 0
		.amdhsa_exception_fp_denorm_src 0
		.amdhsa_exception_fp_ieee_div_zero 0
		.amdhsa_exception_fp_ieee_overflow 0
		.amdhsa_exception_fp_ieee_underflow 0
		.amdhsa_exception_fp_ieee_inexact 0
		.amdhsa_exception_int_div_zero 0
	.end_amdhsa_kernel
	.section	.text._ZL18fill_initial_valueImEvPT_S0_,"axG",@progbits,_ZL18fill_initial_valueImEvPT_S0_,comdat
.Lfunc_end157:
	.size	_ZL18fill_initial_valueImEvPT_S0_, .Lfunc_end157-_ZL18fill_initial_valueImEvPT_S0_
                                        ; -- End function
	.section	.AMDGPU.csdata,"",@progbits
; Kernel info:
; codeLenInByte = 44
; NumSgprs: 4
; NumVgprs: 3
; ScratchSize: 0
; MemoryBound: 0
; FloatMode: 240
; IeeeMode: 1
; LDSByteSize: 0 bytes/workgroup (compile time only)
; SGPRBlocks: 0
; VGPRBlocks: 0
; NumSGPRsForWavesPerEU: 4
; NumVGPRsForWavesPerEU: 3
; Occupancy: 16
; WaveLimiterHint : 0
; COMPUTE_PGM_RSRC2:SCRATCH_EN: 0
; COMPUTE_PGM_RSRC2:USER_SGPR: 15
; COMPUTE_PGM_RSRC2:TRAP_HANDLER: 0
; COMPUTE_PGM_RSRC2:TGID_X_EN: 1
; COMPUTE_PGM_RSRC2:TGID_Y_EN: 0
; COMPUTE_PGM_RSRC2:TGID_Z_EN: 0
; COMPUTE_PGM_RSRC2:TIDIG_COMP_CNT: 0
	.section	.text._ZN7rocprim6detail20lookback_scan_kernelILNS0_25lookback_scan_determinismE0ELb1ENS0_19wrapped_scan_configINS_14default_configEyEEN6hipcub22TransformInputIteratorIyNS6_6CastOpIyEEPylEESA_NS6_3MinENS_12future_valueIySA_EEyNS0_19lookback_scan_stateIyLb1ELb1EEEEEvT2_T3_mT5_T4_T7_jPT6_SN_bb,"axG",@progbits,_ZN7rocprim6detail20lookback_scan_kernelILNS0_25lookback_scan_determinismE0ELb1ENS0_19wrapped_scan_configINS_14default_configEyEEN6hipcub22TransformInputIteratorIyNS6_6CastOpIyEEPylEESA_NS6_3MinENS_12future_valueIySA_EEyNS0_19lookback_scan_stateIyLb1ELb1EEEEEvT2_T3_mT5_T4_T7_jPT6_SN_bb,comdat
	.protected	_ZN7rocprim6detail20lookback_scan_kernelILNS0_25lookback_scan_determinismE0ELb1ENS0_19wrapped_scan_configINS_14default_configEyEEN6hipcub22TransformInputIteratorIyNS6_6CastOpIyEEPylEESA_NS6_3MinENS_12future_valueIySA_EEyNS0_19lookback_scan_stateIyLb1ELb1EEEEEvT2_T3_mT5_T4_T7_jPT6_SN_bb ; -- Begin function _ZN7rocprim6detail20lookback_scan_kernelILNS0_25lookback_scan_determinismE0ELb1ENS0_19wrapped_scan_configINS_14default_configEyEEN6hipcub22TransformInputIteratorIyNS6_6CastOpIyEEPylEESA_NS6_3MinENS_12future_valueIySA_EEyNS0_19lookback_scan_stateIyLb1ELb1EEEEEvT2_T3_mT5_T4_T7_jPT6_SN_bb
	.globl	_ZN7rocprim6detail20lookback_scan_kernelILNS0_25lookback_scan_determinismE0ELb1ENS0_19wrapped_scan_configINS_14default_configEyEEN6hipcub22TransformInputIteratorIyNS6_6CastOpIyEEPylEESA_NS6_3MinENS_12future_valueIySA_EEyNS0_19lookback_scan_stateIyLb1ELb1EEEEEvT2_T3_mT5_T4_T7_jPT6_SN_bb
	.p2align	8
	.type	_ZN7rocprim6detail20lookback_scan_kernelILNS0_25lookback_scan_determinismE0ELb1ENS0_19wrapped_scan_configINS_14default_configEyEEN6hipcub22TransformInputIteratorIyNS6_6CastOpIyEEPylEESA_NS6_3MinENS_12future_valueIySA_EEyNS0_19lookback_scan_stateIyLb1ELb1EEEEEvT2_T3_mT5_T4_T7_jPT6_SN_bb,@function
_ZN7rocprim6detail20lookback_scan_kernelILNS0_25lookback_scan_determinismE0ELb1ENS0_19wrapped_scan_configINS_14default_configEyEEN6hipcub22TransformInputIteratorIyNS6_6CastOpIyEEPylEESA_NS6_3MinENS_12future_valueIySA_EEyNS0_19lookback_scan_stateIyLb1ELb1EEEEEvT2_T3_mT5_T4_T7_jPT6_SN_bb: ; @_ZN7rocprim6detail20lookback_scan_kernelILNS0_25lookback_scan_determinismE0ELb1ENS0_19wrapped_scan_configINS_14default_configEyEEN6hipcub22TransformInputIteratorIyNS6_6CastOpIyEEPylEESA_NS6_3MinENS_12future_valueIySA_EEyNS0_19lookback_scan_stateIyLb1ELb1EEEEEvT2_T3_mT5_T4_T7_jPT6_SN_bb
; %bb.0:
	s_endpgm
	.section	.rodata,"a",@progbits
	.p2align	6, 0x0
	.amdhsa_kernel _ZN7rocprim6detail20lookback_scan_kernelILNS0_25lookback_scan_determinismE0ELb1ENS0_19wrapped_scan_configINS_14default_configEyEEN6hipcub22TransformInputIteratorIyNS6_6CastOpIyEEPylEESA_NS6_3MinENS_12future_valueIySA_EEyNS0_19lookback_scan_stateIyLb1ELb1EEEEEvT2_T3_mT5_T4_T7_jPT6_SN_bb
		.amdhsa_group_segment_fixed_size 0
		.amdhsa_private_segment_fixed_size 0
		.amdhsa_kernarg_size 84
		.amdhsa_user_sgpr_count 15
		.amdhsa_user_sgpr_dispatch_ptr 0
		.amdhsa_user_sgpr_queue_ptr 0
		.amdhsa_user_sgpr_kernarg_segment_ptr 1
		.amdhsa_user_sgpr_dispatch_id 0
		.amdhsa_user_sgpr_private_segment_size 0
		.amdhsa_wavefront_size32 1
		.amdhsa_uses_dynamic_stack 0
		.amdhsa_enable_private_segment 0
		.amdhsa_system_sgpr_workgroup_id_x 1
		.amdhsa_system_sgpr_workgroup_id_y 0
		.amdhsa_system_sgpr_workgroup_id_z 0
		.amdhsa_system_sgpr_workgroup_info 0
		.amdhsa_system_vgpr_workitem_id 0
		.amdhsa_next_free_vgpr 1
		.amdhsa_next_free_sgpr 1
		.amdhsa_reserve_vcc 0
		.amdhsa_float_round_mode_32 0
		.amdhsa_float_round_mode_16_64 0
		.amdhsa_float_denorm_mode_32 3
		.amdhsa_float_denorm_mode_16_64 3
		.amdhsa_dx10_clamp 1
		.amdhsa_ieee_mode 1
		.amdhsa_fp16_overflow 0
		.amdhsa_workgroup_processor_mode 1
		.amdhsa_memory_ordered 1
		.amdhsa_forward_progress 0
		.amdhsa_shared_vgpr_count 0
		.amdhsa_exception_fp_ieee_invalid_op 0
		.amdhsa_exception_fp_denorm_src 0
		.amdhsa_exception_fp_ieee_div_zero 0
		.amdhsa_exception_fp_ieee_overflow 0
		.amdhsa_exception_fp_ieee_underflow 0
		.amdhsa_exception_fp_ieee_inexact 0
		.amdhsa_exception_int_div_zero 0
	.end_amdhsa_kernel
	.section	.text._ZN7rocprim6detail20lookback_scan_kernelILNS0_25lookback_scan_determinismE0ELb1ENS0_19wrapped_scan_configINS_14default_configEyEEN6hipcub22TransformInputIteratorIyNS6_6CastOpIyEEPylEESA_NS6_3MinENS_12future_valueIySA_EEyNS0_19lookback_scan_stateIyLb1ELb1EEEEEvT2_T3_mT5_T4_T7_jPT6_SN_bb,"axG",@progbits,_ZN7rocprim6detail20lookback_scan_kernelILNS0_25lookback_scan_determinismE0ELb1ENS0_19wrapped_scan_configINS_14default_configEyEEN6hipcub22TransformInputIteratorIyNS6_6CastOpIyEEPylEESA_NS6_3MinENS_12future_valueIySA_EEyNS0_19lookback_scan_stateIyLb1ELb1EEEEEvT2_T3_mT5_T4_T7_jPT6_SN_bb,comdat
.Lfunc_end158:
	.size	_ZN7rocprim6detail20lookback_scan_kernelILNS0_25lookback_scan_determinismE0ELb1ENS0_19wrapped_scan_configINS_14default_configEyEEN6hipcub22TransformInputIteratorIyNS6_6CastOpIyEEPylEESA_NS6_3MinENS_12future_valueIySA_EEyNS0_19lookback_scan_stateIyLb1ELb1EEEEEvT2_T3_mT5_T4_T7_jPT6_SN_bb, .Lfunc_end158-_ZN7rocprim6detail20lookback_scan_kernelILNS0_25lookback_scan_determinismE0ELb1ENS0_19wrapped_scan_configINS_14default_configEyEEN6hipcub22TransformInputIteratorIyNS6_6CastOpIyEEPylEESA_NS6_3MinENS_12future_valueIySA_EEyNS0_19lookback_scan_stateIyLb1ELb1EEEEEvT2_T3_mT5_T4_T7_jPT6_SN_bb
                                        ; -- End function
	.section	.AMDGPU.csdata,"",@progbits
; Kernel info:
; codeLenInByte = 4
; NumSgprs: 0
; NumVgprs: 0
; ScratchSize: 0
; MemoryBound: 0
; FloatMode: 240
; IeeeMode: 1
; LDSByteSize: 0 bytes/workgroup (compile time only)
; SGPRBlocks: 0
; VGPRBlocks: 0
; NumSGPRsForWavesPerEU: 1
; NumVGPRsForWavesPerEU: 1
; Occupancy: 16
; WaveLimiterHint : 0
; COMPUTE_PGM_RSRC2:SCRATCH_EN: 0
; COMPUTE_PGM_RSRC2:USER_SGPR: 15
; COMPUTE_PGM_RSRC2:TRAP_HANDLER: 0
; COMPUTE_PGM_RSRC2:TGID_X_EN: 1
; COMPUTE_PGM_RSRC2:TGID_Y_EN: 0
; COMPUTE_PGM_RSRC2:TGID_Z_EN: 0
; COMPUTE_PGM_RSRC2:TIDIG_COMP_CNT: 0
	.section	.text._ZN7rocprim6detail20lookback_scan_kernelILNS0_25lookback_scan_determinismE0ELb1ENS0_19wrapped_scan_configINS_14default_configEyEEN6hipcub22TransformInputIteratorIyNS6_6CastOpIyEEPylEESA_NS6_3MinENS_12future_valueIySA_EEyNS0_19lookback_scan_stateIyLb0ELb1EEEEEvT2_T3_mT5_T4_T7_jPT6_SN_bb,"axG",@progbits,_ZN7rocprim6detail20lookback_scan_kernelILNS0_25lookback_scan_determinismE0ELb1ENS0_19wrapped_scan_configINS_14default_configEyEEN6hipcub22TransformInputIteratorIyNS6_6CastOpIyEEPylEESA_NS6_3MinENS_12future_valueIySA_EEyNS0_19lookback_scan_stateIyLb0ELb1EEEEEvT2_T3_mT5_T4_T7_jPT6_SN_bb,comdat
	.protected	_ZN7rocprim6detail20lookback_scan_kernelILNS0_25lookback_scan_determinismE0ELb1ENS0_19wrapped_scan_configINS_14default_configEyEEN6hipcub22TransformInputIteratorIyNS6_6CastOpIyEEPylEESA_NS6_3MinENS_12future_valueIySA_EEyNS0_19lookback_scan_stateIyLb0ELb1EEEEEvT2_T3_mT5_T4_T7_jPT6_SN_bb ; -- Begin function _ZN7rocprim6detail20lookback_scan_kernelILNS0_25lookback_scan_determinismE0ELb1ENS0_19wrapped_scan_configINS_14default_configEyEEN6hipcub22TransformInputIteratorIyNS6_6CastOpIyEEPylEESA_NS6_3MinENS_12future_valueIySA_EEyNS0_19lookback_scan_stateIyLb0ELb1EEEEEvT2_T3_mT5_T4_T7_jPT6_SN_bb
	.globl	_ZN7rocprim6detail20lookback_scan_kernelILNS0_25lookback_scan_determinismE0ELb1ENS0_19wrapped_scan_configINS_14default_configEyEEN6hipcub22TransformInputIteratorIyNS6_6CastOpIyEEPylEESA_NS6_3MinENS_12future_valueIySA_EEyNS0_19lookback_scan_stateIyLb0ELb1EEEEEvT2_T3_mT5_T4_T7_jPT6_SN_bb
	.p2align	8
	.type	_ZN7rocprim6detail20lookback_scan_kernelILNS0_25lookback_scan_determinismE0ELb1ENS0_19wrapped_scan_configINS_14default_configEyEEN6hipcub22TransformInputIteratorIyNS6_6CastOpIyEEPylEESA_NS6_3MinENS_12future_valueIySA_EEyNS0_19lookback_scan_stateIyLb0ELb1EEEEEvT2_T3_mT5_T4_T7_jPT6_SN_bb,@function
_ZN7rocprim6detail20lookback_scan_kernelILNS0_25lookback_scan_determinismE0ELb1ENS0_19wrapped_scan_configINS_14default_configEyEEN6hipcub22TransformInputIteratorIyNS6_6CastOpIyEEPylEESA_NS6_3MinENS_12future_valueIySA_EEyNS0_19lookback_scan_stateIyLb0ELb1EEEEEvT2_T3_mT5_T4_T7_jPT6_SN_bb: ; @_ZN7rocprim6detail20lookback_scan_kernelILNS0_25lookback_scan_determinismE0ELb1ENS0_19wrapped_scan_configINS_14default_configEyEEN6hipcub22TransformInputIteratorIyNS6_6CastOpIyEEPylEESA_NS6_3MinENS_12future_valueIySA_EEyNS0_19lookback_scan_stateIyLb0ELb1EEEEEvT2_T3_mT5_T4_T7_jPT6_SN_bb
; %bb.0:
	s_clause 0x3
	s_load_b32 s10, s[0:1], 0x38
	s_load_b64 s[2:3], s[0:1], 0x20
	s_load_b128 s[4:7], s[0:1], 0x10
	s_load_b64 s[12:13], s[0:1], 0x0
	s_lshl_b32 s8, s15, 12
	s_mov_b32 s9, 0
	v_lshlrev_b32_e32 v82, 3, v0
	v_lshrrev_b32_e32 v37, 2, v0
	v_or_b32_e32 v81, 0x100, v0
	v_or_b32_e32 v80, 0x200, v0
	v_or_b32_e32 v79, 0x300, v0
	v_or_b32_e32 v78, 0x400, v0
	v_or_b32_e32 v77, 0x500, v0
	v_or_b32_e32 v76, 0x600, v0
	v_or_b32_e32 v75, 0x700, v0
	v_or_b32_e32 v74, 0x800, v0
	v_or_b32_e32 v73, 0x900, v0
	v_or_b32_e32 v72, 0xa00, v0
	v_or_b32_e32 v71, 0xb00, v0
	v_or_b32_e32 v70, 0xc00, v0
	s_waitcnt lgkmcnt(0)
	s_add_i32 s10, s10, -1
	s_load_b64 s[16:17], s[2:3], 0x0
	s_lshl_b32 s11, s10, 12
	v_or_b32_e32 v69, 0xd00, v0
	s_sub_u32 s14, s6, s11
	s_subb_u32 s20, s7, 0
	s_cmp_lg_u32 s15, s10
	v_or_b32_e32 v68, 0xe00, v0
	s_cselect_b32 s21, -1, 0
	s_lshl_b64 s[6:7], s[8:9], 3
	v_or_b32_e32 v67, 0xf00, v0
	s_add_u32 s8, s12, s6
	s_addc_u32 s9, s13, s7
	s_and_b32 vcc_lo, exec_lo, s21
	s_mov_b32 s3, -1
	s_cbranch_vccz .LBB159_2
; %bb.1:
	v_add_co_u32 v27, s2, s8, v82
	s_delay_alu instid0(VALU_DEP_1)
	v_add_co_ci_u32_e64 v28, null, s9, 0, s2
	s_clause 0x1
	global_load_b64 v[1:2], v82, s[8:9]
	global_load_b64 v[3:4], v82, s[8:9] offset:2048
	v_add_co_u32 v5, vcc_lo, 0x1000, v27
	v_add_co_ci_u32_e32 v6, vcc_lo, 0, v28, vcc_lo
	v_add_co_u32 v7, vcc_lo, v27, 0x2000
	v_add_co_ci_u32_e32 v8, vcc_lo, 0, v28, vcc_lo
	;; [unrolled: 2-line block ×10, first 2 shown]
	s_clause 0xd
	global_load_b64 v[17:18], v[7:8], off offset:-4096
	global_load_b64 v[7:8], v[7:8], off
	global_load_b64 v[19:20], v[13:14], off offset:-4096
	global_load_b64 v[13:14], v[13:14], off
	global_load_b64 v[5:6], v[5:6], off offset:2048
	global_load_b64 v[9:10], v[9:10], off offset:2048
	global_load_b64 v[11:12], v[11:12], off offset:2048
	global_load_b64 v[15:16], v[15:16], off offset:2048
	global_load_b64 v[29:30], v[23:24], off offset:-4096
	global_load_b64 v[21:22], v[21:22], off offset:2048
	global_load_b64 v[23:24], v[23:24], off
	global_load_b64 v[25:26], v[25:26], off offset:2048
	global_load_b64 v[31:32], v[27:28], off
	global_load_b64 v[27:28], v[27:28], off offset:2048
	v_lshrrev_b32_e32 v34, 2, v81
	v_lshrrev_b32_e32 v35, 2, v80
	;; [unrolled: 1-line block ×4, first 2 shown]
	v_and_b32_e32 v33, 56, v37
	v_lshrrev_b32_e32 v39, 2, v77
	v_lshrrev_b32_e32 v40, 2, v76
	;; [unrolled: 1-line block ×11, first 2 shown]
	v_and_b32_e32 v34, 0x78, v34
	v_and_b32_e32 v35, 0xb8, v35
	;; [unrolled: 1-line block ×4, first 2 shown]
	v_add_nc_u32_e32 v33, v33, v82
	v_and_b32_e32 v39, 0x178, v39
	v_and_b32_e32 v40, 0x1b8, v40
	;; [unrolled: 1-line block ×11, first 2 shown]
	v_add_nc_u32_e32 v34, v34, v82
	v_add_nc_u32_e32 v35, v35, v82
	;; [unrolled: 1-line block ×4, first 2 shown]
	s_mov_b32 s3, 0
	v_add_nc_u32_e32 v39, v39, v82
	v_add_nc_u32_e32 v40, v40, v82
	;; [unrolled: 1-line block ×11, first 2 shown]
	s_waitcnt vmcnt(15)
	ds_store_b64 v33, v[1:2]
	s_waitcnt vmcnt(14)
	ds_store_b64 v34, v[3:4] offset:2048
	s_waitcnt vmcnt(13)
	ds_store_b64 v35, v[17:18] offset:4096
	;; [unrolled: 2-line block ×3, first 2 shown]
	ds_store_b64 v38, v[7:8] offset:8192
	s_waitcnt vmcnt(8)
	ds_store_b64 v39, v[9:10] offset:10240
	ds_store_b64 v40, v[19:20] offset:12288
	s_waitcnt vmcnt(7)
	ds_store_b64 v41, v[11:12] offset:14336
	;; [unrolled: 3-line block ×3, first 2 shown]
	s_waitcnt vmcnt(5)
	ds_store_b64 v44, v[29:30] offset:20480
	s_waitcnt vmcnt(4)
	ds_store_b64 v45, v[21:22] offset:22528
	;; [unrolled: 2-line block ×6, first 2 shown]
	s_waitcnt lgkmcnt(0)
	s_barrier
.LBB159_2:
	v_cmp_gt_u32_e64 s2, s14, v0
	s_and_not1_b32 vcc_lo, exec_lo, s3
	s_cbranch_vccnz .LBB159_21
; %bb.3:
	s_load_b64 s[36:37], s[8:9], 0x0
	v_add_co_u32 v35, s3, s8, v82
	s_delay_alu instid0(VALU_DEP_1)
	v_add_co_ci_u32_e64 v36, null, s9, 0, s3
	s_waitcnt lgkmcnt(0)
	s_mov_b32 s38, s36
	s_mov_b32 s39, s37
	;; [unrolled: 1-line block ×30, first 2 shown]
	v_dual_mov_b32 v1, s36 :: v_dual_mov_b32 v2, s37
	v_dual_mov_b32 v3, s38 :: v_dual_mov_b32 v4, s39
	;; [unrolled: 1-line block ×17, first 2 shown]
	s_and_saveexec_b32 s3, s2
	s_cbranch_execnz .LBB159_172
; %bb.4:
	s_or_b32 exec_lo, exec_lo, s3
	s_delay_alu instid0(SALU_CYCLE_1)
	s_mov_b32 s2, exec_lo
	v_cmpx_gt_u32_e64 s14, v81
	s_cbranch_execnz .LBB159_173
.LBB159_5:
	s_or_b32 exec_lo, exec_lo, s2
	s_delay_alu instid0(SALU_CYCLE_1)
	s_mov_b32 s2, exec_lo
	v_cmpx_gt_u32_e64 s14, v80
	s_cbranch_execnz .LBB159_174
.LBB159_6:
	s_or_b32 exec_lo, exec_lo, s2
	s_delay_alu instid0(SALU_CYCLE_1)
	s_mov_b32 s2, exec_lo
	v_cmpx_gt_u32_e64 s14, v79
	s_cbranch_execnz .LBB159_175
.LBB159_7:
	s_or_b32 exec_lo, exec_lo, s2
	s_delay_alu instid0(SALU_CYCLE_1)
	s_mov_b32 s2, exec_lo
	v_cmpx_gt_u32_e64 s14, v78
	s_cbranch_execnz .LBB159_176
.LBB159_8:
	s_or_b32 exec_lo, exec_lo, s2
	s_delay_alu instid0(SALU_CYCLE_1)
	s_mov_b32 s2, exec_lo
	v_cmpx_gt_u32_e64 s14, v77
	s_cbranch_execnz .LBB159_177
.LBB159_9:
	s_or_b32 exec_lo, exec_lo, s2
	s_delay_alu instid0(SALU_CYCLE_1)
	s_mov_b32 s2, exec_lo
	v_cmpx_gt_u32_e64 s14, v76
	s_cbranch_execnz .LBB159_178
.LBB159_10:
	s_or_b32 exec_lo, exec_lo, s2
	s_delay_alu instid0(SALU_CYCLE_1)
	s_mov_b32 s2, exec_lo
	v_cmpx_gt_u32_e64 s14, v75
	s_cbranch_execnz .LBB159_179
.LBB159_11:
	s_or_b32 exec_lo, exec_lo, s2
	s_delay_alu instid0(SALU_CYCLE_1)
	s_mov_b32 s2, exec_lo
	v_cmpx_gt_u32_e64 s14, v74
	s_cbranch_execnz .LBB159_180
.LBB159_12:
	s_or_b32 exec_lo, exec_lo, s2
	s_delay_alu instid0(SALU_CYCLE_1)
	s_mov_b32 s2, exec_lo
	v_cmpx_gt_u32_e64 s14, v73
	s_cbranch_execnz .LBB159_181
.LBB159_13:
	s_or_b32 exec_lo, exec_lo, s2
	s_delay_alu instid0(SALU_CYCLE_1)
	s_mov_b32 s2, exec_lo
	v_cmpx_gt_u32_e64 s14, v72
	s_cbranch_execnz .LBB159_182
.LBB159_14:
	s_or_b32 exec_lo, exec_lo, s2
	s_delay_alu instid0(SALU_CYCLE_1)
	s_mov_b32 s2, exec_lo
	v_cmpx_gt_u32_e64 s14, v71
	s_cbranch_execnz .LBB159_183
.LBB159_15:
	s_or_b32 exec_lo, exec_lo, s2
	s_delay_alu instid0(SALU_CYCLE_1)
	s_mov_b32 s2, exec_lo
	v_cmpx_gt_u32_e64 s14, v70
	s_cbranch_execnz .LBB159_184
.LBB159_16:
	s_or_b32 exec_lo, exec_lo, s2
	s_delay_alu instid0(SALU_CYCLE_1)
	s_mov_b32 s2, exec_lo
	v_cmpx_gt_u32_e64 s14, v69
	s_cbranch_execnz .LBB159_185
.LBB159_17:
	s_or_b32 exec_lo, exec_lo, s2
	s_delay_alu instid0(SALU_CYCLE_1)
	s_mov_b32 s2, exec_lo
	v_cmpx_gt_u32_e64 s14, v68
	s_cbranch_execnz .LBB159_186
.LBB159_18:
	s_or_b32 exec_lo, exec_lo, s2
	s_delay_alu instid0(SALU_CYCLE_1)
	s_mov_b32 s2, exec_lo
	v_cmpx_gt_u32_e64 s14, v67
	s_cbranch_execz .LBB159_20
.LBB159_19:
	v_add_co_u32 v1, vcc_lo, 0x7000, v35
	v_add_co_ci_u32_e32 v2, vcc_lo, 0, v36, vcc_lo
	global_load_b64 v[31:32], v[1:2], off offset:2048
.LBB159_20:
	s_or_b32 exec_lo, exec_lo, s2
	v_lshrrev_b32_e32 v1, 2, v81
	v_lshrrev_b32_e32 v2, 2, v80
	;; [unrolled: 1-line block ×3, first 2 shown]
	v_and_b32_e32 v36, 56, v37
	v_lshrrev_b32_e32 v37, 2, v78
	v_and_b32_e32 v1, 0x78, v1
	v_and_b32_e32 v2, 0xf8, v2
	;; [unrolled: 1-line block ×3, first 2 shown]
	v_lshrrev_b32_e32 v38, 2, v77
	v_add_nc_u32_e32 v36, v36, v82
	v_add_nc_u32_e32 v1, v1, v82
	v_lshrrev_b32_e32 v39, 2, v76
	v_add_nc_u32_e32 v2, v2, v82
	v_lshrrev_b32_e32 v40, 2, v75
	v_add_nc_u32_e32 v35, v35, v82
	v_and_b32_e32 v37, 0x1f8, v37
	v_and_b32_e32 v38, 0x1f8, v38
	s_waitcnt vmcnt(0)
	ds_store_b64 v36, v[33:34]
	ds_store_b64 v1, v[3:4] offset:2048
	ds_store_b64 v2, v[5:6] offset:4096
	;; [unrolled: 1-line block ×3, first 2 shown]
	v_lshrrev_b32_e32 v5, 2, v74
	v_and_b32_e32 v3, 0x1f8, v39
	v_lshrrev_b32_e32 v6, 2, v73
	v_lshrrev_b32_e32 v7, 2, v72
	v_and_b32_e32 v4, 0x1f8, v40
	v_add_nc_u32_e32 v1, v37, v82
	v_add_nc_u32_e32 v2, v38, v82
	v_and_b32_e32 v5, 0x3f8, v5
	v_add_nc_u32_e32 v3, v3, v82
	v_and_b32_e32 v6, 0x3f8, v6
	v_and_b32_e32 v7, 0x3f8, v7
	v_add_nc_u32_e32 v4, v4, v82
	ds_store_b64 v1, v[9:10] offset:8192
	ds_store_b64 v2, v[11:12] offset:10240
	;; [unrolled: 1-line block ×4, first 2 shown]
	v_lshrrev_b32_e32 v4, 2, v71
	v_add_nc_u32_e32 v1, v5, v82
	v_lshrrev_b32_e32 v5, 2, v70
	v_add_nc_u32_e32 v2, v6, v82
	v_add_nc_u32_e32 v3, v7, v82
	v_lshrrev_b32_e32 v6, 2, v69
	v_lshrrev_b32_e32 v7, 2, v68
	;; [unrolled: 1-line block ×3, first 2 shown]
	v_and_b32_e32 v4, 0x3f8, v4
	v_and_b32_e32 v5, 0x3f8, v5
	;; [unrolled: 1-line block ×5, first 2 shown]
	v_add_nc_u32_e32 v4, v4, v82
	v_add_nc_u32_e32 v5, v5, v82
	;; [unrolled: 1-line block ×5, first 2 shown]
	ds_store_b64 v1, v[17:18] offset:16384
	ds_store_b64 v2, v[19:20] offset:18432
	;; [unrolled: 1-line block ×8, first 2 shown]
	s_waitcnt lgkmcnt(0)
	s_barrier
.LBB159_21:
	v_lshlrev_b32_e32 v1, 4, v0
	v_lshrrev_b32_e32 v83, 1, v0
	s_load_b64 s[18:19], s[0:1], 0x30
	s_waitcnt lgkmcnt(0)
	buffer_gl0_inv
	v_lshrrev_b32_e32 v84, 5, v0
	v_cmp_gt_u32_e32 vcc_lo, 32, v0
	v_add_lshl_u32 v1, v83, v1, 3
	s_cmp_lg_u32 s15, 0
	ds_load_2addr_b64 v[61:64], v1 offset1:1
	ds_load_2addr_b64 v[57:60], v1 offset0:2 offset1:3
	ds_load_2addr_b64 v[49:52], v1 offset0:4 offset1:5
	;; [unrolled: 1-line block ×7, first 2 shown]
	s_waitcnt lgkmcnt(0)
	s_barrier
	buffer_gl0_inv
	v_cmp_lt_u64_e64 s2, v[61:62], v[63:64]
	s_cbranch_scc0 .LBB159_76
; %bb.22:
	s_delay_alu instid0(VALU_DEP_1) | instskip(SKIP_2) | instid1(VALU_DEP_2)
	v_cndmask_b32_e64 v2, v64, v62, s2
	v_cndmask_b32_e64 v1, v63, v61, s2
	v_add_lshl_u32 v3, v84, v0, 3
	v_cmp_lt_u64_e64 s2, v[1:2], v[57:58]
	s_delay_alu instid0(VALU_DEP_1) | instskip(SKIP_1) | instid1(VALU_DEP_1)
	v_cndmask_b32_e64 v2, v58, v2, s2
	v_cndmask_b32_e64 v1, v57, v1, s2
	v_cmp_lt_u64_e64 s2, v[1:2], v[59:60]
	s_delay_alu instid0(VALU_DEP_1) | instskip(SKIP_1) | instid1(VALU_DEP_1)
	v_cndmask_b32_e64 v2, v60, v2, s2
	v_cndmask_b32_e64 v1, v59, v1, s2
	;; [unrolled: 4-line block ×13, first 2 shown]
	v_cmp_lt_u64_e64 s2, v[1:2], v[55:56]
	s_delay_alu instid0(VALU_DEP_1)
	v_cndmask_b32_e64 v18, v56, v2, s2
	v_cndmask_b32_e64 v17, v55, v1, s2
	ds_store_b64 v3, v[17:18]
	s_waitcnt lgkmcnt(0)
	s_barrier
	buffer_gl0_inv
	s_and_saveexec_b32 s3, vcc_lo
	s_cbranch_execz .LBB159_34
; %bb.23:
	v_lshlrev_b32_e32 v1, 1, v0
	v_mbcnt_lo_u32_b32 v24, -1, 0
	s_mov_b32 s8, exec_lo
	s_delay_alu instid0(VALU_DEP_2) | instskip(NEXT) | instid1(VALU_DEP_2)
	v_and_b32_e32 v1, 0x1f8, v1
	v_and_b32_e32 v25, 15, v24
	s_delay_alu instid0(VALU_DEP_2)
	v_lshl_or_b32 v23, v0, 6, v1
	ds_load_2addr_b64 v[5:8], v23 offset1:1
	ds_load_2addr_b64 v[1:4], v23 offset0:2 offset1:3
	ds_load_2addr_b64 v[9:12], v23 offset0:4 offset1:5
	s_waitcnt lgkmcnt(2)
	v_cmp_lt_u64_e64 s2, v[5:6], v[7:8]
	s_delay_alu instid0(VALU_DEP_1) | instskip(SKIP_2) | instid1(VALU_DEP_1)
	v_cndmask_b32_e64 v14, v8, v6, s2
	v_cndmask_b32_e64 v13, v7, v5, s2
	s_waitcnt lgkmcnt(1)
	v_cmp_lt_u64_e64 s2, v[13:14], v[1:2]
	s_delay_alu instid0(VALU_DEP_1) | instskip(SKIP_1) | instid1(VALU_DEP_1)
	v_cndmask_b32_e64 v14, v2, v14, s2
	v_cndmask_b32_e64 v13, v1, v13, s2
	v_cmp_lt_u64_e64 s2, v[13:14], v[3:4]
	s_delay_alu instid0(VALU_DEP_1) | instskip(SKIP_4) | instid1(VALU_DEP_1)
	v_cndmask_b32_e64 v20, v4, v14, s2
	v_cndmask_b32_e64 v19, v3, v13, s2
	ds_load_2addr_b64 v[13:16], v23 offset0:6 offset1:7
	s_waitcnt lgkmcnt(1)
	v_cmp_lt_u64_e64 s2, v[19:20], v[9:10]
	v_cndmask_b32_e64 v20, v10, v20, s2
	v_cndmask_b32_e64 v19, v9, v19, s2
	s_delay_alu instid0(VALU_DEP_1) | instskip(NEXT) | instid1(VALU_DEP_1)
	v_cmp_lt_u64_e64 s2, v[19:20], v[11:12]
	v_cndmask_b32_e64 v20, v12, v20, s2
	v_cndmask_b32_e64 v19, v11, v19, s2
	s_waitcnt lgkmcnt(0)
	s_delay_alu instid0(VALU_DEP_1) | instskip(NEXT) | instid1(VALU_DEP_1)
	v_cmp_lt_u64_e64 s2, v[19:20], v[13:14]
	v_cndmask_b32_e64 v20, v14, v20, s2
	v_cndmask_b32_e64 v19, v13, v19, s2
	s_delay_alu instid0(VALU_DEP_1) | instskip(NEXT) | instid1(VALU_DEP_1)
	v_cmp_lt_u64_e64 s2, v[19:20], v[15:16]
	v_cndmask_b32_e64 v20, v16, v20, s2
	v_cndmask_b32_e64 v19, v15, v19, s2
	s_delay_alu instid0(VALU_DEP_2) | instskip(NEXT) | instid1(VALU_DEP_2)
	v_mov_b32_dpp v22, v20 row_shr:1 row_mask:0xf bank_mask:0xf
	v_mov_b32_dpp v21, v19 row_shr:1 row_mask:0xf bank_mask:0xf
	v_cmpx_ne_u32_e32 0, v25
; %bb.24:
	s_delay_alu instid0(VALU_DEP_2) | instskip(NEXT) | instid1(VALU_DEP_1)
	v_cmp_lt_u64_e64 s2, v[21:22], v[19:20]
	v_cndmask_b32_e64 v20, v20, v22, s2
	v_cndmask_b32_e64 v19, v19, v21, s2
; %bb.25:
	s_or_b32 exec_lo, exec_lo, s8
	s_delay_alu instid0(VALU_DEP_1) | instskip(NEXT) | instid1(VALU_DEP_3)
	v_mov_b32_dpp v21, v19 row_shr:2 row_mask:0xf bank_mask:0xf
	v_mov_b32_dpp v22, v20 row_shr:2 row_mask:0xf bank_mask:0xf
	s_mov_b32 s8, exec_lo
	v_cmpx_lt_u32_e32 1, v25
; %bb.26:
	s_delay_alu instid0(VALU_DEP_2) | instskip(NEXT) | instid1(VALU_DEP_1)
	v_cmp_lt_u64_e64 s2, v[21:22], v[19:20]
	v_cndmask_b32_e64 v20, v20, v22, s2
	v_cndmask_b32_e64 v19, v19, v21, s2
; %bb.27:
	s_or_b32 exec_lo, exec_lo, s8
	s_delay_alu instid0(VALU_DEP_1) | instskip(NEXT) | instid1(VALU_DEP_3)
	v_mov_b32_dpp v21, v19 row_shr:4 row_mask:0xf bank_mask:0xf
	v_mov_b32_dpp v22, v20 row_shr:4 row_mask:0xf bank_mask:0xf
	s_mov_b32 s8, exec_lo
	v_cmpx_lt_u32_e32 3, v25
	;; [unrolled: 12-line block ×3, first 2 shown]
; %bb.30:
	s_delay_alu instid0(VALU_DEP_2) | instskip(NEXT) | instid1(VALU_DEP_1)
	v_cmp_lt_u64_e64 s2, v[21:22], v[19:20]
	v_cndmask_b32_e64 v20, v20, v22, s2
	v_cndmask_b32_e64 v19, v19, v21, s2
; %bb.31:
	s_or_b32 exec_lo, exec_lo, s8
	ds_swizzle_b32 v21, v19 offset:swizzle(BROADCAST,32,15)
	ds_swizzle_b32 v22, v20 offset:swizzle(BROADCAST,32,15)
	v_and_b32_e32 v25, 16, v24
	s_mov_b32 s8, exec_lo
	s_delay_alu instid0(VALU_DEP_1)
	v_cmpx_ne_u32_e32 0, v25
	s_cbranch_execz .LBB159_33
; %bb.32:
	s_waitcnt lgkmcnt(0)
	v_cmp_lt_u64_e64 s2, v[21:22], v[19:20]
	s_delay_alu instid0(VALU_DEP_1)
	v_cndmask_b32_e64 v19, v19, v21, s2
	v_cndmask_b32_e64 v20, v20, v22, s2
.LBB159_33:
	s_or_b32 exec_lo, exec_lo, s8
	s_waitcnt lgkmcnt(1)
	v_add_nc_u32_e32 v21, -1, v24
	s_delay_alu instid0(VALU_DEP_1) | instskip(NEXT) | instid1(VALU_DEP_1)
	v_cmp_gt_i32_e64 s2, 0, v21
	v_cndmask_b32_e64 v21, v21, v24, s2
	s_delay_alu instid0(VALU_DEP_1) | instskip(SKIP_4) | instid1(VALU_DEP_1)
	v_lshlrev_b32_e32 v21, 2, v21
	ds_bpermute_b32 v19, v21, v19
	ds_bpermute_b32 v20, v21, v20
	s_waitcnt lgkmcnt(0)
	v_cmp_lt_u64_e64 s2, v[19:20], v[5:6]
	v_cndmask_b32_e64 v5, v5, v19, s2
	v_cndmask_b32_e64 v6, v6, v20, s2
	v_cmp_eq_u32_e64 s2, 0, v0
	s_delay_alu instid0(VALU_DEP_1) | instskip(NEXT) | instid1(VALU_DEP_4)
	v_cndmask_b32_e64 v6, v6, v18, s2
	v_cndmask_b32_e64 v5, v5, v17, s2
	s_delay_alu instid0(VALU_DEP_1) | instskip(NEXT) | instid1(VALU_DEP_1)
	v_cmp_lt_u64_e64 s2, v[5:6], v[7:8]
	v_cndmask_b32_e64 v8, v8, v6, s2
	v_cndmask_b32_e64 v7, v7, v5, s2
	s_delay_alu instid0(VALU_DEP_1) | instskip(NEXT) | instid1(VALU_DEP_1)
	v_cmp_lt_u64_e64 s2, v[7:8], v[1:2]
	;; [unrolled: 4-line block ×7, first 2 shown]
	v_cndmask_b32_e64 v16, v16, v14, s2
	v_cndmask_b32_e64 v15, v15, v13, s2
	ds_store_2addr_b64 v23, v[5:6], v[7:8] offset1:1
	ds_store_2addr_b64 v23, v[1:2], v[3:4] offset0:2 offset1:3
	ds_store_2addr_b64 v23, v[9:10], v[11:12] offset0:4 offset1:5
	;; [unrolled: 1-line block ×3, first 2 shown]
.LBB159_34:
	s_or_b32 exec_lo, exec_lo, s3
	v_cmp_eq_u32_e64 s2, 0, v0
	s_mov_b32 s8, exec_lo
	s_waitcnt lgkmcnt(0)
	s_barrier
	buffer_gl0_inv
	v_cmpx_ne_u32_e32 0, v0
	s_cbranch_execz .LBB159_36
; %bb.35:
	v_add_nc_u32_e32 v1, -1, v0
	s_delay_alu instid0(VALU_DEP_1) | instskip(NEXT) | instid1(VALU_DEP_1)
	v_lshrrev_b32_e32 v2, 5, v1
	v_add_lshl_u32 v1, v2, v1, 3
	ds_load_b64 v[17:18], v1
.LBB159_36:
	s_or_b32 exec_lo, exec_lo, s8
	s_and_saveexec_b32 s10, vcc_lo
	s_cbranch_execz .LBB159_75
; %bb.37:
	v_mov_b32_e32 v4, 0
	v_mbcnt_lo_u32_b32 v10, -1, 0
	s_mov_b32 s9, 0
	ds_load_b64 v[1:2], v4 offset:2096
	v_cmp_eq_u32_e64 s3, 0, v10
	s_delay_alu instid0(VALU_DEP_1)
	s_and_saveexec_b32 s11, s3
	s_cbranch_execz .LBB159_39
; %bb.38:
	s_add_i32 s8, s15, 32
	s_delay_alu instid0(SALU_CYCLE_1) | instskip(NEXT) | instid1(SALU_CYCLE_1)
	s_lshl_b64 s[8:9], s[8:9], 4
	s_add_u32 s8, s18, s8
	s_addc_u32 s9, s19, s9
	v_mov_b32_e32 v5, s8
	v_dual_mov_b32 v3, 1 :: v_dual_mov_b32 v6, s9
	s_waitcnt lgkmcnt(0)
	;;#ASMSTART
	global_store_dwordx4 v[5:6], v[1:4] off	
s_waitcnt vmcnt(0)
	;;#ASMEND
.LBB159_39:
	s_or_b32 exec_lo, exec_lo, s11
	v_xad_u32 v7, v10, -1, s15
	s_mov_b32 s8, exec_lo
	s_delay_alu instid0(VALU_DEP_1) | instskip(NEXT) | instid1(VALU_DEP_1)
	v_add_nc_u32_e32 v3, 32, v7
	v_lshlrev_b64 v[3:4], 4, v[3:4]
	s_delay_alu instid0(VALU_DEP_1) | instskip(NEXT) | instid1(VALU_DEP_2)
	v_add_co_u32 v8, vcc_lo, s18, v3
	v_add_co_ci_u32_e32 v9, vcc_lo, s19, v4, vcc_lo
	;;#ASMSTART
	global_load_dwordx4 v[3:6], v[8:9] off glc	
s_waitcnt vmcnt(0)
	;;#ASMEND
	v_and_b32_e32 v6, 0xff, v5
	s_delay_alu instid0(VALU_DEP_1)
	v_cmpx_eq_u16_e32 0, v6
	s_cbranch_execz .LBB159_43
; %bb.40:
	s_mov_b32 s9, 0
.LBB159_41:                             ; =>This Inner Loop Header: Depth=1
	;;#ASMSTART
	global_load_dwordx4 v[3:6], v[8:9] off glc	
s_waitcnt vmcnt(0)
	;;#ASMEND
	v_and_b32_e32 v6, 0xff, v5
	s_delay_alu instid0(VALU_DEP_1) | instskip(SKIP_1) | instid1(SALU_CYCLE_1)
	v_cmp_ne_u16_e32 vcc_lo, 0, v6
	s_or_b32 s9, vcc_lo, s9
	s_and_not1_b32 exec_lo, exec_lo, s9
	s_cbranch_execnz .LBB159_41
; %bb.42:
	s_or_b32 exec_lo, exec_lo, s9
.LBB159_43:
	s_delay_alu instid0(SALU_CYCLE_1)
	s_or_b32 exec_lo, exec_lo, s8
	v_cmp_ne_u32_e32 vcc_lo, 31, v10
	v_and_b32_e32 v8, 0xff, v5
	v_lshlrev_b32_e64 v14, v10, -1
	v_add_nc_u32_e32 v15, 1, v10
	s_mov_b32 s8, exec_lo
	v_add_co_ci_u32_e32 v6, vcc_lo, 0, v10, vcc_lo
	v_cmp_eq_u16_e32 vcc_lo, 2, v8
	s_delay_alu instid0(VALU_DEP_2) | instskip(SKIP_4) | instid1(VALU_DEP_1)
	v_lshlrev_b32_e32 v13, 2, v6
	v_and_or_b32 v6, vcc_lo, v14, 0x80000000
	ds_bpermute_b32 v8, v13, v3
	ds_bpermute_b32 v9, v13, v4
	v_ctz_i32_b32_e32 v6, v6
	v_cmpx_le_u32_e64 v15, v6
	s_cbranch_execz .LBB159_45
; %bb.44:
	s_waitcnt lgkmcnt(0)
	v_cmp_lt_u64_e32 vcc_lo, v[8:9], v[3:4]
	v_dual_cndmask_b32 v4, v4, v9 :: v_dual_cndmask_b32 v3, v3, v8
.LBB159_45:
	s_or_b32 exec_lo, exec_lo, s8
	v_cmp_gt_u32_e32 vcc_lo, 30, v10
	v_add_nc_u32_e32 v19, 2, v10
	s_mov_b32 s8, exec_lo
	s_waitcnt lgkmcnt(1)
	v_cndmask_b32_e64 v8, 0, 1, vcc_lo
	s_delay_alu instid0(VALU_DEP_1) | instskip(NEXT) | instid1(VALU_DEP_1)
	v_lshlrev_b32_e32 v8, 1, v8
	v_add_lshl_u32 v16, v8, v10, 2
	ds_bpermute_b32 v8, v16, v3
	s_waitcnt lgkmcnt(1)
	ds_bpermute_b32 v9, v16, v4
	v_cmpx_le_u32_e64 v19, v6
	s_cbranch_execz .LBB159_47
; %bb.46:
	s_waitcnt lgkmcnt(0)
	v_cmp_lt_u64_e32 vcc_lo, v[8:9], v[3:4]
	v_dual_cndmask_b32 v4, v4, v9 :: v_dual_cndmask_b32 v3, v3, v8
.LBB159_47:
	s_or_b32 exec_lo, exec_lo, s8
	v_cmp_gt_u32_e32 vcc_lo, 28, v10
	v_add_nc_u32_e32 v21, 4, v10
	s_mov_b32 s8, exec_lo
	s_waitcnt lgkmcnt(1)
	v_cndmask_b32_e64 v8, 0, 1, vcc_lo
	s_delay_alu instid0(VALU_DEP_1) | instskip(NEXT) | instid1(VALU_DEP_1)
	v_lshlrev_b32_e32 v8, 2, v8
	v_add_lshl_u32 v20, v8, v10, 2
	ds_bpermute_b32 v8, v20, v3
	s_waitcnt lgkmcnt(1)
	ds_bpermute_b32 v9, v20, v4
	;; [unrolled: 19-line block ×4, first 2 shown]
	v_cmpx_le_u32_e64 v25, v6
	s_cbranch_execz .LBB159_53
; %bb.52:
	s_waitcnt lgkmcnt(0)
	v_cmp_lt_u64_e32 vcc_lo, v[8:9], v[3:4]
	v_dual_cndmask_b32 v4, v4, v9 :: v_dual_cndmask_b32 v3, v3, v8
.LBB159_53:
	s_or_b32 exec_lo, exec_lo, s8
	s_waitcnt lgkmcnt(1)
	v_mov_b32_e32 v8, 0
	s_branch .LBB159_55
.LBB159_54:                             ;   in Loop: Header=BB159_55 Depth=1
	s_or_b32 exec_lo, exec_lo, s8
	s_delay_alu instid0(VALU_DEP_1)
	v_cmp_lt_u64_e32 vcc_lo, v[3:4], v[9:10]
	v_subrev_nc_u32_e32 v7, 32, v7
	v_dual_cndmask_b32 v4, v10, v4 :: v_dual_cndmask_b32 v3, v9, v3
.LBB159_55:                             ; =>This Loop Header: Depth=1
                                        ;     Child Loop BB159_58 Depth 2
	s_waitcnt lgkmcnt(0)
	s_delay_alu instid0(VALU_DEP_1) | instskip(NEXT) | instid1(VALU_DEP_2)
	v_dual_mov_b32 v10, v4 :: v_dual_and_b32 v5, 0xff, v5
	v_mov_b32_e32 v9, v3
	s_delay_alu instid0(VALU_DEP_2) | instskip(SKIP_2) | instid1(VALU_DEP_1)
	v_cmp_ne_u16_e32 vcc_lo, 2, v5
	v_cndmask_b32_e64 v5, 0, 1, vcc_lo
	;;#ASMSTART
	;;#ASMEND
	v_cmp_ne_u32_e32 vcc_lo, 0, v5
	s_cmp_lg_u32 vcc_lo, exec_lo
	s_cbranch_scc1 .LBB159_70
; %bb.56:                               ;   in Loop: Header=BB159_55 Depth=1
	v_lshlrev_b64 v[3:4], 4, v[7:8]
	s_mov_b32 s8, exec_lo
	s_delay_alu instid0(VALU_DEP_1) | instskip(NEXT) | instid1(VALU_DEP_2)
	v_add_co_u32 v11, vcc_lo, s18, v3
	v_add_co_ci_u32_e32 v12, vcc_lo, s19, v4, vcc_lo
	;;#ASMSTART
	global_load_dwordx4 v[3:6], v[11:12] off glc	
s_waitcnt vmcnt(0)
	;;#ASMEND
	v_and_b32_e32 v6, 0xff, v5
	s_delay_alu instid0(VALU_DEP_1)
	v_cmpx_eq_u16_e32 0, v6
	s_cbranch_execz .LBB159_60
; %bb.57:                               ;   in Loop: Header=BB159_55 Depth=1
	s_mov_b32 s9, 0
.LBB159_58:                             ;   Parent Loop BB159_55 Depth=1
                                        ; =>  This Inner Loop Header: Depth=2
	;;#ASMSTART
	global_load_dwordx4 v[3:6], v[11:12] off glc	
s_waitcnt vmcnt(0)
	;;#ASMEND
	v_and_b32_e32 v6, 0xff, v5
	s_delay_alu instid0(VALU_DEP_1) | instskip(SKIP_1) | instid1(SALU_CYCLE_1)
	v_cmp_ne_u16_e32 vcc_lo, 0, v6
	s_or_b32 s9, vcc_lo, s9
	s_and_not1_b32 exec_lo, exec_lo, s9
	s_cbranch_execnz .LBB159_58
; %bb.59:                               ;   in Loop: Header=BB159_55 Depth=1
	s_or_b32 exec_lo, exec_lo, s9
.LBB159_60:                             ;   in Loop: Header=BB159_55 Depth=1
	s_delay_alu instid0(SALU_CYCLE_1)
	s_or_b32 exec_lo, exec_lo, s8
	v_and_b32_e32 v6, 0xff, v5
	ds_bpermute_b32 v11, v13, v3
	ds_bpermute_b32 v12, v13, v4
	s_mov_b32 s8, exec_lo
	v_cmp_eq_u16_e32 vcc_lo, 2, v6
	v_and_or_b32 v6, vcc_lo, v14, 0x80000000
	s_delay_alu instid0(VALU_DEP_1) | instskip(NEXT) | instid1(VALU_DEP_1)
	v_ctz_i32_b32_e32 v6, v6
	v_cmpx_le_u32_e64 v15, v6
	s_cbranch_execz .LBB159_62
; %bb.61:                               ;   in Loop: Header=BB159_55 Depth=1
	s_waitcnt lgkmcnt(0)
	v_cmp_lt_u64_e32 vcc_lo, v[11:12], v[3:4]
	v_dual_cndmask_b32 v4, v4, v12 :: v_dual_cndmask_b32 v3, v3, v11
.LBB159_62:                             ;   in Loop: Header=BB159_55 Depth=1
	s_or_b32 exec_lo, exec_lo, s8
	s_waitcnt lgkmcnt(1)
	ds_bpermute_b32 v11, v16, v3
	s_waitcnt lgkmcnt(1)
	ds_bpermute_b32 v12, v16, v4
	s_mov_b32 s8, exec_lo
	v_cmpx_le_u32_e64 v19, v6
	s_cbranch_execz .LBB159_64
; %bb.63:                               ;   in Loop: Header=BB159_55 Depth=1
	s_waitcnt lgkmcnt(0)
	v_cmp_lt_u64_e32 vcc_lo, v[11:12], v[3:4]
	v_dual_cndmask_b32 v4, v4, v12 :: v_dual_cndmask_b32 v3, v3, v11
.LBB159_64:                             ;   in Loop: Header=BB159_55 Depth=1
	s_or_b32 exec_lo, exec_lo, s8
	s_waitcnt lgkmcnt(1)
	ds_bpermute_b32 v11, v20, v3
	s_waitcnt lgkmcnt(1)
	ds_bpermute_b32 v12, v20, v4
	s_mov_b32 s8, exec_lo
	;; [unrolled: 13-line block ×4, first 2 shown]
	v_cmpx_le_u32_e64 v25, v6
	s_cbranch_execz .LBB159_54
; %bb.69:                               ;   in Loop: Header=BB159_55 Depth=1
	s_waitcnt lgkmcnt(0)
	v_cmp_lt_u64_e32 vcc_lo, v[11:12], v[3:4]
	v_dual_cndmask_b32 v4, v4, v12 :: v_dual_cndmask_b32 v3, v3, v11
	s_branch .LBB159_54
.LBB159_70:                             ;   in Loop: Header=BB159_55 Depth=1
                                        ; implicit-def: $vgpr3_vgpr4
	s_cbranch_execz .LBB159_55
; %bb.71:
	s_and_saveexec_b32 s8, s3
	s_cbranch_execz .LBB159_73
; %bb.72:
	s_add_i32 s22, s15, 32
	s_mov_b32 s23, 0
	v_cmp_lt_u64_e32 vcc_lo, v[9:10], v[1:2]
	s_lshl_b64 s[22:23], s[22:23], 4
	v_dual_mov_b32 v3, 2 :: v_dual_mov_b32 v4, 0
	s_add_u32 s22, s18, s22
	s_addc_u32 s23, s19, s23
	v_dual_cndmask_b32 v2, v2, v10 :: v_dual_cndmask_b32 v1, v1, v9
	v_dual_mov_b32 v5, s22 :: v_dual_mov_b32 v6, s23
	;;#ASMSTART
	global_store_dwordx4 v[5:6], v[1:4] off	
s_waitcnt vmcnt(0)
	;;#ASMEND
.LBB159_73:
	s_or_b32 exec_lo, exec_lo, s8
	s_delay_alu instid0(SALU_CYCLE_1)
	s_and_b32 exec_lo, exec_lo, s2
	s_cbranch_execz .LBB159_75
; %bb.74:
	v_mov_b32_e32 v1, 0
	ds_store_b64 v1, v[9:10]
.LBB159_75:
	s_or_b32 exec_lo, exec_lo, s10
	v_mov_b32_e32 v1, 0
	s_waitcnt lgkmcnt(0)
	s_barrier
	buffer_gl0_inv
	ds_load_b64 v[1:2], v1
	s_waitcnt lgkmcnt(0)
	v_cmp_lt_u64_e32 vcc_lo, v[1:2], v[17:18]
	s_or_b32 vcc_lo, s2, vcc_lo
	v_dual_cndmask_b32 v2, v18, v2 :: v_dual_cndmask_b32 v1, v17, v1
	s_delay_alu instid0(VALU_DEP_1) | instskip(SKIP_1) | instid1(VALU_DEP_1)
	v_cmp_lt_u64_e32 vcc_lo, v[1:2], v[61:62]
	v_dual_cndmask_b32 v4, v62, v2 :: v_dual_cndmask_b32 v3, v61, v1
	v_cmp_lt_u64_e32 vcc_lo, v[3:4], v[63:64]
	v_dual_cndmask_b32 v6, v64, v4 :: v_dual_cndmask_b32 v5, v63, v3
	s_delay_alu instid0(VALU_DEP_1) | instskip(SKIP_1) | instid1(VALU_DEP_1)
	v_cmp_lt_u64_e32 vcc_lo, v[5:6], v[57:58]
	v_dual_cndmask_b32 v8, v58, v6 :: v_dual_cndmask_b32 v7, v57, v5
	v_cmp_lt_u64_e32 vcc_lo, v[7:8], v[59:60]
	;; [unrolled: 5-line block ×7, first 2 shown]
	v_dual_cndmask_b32 v30, v36, v28 :: v_dual_cndmask_b32 v29, v35, v27
	s_delay_alu instid0(VALU_DEP_1)
	v_cmp_lt_u64_e32 vcc_lo, v[29:30], v[53:54]
	v_dual_cndmask_b32 v32, v54, v30 :: v_dual_cndmask_b32 v31, v53, v29
	s_load_b128 s[8:11], s[0:1], 0x40
	s_branch .LBB159_96
.LBB159_76:
                                        ; implicit-def: $vgpr1_vgpr2_vgpr3_vgpr4_vgpr5_vgpr6_vgpr7_vgpr8_vgpr9_vgpr10_vgpr11_vgpr12_vgpr13_vgpr14_vgpr15_vgpr16_vgpr17_vgpr18_vgpr19_vgpr20_vgpr21_vgpr22_vgpr23_vgpr24_vgpr25_vgpr26_vgpr27_vgpr28_vgpr29_vgpr30_vgpr31_vgpr32
	s_load_b128 s[8:11], s[0:1], 0x40
	s_cbranch_execz .LBB159_96
; %bb.77:
	s_load_b32 s2, s[0:1], 0x50
	v_dual_mov_b32 v66, s17 :: v_dual_mov_b32 v65, s16
	s_waitcnt lgkmcnt(0)
	s_bitcmp0_b32 s2, 0
	s_cbranch_scc1 .LBB159_79
; %bb.78:
	v_mov_b32_e32 v1, 0
	s_load_b64 s[2:3], s[8:9], 0x0
	global_load_b64 v[1:2], v1, s[12:13] offset:-8
	s_waitcnt vmcnt(0) lgkmcnt(0)
	v_cmp_lt_u64_e32 vcc_lo, s[2:3], v[1:2]
	v_cndmask_b32_e64 v66, v2, s3, vcc_lo
	v_cndmask_b32_e64 v65, v1, s2, vcc_lo
.LBB159_79:
	v_cmp_lt_u64_e32 vcc_lo, v[61:62], v[63:64]
	v_add_lshl_u32 v3, v84, v0, 3
	s_mov_b32 s2, exec_lo
	v_dual_cndmask_b32 v2, v64, v62 :: v_dual_cndmask_b32 v1, v63, v61
	s_delay_alu instid0(VALU_DEP_1) | instskip(SKIP_1) | instid1(VALU_DEP_1)
	v_cmp_lt_u64_e32 vcc_lo, v[1:2], v[57:58]
	v_dual_cndmask_b32 v2, v58, v2 :: v_dual_cndmask_b32 v1, v57, v1
	v_cmp_lt_u64_e32 vcc_lo, v[1:2], v[59:60]
	v_dual_cndmask_b32 v2, v60, v2 :: v_dual_cndmask_b32 v1, v59, v1
	s_delay_alu instid0(VALU_DEP_1) | instskip(SKIP_1) | instid1(VALU_DEP_1)
	v_cmp_lt_u64_e32 vcc_lo, v[1:2], v[49:50]
	v_dual_cndmask_b32 v2, v50, v2 :: v_dual_cndmask_b32 v1, v49, v1
	v_cmp_lt_u64_e32 vcc_lo, v[1:2], v[51:52]
	;; [unrolled: 5-line block ×7, first 2 shown]
	v_dual_cndmask_b32 v18, v56, v2 :: v_dual_cndmask_b32 v17, v55, v1
	ds_store_b64 v3, v[17:18]
	s_waitcnt lgkmcnt(0)
	s_barrier
	buffer_gl0_inv
	v_cmpx_gt_u32_e32 32, v0
	s_cbranch_execz .LBB159_91
; %bb.80:
	v_lshlrev_b32_e32 v1, 1, v0
	v_mbcnt_lo_u32_b32 v24, -1, 0
	s_mov_b32 s3, exec_lo
	s_delay_alu instid0(VALU_DEP_2) | instskip(NEXT) | instid1(VALU_DEP_2)
	v_and_b32_e32 v1, 0x1f8, v1
	v_and_b32_e32 v25, 15, v24
	s_delay_alu instid0(VALU_DEP_2)
	v_lshl_or_b32 v23, v0, 6, v1
	ds_load_2addr_b64 v[5:8], v23 offset1:1
	ds_load_2addr_b64 v[1:4], v23 offset0:2 offset1:3
	ds_load_2addr_b64 v[9:12], v23 offset0:4 offset1:5
	s_waitcnt lgkmcnt(2)
	v_cmp_lt_u64_e32 vcc_lo, v[5:6], v[7:8]
	v_dual_cndmask_b32 v14, v8, v6 :: v_dual_cndmask_b32 v13, v7, v5
	s_waitcnt lgkmcnt(1)
	s_delay_alu instid0(VALU_DEP_1) | instskip(SKIP_1) | instid1(VALU_DEP_1)
	v_cmp_lt_u64_e32 vcc_lo, v[13:14], v[1:2]
	v_dual_cndmask_b32 v14, v2, v14 :: v_dual_cndmask_b32 v13, v1, v13
	v_cmp_lt_u64_e32 vcc_lo, v[13:14], v[3:4]
	v_dual_cndmask_b32 v20, v4, v14 :: v_dual_cndmask_b32 v19, v3, v13
	ds_load_2addr_b64 v[13:16], v23 offset0:6 offset1:7
	s_waitcnt lgkmcnt(1)
	v_cmp_lt_u64_e32 vcc_lo, v[19:20], v[9:10]
	v_dual_cndmask_b32 v20, v10, v20 :: v_dual_cndmask_b32 v19, v9, v19
	s_delay_alu instid0(VALU_DEP_1) | instskip(SKIP_2) | instid1(VALU_DEP_1)
	v_cmp_lt_u64_e32 vcc_lo, v[19:20], v[11:12]
	v_dual_cndmask_b32 v20, v12, v20 :: v_dual_cndmask_b32 v19, v11, v19
	s_waitcnt lgkmcnt(0)
	v_cmp_lt_u64_e32 vcc_lo, v[19:20], v[13:14]
	v_dual_cndmask_b32 v20, v14, v20 :: v_dual_cndmask_b32 v19, v13, v19
	s_delay_alu instid0(VALU_DEP_1) | instskip(SKIP_1) | instid1(VALU_DEP_1)
	v_cmp_lt_u64_e32 vcc_lo, v[19:20], v[15:16]
	v_dual_cndmask_b32 v20, v16, v20 :: v_dual_cndmask_b32 v19, v15, v19
	v_mov_b32_dpp v22, v20 row_shr:1 row_mask:0xf bank_mask:0xf
	s_delay_alu instid0(VALU_DEP_2)
	v_mov_b32_dpp v21, v19 row_shr:1 row_mask:0xf bank_mask:0xf
	v_cmpx_ne_u32_e32 0, v25
; %bb.81:
	s_delay_alu instid0(VALU_DEP_2)
	v_cmp_lt_u64_e32 vcc_lo, v[21:22], v[19:20]
	v_dual_cndmask_b32 v20, v20, v22 :: v_dual_cndmask_b32 v19, v19, v21
; %bb.82:
	s_or_b32 exec_lo, exec_lo, s3
	s_delay_alu instid0(VALU_DEP_1) | instskip(NEXT) | instid1(VALU_DEP_2)
	v_mov_b32_dpp v21, v19 row_shr:2 row_mask:0xf bank_mask:0xf
	v_mov_b32_dpp v22, v20 row_shr:2 row_mask:0xf bank_mask:0xf
	s_mov_b32 s3, exec_lo
	v_cmpx_lt_u32_e32 1, v25
; %bb.83:
	s_delay_alu instid0(VALU_DEP_2)
	v_cmp_lt_u64_e32 vcc_lo, v[21:22], v[19:20]
	v_dual_cndmask_b32 v20, v20, v22 :: v_dual_cndmask_b32 v19, v19, v21
; %bb.84:
	s_or_b32 exec_lo, exec_lo, s3
	s_delay_alu instid0(VALU_DEP_1) | instskip(NEXT) | instid1(VALU_DEP_2)
	v_mov_b32_dpp v21, v19 row_shr:4 row_mask:0xf bank_mask:0xf
	v_mov_b32_dpp v22, v20 row_shr:4 row_mask:0xf bank_mask:0xf
	s_mov_b32 s3, exec_lo
	v_cmpx_lt_u32_e32 3, v25
	;; [unrolled: 11-line block ×3, first 2 shown]
; %bb.87:
	s_delay_alu instid0(VALU_DEP_2)
	v_cmp_lt_u64_e32 vcc_lo, v[21:22], v[19:20]
	v_dual_cndmask_b32 v20, v20, v22 :: v_dual_cndmask_b32 v19, v19, v21
; %bb.88:
	s_or_b32 exec_lo, exec_lo, s3
	ds_swizzle_b32 v21, v19 offset:swizzle(BROADCAST,32,15)
	ds_swizzle_b32 v22, v20 offset:swizzle(BROADCAST,32,15)
	v_and_b32_e32 v25, 16, v24
	s_mov_b32 s3, exec_lo
	s_delay_alu instid0(VALU_DEP_1)
	v_cmpx_ne_u32_e32 0, v25
	s_cbranch_execz .LBB159_90
; %bb.89:
	s_waitcnt lgkmcnt(0)
	v_cmp_lt_u64_e32 vcc_lo, v[21:22], v[19:20]
	v_dual_cndmask_b32 v19, v19, v21 :: v_dual_cndmask_b32 v20, v20, v22
.LBB159_90:
	s_or_b32 exec_lo, exec_lo, s3
	s_waitcnt lgkmcnt(1)
	v_add_nc_u32_e32 v21, -1, v24
	s_delay_alu instid0(VALU_DEP_1) | instskip(SKIP_1) | instid1(VALU_DEP_1)
	v_cmp_gt_i32_e32 vcc_lo, 0, v21
	v_cndmask_b32_e32 v21, v21, v24, vcc_lo
	v_lshlrev_b32_e32 v21, 2, v21
	ds_bpermute_b32 v19, v21, v19
	ds_bpermute_b32 v20, v21, v20
	s_waitcnt lgkmcnt(0)
	v_cmp_lt_u64_e32 vcc_lo, v[19:20], v[5:6]
	v_dual_cndmask_b32 v6, v6, v20 :: v_dual_cndmask_b32 v5, v5, v19
	v_cmp_eq_u32_e32 vcc_lo, 0, v0
	s_delay_alu instid0(VALU_DEP_2) | instskip(NEXT) | instid1(VALU_DEP_1)
	v_dual_cndmask_b32 v6, v6, v18 :: v_dual_cndmask_b32 v5, v5, v17
	v_cmp_lt_u64_e32 vcc_lo, v[5:6], v[7:8]
	v_dual_cndmask_b32 v8, v8, v6 :: v_dual_cndmask_b32 v7, v7, v5
	s_delay_alu instid0(VALU_DEP_1) | instskip(SKIP_1) | instid1(VALU_DEP_1)
	v_cmp_lt_u64_e32 vcc_lo, v[7:8], v[1:2]
	v_dual_cndmask_b32 v2, v2, v8 :: v_dual_cndmask_b32 v1, v1, v7
	v_cmp_lt_u64_e32 vcc_lo, v[1:2], v[3:4]
	v_dual_cndmask_b32 v4, v4, v2 :: v_dual_cndmask_b32 v3, v3, v1
	s_delay_alu instid0(VALU_DEP_1) | instskip(SKIP_1) | instid1(VALU_DEP_1)
	v_cmp_lt_u64_e32 vcc_lo, v[3:4], v[9:10]
	;; [unrolled: 5-line block ×3, first 2 shown]
	v_dual_cndmask_b32 v14, v14, v12 :: v_dual_cndmask_b32 v13, v13, v11
	v_cmp_lt_u64_e32 vcc_lo, v[13:14], v[15:16]
	v_dual_cndmask_b32 v16, v16, v14 :: v_dual_cndmask_b32 v15, v15, v13
	ds_store_2addr_b64 v23, v[5:6], v[7:8] offset1:1
	ds_store_2addr_b64 v23, v[1:2], v[3:4] offset0:2 offset1:3
	ds_store_2addr_b64 v23, v[9:10], v[11:12] offset0:4 offset1:5
	;; [unrolled: 1-line block ×3, first 2 shown]
.LBB159_91:
	s_or_b32 exec_lo, exec_lo, s2
	v_cmp_eq_u32_e32 vcc_lo, 0, v0
	v_dual_mov_b32 v1, v65 :: v_dual_mov_b32 v2, v66
	s_mov_b32 s3, exec_lo
	s_waitcnt lgkmcnt(0)
	s_barrier
	buffer_gl0_inv
	v_cmpx_ne_u32_e32 0, v0
	s_cbranch_execz .LBB159_93
; %bb.92:
	v_add_nc_u32_e32 v1, -1, v0
	s_delay_alu instid0(VALU_DEP_1) | instskip(NEXT) | instid1(VALU_DEP_1)
	v_lshrrev_b32_e32 v2, 5, v1
	v_add_lshl_u32 v1, v2, v1, 3
	ds_load_b64 v[1:2], v1
	s_waitcnt lgkmcnt(0)
	v_cmp_lt_u64_e64 s2, v[65:66], v[1:2]
	s_delay_alu instid0(VALU_DEP_1)
	v_cndmask_b32_e64 v2, v2, v66, s2
	v_cndmask_b32_e64 v1, v1, v65, s2
.LBB159_93:
	s_or_b32 exec_lo, exec_lo, s3
	s_delay_alu instid0(VALU_DEP_1) | instskip(NEXT) | instid1(VALU_DEP_1)
	v_cmp_lt_u64_e64 s2, v[1:2], v[61:62]
	v_cndmask_b32_e64 v4, v62, v2, s2
	v_cndmask_b32_e64 v3, v61, v1, s2
	s_delay_alu instid0(VALU_DEP_1) | instskip(NEXT) | instid1(VALU_DEP_1)
	v_cmp_lt_u64_e64 s2, v[3:4], v[63:64]
	v_cndmask_b32_e64 v6, v64, v4, s2
	v_cndmask_b32_e64 v5, v63, v3, s2
	;; [unrolled: 4-line block ×15, first 2 shown]
	s_and_saveexec_b32 s2, vcc_lo
	s_cbranch_execz .LBB159_95
; %bb.94:
	v_dual_mov_b32 v36, 0 :: v_dual_mov_b32 v35, 2
	s_add_u32 s8, s18, 0x200
	s_addc_u32 s9, s19, 0
	s_delay_alu instid0(SALU_CYCLE_1)
	v_dual_mov_b32 v38, s9 :: v_dual_mov_b32 v37, s8
	ds_load_b64 v[33:34], v36 offset:2096
	s_waitcnt lgkmcnt(0)
	v_cmp_lt_u64_e32 vcc_lo, v[65:66], v[33:34]
	v_dual_cndmask_b32 v34, v34, v66 :: v_dual_cndmask_b32 v33, v33, v65
	;;#ASMSTART
	global_store_dwordx4 v[37:38], v[33:36] off	
s_waitcnt vmcnt(0)
	;;#ASMEND
.LBB159_95:
	s_or_b32 exec_lo, exec_lo, s2
.LBB159_96:
	v_lshlrev_b32_e32 v33, 7, v0
	s_add_u32 s2, s4, s6
	s_addc_u32 s3, s5, s7
	s_and_b32 vcc_lo, exec_lo, s21
	s_mov_b32 s4, -1
	s_waitcnt lgkmcnt(0)
	s_barrier
	buffer_gl0_inv
	s_cbranch_vccz .LBB159_98
; %bb.97:
	v_lshl_add_u32 v34, v83, 3, v33
	v_lshrrev_b32_e32 v35, 5, v80
	v_lshrrev_b32_e32 v36, 5, v79
	v_add_lshl_u32 v37, v84, v0, 3
	v_lshrrev_b32_e32 v42, 5, v78
	ds_store_2addr_b64 v34, v[1:2], v[3:4] offset1:1
	ds_store_2addr_b64 v34, v[5:6], v[7:8] offset0:2 offset1:3
	ds_store_2addr_b64 v34, v[9:10], v[11:12] offset0:4 offset1:5
	;; [unrolled: 1-line block ×7, first 2 shown]
	v_lshrrev_b32_e32 v34, 5, v81
	v_add_lshl_u32 v39, v35, v0, 3
	v_add_lshl_u32 v40, v36, v0, 3
	s_waitcnt lgkmcnt(0)
	s_barrier
	v_add_lshl_u32 v38, v34, v0, 3
	buffer_gl0_inv
	v_lshrrev_b32_e32 v51, 5, v73
	ds_load_b64 v[34:35], v37
	ds_load_b64 v[36:37], v38 offset:2048
	ds_load_b64 v[38:39], v39 offset:4096
	;; [unrolled: 1-line block ×3, first 2 shown]
	v_lshrrev_b32_e32 v43, 5, v77
	v_lshrrev_b32_e32 v52, 5, v72
	;; [unrolled: 1-line block ×5, first 2 shown]
	v_add_lshl_u32 v42, v42, v0, 3
	v_add_lshl_u32 v53, v51, v0, 3
	v_lshrrev_b32_e32 v51, 5, v71
	v_add_lshl_u32 v46, v43, v0, 3
	v_add_lshl_u32 v54, v52, v0, 3
	v_lshrrev_b32_e32 v52, 5, v70
	v_lshrrev_b32_e32 v55, 5, v69
	v_lshrrev_b32_e32 v56, 5, v68
	v_lshrrev_b32_e32 v57, 5, v67
	v_add_lshl_u32 v47, v44, v0, 3
	v_add_lshl_u32 v50, v50, v0, 3
	v_add_co_u32 v66, s5, s2, v82
	v_add_lshl_u32 v48, v45, v0, 3
	v_add_co_ci_u32_e64 v95, null, s3, 0, s5
	ds_load_b64 v[42:43], v42 offset:8192
	ds_load_b64 v[44:45], v46 offset:10240
	ds_load_b64 v[46:47], v47 offset:12288
	ds_load_b64 v[48:49], v48 offset:14336
	v_add_lshl_u32 v58, v51, v0, 3
	v_add_lshl_u32 v59, v52, v0, 3
	v_add_lshl_u32 v60, v55, v0, 3
	v_add_lshl_u32 v62, v56, v0, 3
	v_add_lshl_u32 v64, v57, v0, 3
	ds_load_b64 v[50:51], v50 offset:16384
	ds_load_b64 v[52:53], v53 offset:18432
	;; [unrolled: 1-line block ×8, first 2 shown]
	s_waitcnt lgkmcnt(14)
	global_store_b64 v82, v[36:37], s[2:3] offset:2048
	v_add_co_u32 v36, vcc_lo, 0x1000, v66
	v_add_co_ci_u32_e32 v37, vcc_lo, 0, v95, vcc_lo
	v_add_co_u32 v85, vcc_lo, v66, 0x2000
	v_add_co_ci_u32_e32 v86, vcc_lo, 0, v95, vcc_lo
	;; [unrolled: 2-line block ×6, first 2 shown]
	s_waitcnt lgkmcnt(13)
	global_store_b64 v[85:86], v[38:39], off offset:-4096
	s_waitcnt lgkmcnt(11)
	global_store_b64 v[85:86], v[42:43], off
	s_waitcnt lgkmcnt(9)
	global_store_b64 v[91:92], v[46:47], off offset:-4096
	s_waitcnt lgkmcnt(7)
	s_clause 0x3
	global_store_b64 v[91:92], v[50:51], off
	global_store_b64 v[36:37], v[40:41], off offset:2048
	global_store_b64 v[87:88], v[44:45], off offset:2048
	;; [unrolled: 1-line block ×3, first 2 shown]
	s_waitcnt lgkmcnt(6)
	global_store_b64 v[93:94], v[52:53], off offset:2048
	v_add_co_u32 v36, vcc_lo, v66, 0x6000
	v_add_co_ci_u32_e32 v37, vcc_lo, 0, v95, vcc_lo
	v_add_co_u32 v38, vcc_lo, 0x5000, v66
	v_add_co_ci_u32_e32 v39, vcc_lo, 0, v95, vcc_lo
	;; [unrolled: 2-line block ×4, first 2 shown]
	s_mov_b32 s4, 0
	s_waitcnt lgkmcnt(5)
	s_clause 0x1
	global_store_b64 v[36:37], v[54:55], off offset:-4096
	global_store_b64 v82, v[34:35], s[2:3]
	s_waitcnt lgkmcnt(3)
	s_clause 0x1
	global_store_b64 v[36:37], v[58:59], off
	global_store_b64 v[38:39], v[56:57], off offset:2048
	s_waitcnt lgkmcnt(2)
	global_store_b64 v[40:41], v[60:61], off offset:2048
	s_waitcnt lgkmcnt(1)
	global_store_b64 v[42:43], v[62:63], off
	s_waitcnt lgkmcnt(0)
	global_store_b64 v[42:43], v[64:65], off offset:2048
.LBB159_98:
	s_and_not1_b32 vcc_lo, exec_lo, s4
	s_cbranch_vccnz .LBB159_171
; %bb.99:
	v_lshl_add_u32 v33, v83, 3, v33
	v_add_co_u32 v34, s2, s2, v82
	s_delay_alu instid0(VALU_DEP_1)
	v_add_co_ci_u32_e64 v35, null, s3, 0, s2
	ds_store_2addr_b64 v33, v[1:2], v[3:4] offset1:1
	ds_store_2addr_b64 v33, v[5:6], v[7:8] offset0:2 offset1:3
	ds_store_2addr_b64 v33, v[9:10], v[11:12] offset0:4 offset1:5
	;; [unrolled: 1-line block ×7, first 2 shown]
	v_lshrrev_b32_e32 v1, 5, v81
	v_lshrrev_b32_e32 v2, 5, v80
	;; [unrolled: 1-line block ×3, first 2 shown]
	v_add_lshl_u32 v4, v84, v0, 3
	v_lshrrev_b32_e32 v10, 5, v78
	v_add_lshl_u32 v1, v1, v0, 3
	v_lshrrev_b32_e32 v11, 5, v77
	;; [unrolled: 2-line block ×4, first 2 shown]
	s_waitcnt lgkmcnt(0)
	s_waitcnt_vscnt null, 0x0
	s_barrier
	buffer_gl0_inv
	ds_load_b64 v[4:5], v4
	ds_load_b64 v[2:3], v1 offset:2048
	ds_load_b64 v[6:7], v6 offset:4096
	ds_load_b64 v[8:9], v8 offset:6144
	v_add_lshl_u32 v1, v10, v0, 3
	v_lshrrev_b32_e32 v18, 5, v74
	v_add_lshl_u32 v14, v11, v0, 3
	v_lshrrev_b32_e32 v19, 5, v73
	v_lshrrev_b32_e32 v20, 5, v72
	v_add_lshl_u32 v15, v12, v0, 3
	v_add_lshl_u32 v16, v13, v0, 3
	ds_load_b64 v[10:11], v1 offset:8192
	ds_load_b64 v[12:13], v14 offset:10240
	;; [unrolled: 1-line block ×4, first 2 shown]
	v_add_lshl_u32 v1, v18, v0, 3
	v_lshrrev_b32_e32 v18, 5, v71
	v_add_lshl_u32 v21, v19, v0, 3
	v_add_lshl_u32 v22, v20, v0, 3
	v_lshrrev_b32_e32 v19, 5, v70
	v_lshrrev_b32_e32 v20, 5, v69
	;; [unrolled: 1-line block ×4, first 2 shown]
	v_add_lshl_u32 v25, v18, v0, 3
	v_add_lshl_u32 v26, v19, v0, 3
	;; [unrolled: 1-line block ×5, first 2 shown]
	ds_load_b64 v[18:19], v1 offset:16384
	ds_load_b64 v[20:21], v21 offset:18432
	;; [unrolled: 1-line block ×8, first 2 shown]
	v_mov_b32_e32 v1, 0
	s_mov_b32 s2, exec_lo
	v_cmpx_gt_u32_e64 s14, v0
	s_cbranch_execnz .LBB159_187
; %bb.100:
	s_or_b32 exec_lo, exec_lo, s2
	s_delay_alu instid0(SALU_CYCLE_1)
	s_mov_b32 s2, exec_lo
	v_cmpx_gt_u32_e64 s14, v81
	s_cbranch_execnz .LBB159_188
.LBB159_101:
	s_or_b32 exec_lo, exec_lo, s2
	s_delay_alu instid0(SALU_CYCLE_1)
	s_mov_b32 s2, exec_lo
	v_cmpx_gt_u32_e64 s14, v80
	s_cbranch_execnz .LBB159_189
.LBB159_102:
	s_or_b32 exec_lo, exec_lo, s2
	s_delay_alu instid0(SALU_CYCLE_1)
	s_mov_b32 s2, exec_lo
	v_cmpx_gt_u32_e64 s14, v79
	s_cbranch_execnz .LBB159_190
.LBB159_103:
	s_or_b32 exec_lo, exec_lo, s2
	s_delay_alu instid0(SALU_CYCLE_1)
	s_mov_b32 s2, exec_lo
	v_cmpx_gt_u32_e64 s14, v78
	s_cbranch_execnz .LBB159_191
.LBB159_104:
	s_or_b32 exec_lo, exec_lo, s2
	s_delay_alu instid0(SALU_CYCLE_1)
	s_mov_b32 s2, exec_lo
	v_cmpx_gt_u32_e64 s14, v77
	s_cbranch_execnz .LBB159_192
.LBB159_105:
	s_or_b32 exec_lo, exec_lo, s2
	s_delay_alu instid0(SALU_CYCLE_1)
	s_mov_b32 s2, exec_lo
	v_cmpx_gt_u32_e64 s14, v76
	s_cbranch_execnz .LBB159_193
.LBB159_106:
	s_or_b32 exec_lo, exec_lo, s2
	s_delay_alu instid0(SALU_CYCLE_1)
	s_mov_b32 s2, exec_lo
	v_cmpx_gt_u32_e64 s14, v75
	s_cbranch_execnz .LBB159_194
.LBB159_107:
	s_or_b32 exec_lo, exec_lo, s2
	s_delay_alu instid0(SALU_CYCLE_1)
	s_mov_b32 s2, exec_lo
	v_cmpx_gt_u32_e64 s14, v74
	s_cbranch_execnz .LBB159_195
.LBB159_108:
	s_or_b32 exec_lo, exec_lo, s2
	s_delay_alu instid0(SALU_CYCLE_1)
	s_mov_b32 s2, exec_lo
	v_cmpx_gt_u32_e64 s14, v73
	s_cbranch_execnz .LBB159_196
.LBB159_109:
	s_or_b32 exec_lo, exec_lo, s2
	s_delay_alu instid0(SALU_CYCLE_1)
	s_mov_b32 s2, exec_lo
	v_cmpx_gt_u32_e64 s14, v72
	s_cbranch_execnz .LBB159_197
.LBB159_110:
	s_or_b32 exec_lo, exec_lo, s2
	s_delay_alu instid0(SALU_CYCLE_1)
	s_mov_b32 s2, exec_lo
	v_cmpx_gt_u32_e64 s14, v71
	s_cbranch_execnz .LBB159_198
.LBB159_111:
	s_or_b32 exec_lo, exec_lo, s2
	s_delay_alu instid0(SALU_CYCLE_1)
	s_mov_b32 s2, exec_lo
	v_cmpx_gt_u32_e64 s14, v70
	s_cbranch_execnz .LBB159_199
.LBB159_112:
	s_or_b32 exec_lo, exec_lo, s2
	s_delay_alu instid0(SALU_CYCLE_1)
	s_mov_b32 s2, exec_lo
	v_cmpx_gt_u32_e64 s14, v69
	s_cbranch_execnz .LBB159_200
.LBB159_113:
	s_or_b32 exec_lo, exec_lo, s2
	s_delay_alu instid0(SALU_CYCLE_1)
	s_mov_b32 s2, exec_lo
	v_cmpx_gt_u32_e64 s14, v68
	s_cbranch_execnz .LBB159_201
.LBB159_114:
	s_or_b32 exec_lo, exec_lo, s2
	s_delay_alu instid0(SALU_CYCLE_1)
	s_mov_b32 s2, exec_lo
	v_cmpx_gt_u32_e64 s14, v67
	s_cbranch_execz .LBB159_116
.LBB159_115:
	v_add_co_u32 v34, vcc_lo, 0x7000, v34
	v_add_co_ci_u32_e32 v35, vcc_lo, 0, v35, vcc_lo
	s_waitcnt lgkmcnt(0)
	global_store_b64 v[34:35], v[32:33], off offset:2048
.LBB159_116:
	s_or_b32 exec_lo, exec_lo, s2
	s_load_b32 s0, s[0:1], 0x50
	s_waitcnt lgkmcnt(0)
	s_bfe_u32 s0, s0, 0x10008
	s_delay_alu instid0(SALU_CYCLE_1)
	s_cmp_eq_u32 s0, 0
	s_cbranch_scc1 .LBB159_171
; %bb.117:
	s_add_u32 s0, s14, -1
	s_addc_u32 s1, s20, -1
	s_delay_alu instid0(SALU_CYCLE_1)
	s_lshr_b64 s[2:3], s[0:1], 4
	s_mov_b32 s1, exec_lo
	v_cmpx_eq_u64_e64 s[2:3], v[0:1]
	s_cbranch_execz .LBB159_171
; %bb.118:
	s_and_b32 s0, s0, 15
	s_mov_b32 s1, 0
	s_delay_alu instid0(SALU_CYCLE_1) | instskip(NEXT) | instid1(VALU_DEP_1)
	v_cmp_lt_i64_e64 s2, s[0:1], 8
	s_and_b32 vcc_lo, exec_lo, s2
	s_mov_b32 s2, -1
	s_cbranch_vccnz .LBB159_145
; %bb.119:
	v_cmp_lt_i64_e64 s2, s[0:1], 12
	s_delay_alu instid0(VALU_DEP_1)
	s_and_b32 vcc_lo, exec_lo, s2
	s_mov_b32 s2, -1
	s_cbranch_vccnz .LBB159_132
; %bb.120:
	v_cmp_lt_i64_e64 s2, s[0:1], 14
	s_delay_alu instid0(VALU_DEP_1)
	s_and_b32 vcc_lo, exec_lo, s2
	s_mov_b32 s2, -1
	s_cbranch_vccnz .LBB159_126
; %bb.121:
	v_cmp_gt_i64_e64 s2, s[0:1], 14
	s_delay_alu instid0(VALU_DEP_1)
	s_and_b32 vcc_lo, exec_lo, s2
	s_mov_b32 s2, -1
	s_cbranch_vccz .LBB159_123
; %bb.122:
	v_mov_b32_e32 v0, 0
	s_mov_b32 s2, 0
	global_store_b64 v0, v[32:33], s[10:11]
.LBB159_123:
	s_and_not1_b32 vcc_lo, exec_lo, s2
	s_cbranch_vccnz .LBB159_125
; %bb.124:
	v_mov_b32_e32 v0, 0
	global_store_b64 v0, v[30:31], s[10:11]
.LBB159_125:
	s_mov_b32 s2, 0
.LBB159_126:
	s_delay_alu instid0(SALU_CYCLE_1)
	s_and_not1_b32 vcc_lo, exec_lo, s2
	s_cbranch_vccnz .LBB159_131
; %bb.127:
	v_cmp_gt_i64_e64 s2, s[0:1], 12
	s_delay_alu instid0(VALU_DEP_1)
	s_and_b32 vcc_lo, exec_lo, s2
	s_mov_b32 s2, -1
	s_cbranch_vccz .LBB159_129
; %bb.128:
	v_mov_b32_e32 v0, 0
	s_mov_b32 s2, 0
	global_store_b64 v0, v[28:29], s[10:11]
.LBB159_129:
	s_and_not1_b32 vcc_lo, exec_lo, s2
	s_cbranch_vccnz .LBB159_131
; %bb.130:
	v_mov_b32_e32 v0, 0
	global_store_b64 v0, v[26:27], s[10:11]
.LBB159_131:
	s_mov_b32 s2, 0
.LBB159_132:
	s_delay_alu instid0(SALU_CYCLE_1)
	s_and_not1_b32 vcc_lo, exec_lo, s2
	s_cbranch_vccnz .LBB159_144
; %bb.133:
	v_cmp_lt_i64_e64 s2, s[0:1], 10
	s_delay_alu instid0(VALU_DEP_1)
	s_and_b32 vcc_lo, exec_lo, s2
	s_mov_b32 s2, -1
	s_cbranch_vccnz .LBB159_139
; %bb.134:
	v_cmp_gt_i64_e64 s2, s[0:1], 10
	s_delay_alu instid0(VALU_DEP_1)
	s_and_b32 vcc_lo, exec_lo, s2
	s_mov_b32 s2, -1
	s_cbranch_vccz .LBB159_136
; %bb.135:
	v_mov_b32_e32 v0, 0
	s_mov_b32 s2, 0
	global_store_b64 v0, v[24:25], s[10:11]
.LBB159_136:
	s_and_not1_b32 vcc_lo, exec_lo, s2
	s_cbranch_vccnz .LBB159_138
; %bb.137:
	v_mov_b32_e32 v0, 0
	global_store_b64 v0, v[22:23], s[10:11]
.LBB159_138:
	s_mov_b32 s2, 0
.LBB159_139:
	s_delay_alu instid0(SALU_CYCLE_1)
	s_and_not1_b32 vcc_lo, exec_lo, s2
	s_cbranch_vccnz .LBB159_144
; %bb.140:
	v_cmp_gt_i64_e64 s2, s[0:1], 8
	s_delay_alu instid0(VALU_DEP_1)
	s_and_b32 vcc_lo, exec_lo, s2
	s_mov_b32 s2, -1
	s_cbranch_vccz .LBB159_142
; %bb.141:
	v_mov_b32_e32 v0, 0
	s_mov_b32 s2, 0
	global_store_b64 v0, v[20:21], s[10:11]
.LBB159_142:
	s_and_not1_b32 vcc_lo, exec_lo, s2
	s_cbranch_vccnz .LBB159_144
; %bb.143:
	v_mov_b32_e32 v0, 0
	global_store_b64 v0, v[18:19], s[10:11]
.LBB159_144:
	s_mov_b32 s2, 0
.LBB159_145:
	s_delay_alu instid0(SALU_CYCLE_1)
	s_and_not1_b32 vcc_lo, exec_lo, s2
	s_cbranch_vccnz .LBB159_171
; %bb.146:
	v_cmp_lt_i64_e64 s2, s[0:1], 4
	s_delay_alu instid0(VALU_DEP_1)
	s_and_b32 vcc_lo, exec_lo, s2
	s_mov_b32 s2, -1
	s_cbranch_vccnz .LBB159_159
; %bb.147:
	v_cmp_lt_i64_e64 s2, s[0:1], 6
	s_delay_alu instid0(VALU_DEP_1)
	s_and_b32 vcc_lo, exec_lo, s2
	s_mov_b32 s2, -1
	s_cbranch_vccnz .LBB159_153
; %bb.148:
	v_cmp_gt_i64_e64 s2, s[0:1], 6
	s_delay_alu instid0(VALU_DEP_1)
	s_and_b32 vcc_lo, exec_lo, s2
	s_mov_b32 s2, -1
	s_cbranch_vccz .LBB159_150
; %bb.149:
	v_mov_b32_e32 v0, 0
	s_mov_b32 s2, 0
	global_store_b64 v0, v[16:17], s[10:11]
.LBB159_150:
	s_and_not1_b32 vcc_lo, exec_lo, s2
	s_cbranch_vccnz .LBB159_152
; %bb.151:
	v_mov_b32_e32 v0, 0
	global_store_b64 v0, v[14:15], s[10:11]
.LBB159_152:
	s_mov_b32 s2, 0
.LBB159_153:
	s_delay_alu instid0(SALU_CYCLE_1)
	s_and_not1_b32 vcc_lo, exec_lo, s2
	s_cbranch_vccnz .LBB159_158
; %bb.154:
	v_cmp_gt_i64_e64 s2, s[0:1], 4
	s_delay_alu instid0(VALU_DEP_1)
	s_and_b32 vcc_lo, exec_lo, s2
	s_mov_b32 s2, -1
	s_cbranch_vccz .LBB159_156
; %bb.155:
	v_mov_b32_e32 v0, 0
	s_mov_b32 s2, 0
	global_store_b64 v0, v[12:13], s[10:11]
.LBB159_156:
	s_and_not1_b32 vcc_lo, exec_lo, s2
	s_cbranch_vccnz .LBB159_158
; %bb.157:
	v_mov_b32_e32 v0, 0
	global_store_b64 v0, v[10:11], s[10:11]
.LBB159_158:
	s_mov_b32 s2, 0
.LBB159_159:
	s_delay_alu instid0(SALU_CYCLE_1)
	s_and_not1_b32 vcc_lo, exec_lo, s2
	s_cbranch_vccnz .LBB159_171
; %bb.160:
	v_cmp_lt_i64_e64 s2, s[0:1], 2
	s_delay_alu instid0(VALU_DEP_1)
	s_and_b32 vcc_lo, exec_lo, s2
	s_mov_b32 s2, -1
	s_cbranch_vccnz .LBB159_166
; %bb.161:
	v_cmp_gt_i64_e64 s2, s[0:1], 2
	s_delay_alu instid0(VALU_DEP_1)
	s_and_b32 vcc_lo, exec_lo, s2
	s_mov_b32 s2, -1
	s_cbranch_vccz .LBB159_163
; %bb.162:
	v_mov_b32_e32 v0, 0
	s_mov_b32 s2, 0
	global_store_b64 v0, v[8:9], s[10:11]
.LBB159_163:
	s_and_not1_b32 vcc_lo, exec_lo, s2
	s_cbranch_vccnz .LBB159_165
; %bb.164:
	v_mov_b32_e32 v0, 0
	global_store_b64 v0, v[6:7], s[10:11]
.LBB159_165:
	s_mov_b32 s2, 0
.LBB159_166:
	s_delay_alu instid0(SALU_CYCLE_1)
	s_and_not1_b32 vcc_lo, exec_lo, s2
	s_cbranch_vccnz .LBB159_171
; %bb.167:
	s_cmp_eq_u64 s[0:1], 1
	s_mov_b32 s0, -1
	s_cbranch_scc1 .LBB159_169
; %bb.168:
	v_mov_b32_e32 v0, 0
	s_mov_b32 s0, 0
	global_store_b64 v0, v[4:5], s[10:11]
.LBB159_169:
	s_and_not1_b32 vcc_lo, exec_lo, s0
	s_cbranch_vccnz .LBB159_171
; %bb.170:
	v_mov_b32_e32 v0, 0
	global_store_b64 v0, v[2:3], s[10:11]
.LBB159_171:
	s_nop 0
	s_sendmsg sendmsg(MSG_DEALLOC_VGPRS)
	s_endpgm
.LBB159_172:
	global_load_b64 v[33:34], v[35:36], off
	v_dual_mov_b32 v1, s36 :: v_dual_mov_b32 v2, s37
	v_dual_mov_b32 v3, s38 :: v_dual_mov_b32 v4, s39
	;; [unrolled: 1-line block ×16, first 2 shown]
	s_or_b32 exec_lo, exec_lo, s3
	s_delay_alu instid0(SALU_CYCLE_1)
	s_mov_b32 s2, exec_lo
	v_cmpx_gt_u32_e64 s14, v81
	s_cbranch_execz .LBB159_5
.LBB159_173:
	global_load_b64 v[3:4], v[35:36], off offset:2048
	s_or_b32 exec_lo, exec_lo, s2
	s_delay_alu instid0(SALU_CYCLE_1)
	s_mov_b32 s2, exec_lo
	v_cmpx_gt_u32_e64 s14, v80
	s_cbranch_execz .LBB159_6
.LBB159_174:
	v_add_co_u32 v1, vcc_lo, 0x1000, v35
	v_add_co_ci_u32_e32 v2, vcc_lo, 0, v36, vcc_lo
	global_load_b64 v[5:6], v[1:2], off
	s_or_b32 exec_lo, exec_lo, s2
	s_delay_alu instid0(SALU_CYCLE_1)
	s_mov_b32 s2, exec_lo
	v_cmpx_gt_u32_e64 s14, v79
	s_cbranch_execz .LBB159_7
.LBB159_175:
	v_add_co_u32 v1, vcc_lo, 0x1000, v35
	v_add_co_ci_u32_e32 v2, vcc_lo, 0, v36, vcc_lo
	global_load_b64 v[7:8], v[1:2], off offset:2048
	s_or_b32 exec_lo, exec_lo, s2
	s_delay_alu instid0(SALU_CYCLE_1)
	s_mov_b32 s2, exec_lo
	v_cmpx_gt_u32_e64 s14, v78
	s_cbranch_execz .LBB159_8
.LBB159_176:
	v_add_co_u32 v1, vcc_lo, 0x2000, v35
	v_add_co_ci_u32_e32 v2, vcc_lo, 0, v36, vcc_lo
	global_load_b64 v[9:10], v[1:2], off
	s_or_b32 exec_lo, exec_lo, s2
	s_delay_alu instid0(SALU_CYCLE_1)
	s_mov_b32 s2, exec_lo
	v_cmpx_gt_u32_e64 s14, v77
	s_cbranch_execz .LBB159_9
.LBB159_177:
	v_add_co_u32 v1, vcc_lo, 0x2000, v35
	v_add_co_ci_u32_e32 v2, vcc_lo, 0, v36, vcc_lo
	global_load_b64 v[11:12], v[1:2], off offset:2048
	s_or_b32 exec_lo, exec_lo, s2
	s_delay_alu instid0(SALU_CYCLE_1)
	s_mov_b32 s2, exec_lo
	v_cmpx_gt_u32_e64 s14, v76
	s_cbranch_execz .LBB159_10
.LBB159_178:
	v_add_co_u32 v1, vcc_lo, 0x3000, v35
	v_add_co_ci_u32_e32 v2, vcc_lo, 0, v36, vcc_lo
	global_load_b64 v[13:14], v[1:2], off
	s_or_b32 exec_lo, exec_lo, s2
	s_delay_alu instid0(SALU_CYCLE_1)
	s_mov_b32 s2, exec_lo
	v_cmpx_gt_u32_e64 s14, v75
	s_cbranch_execz .LBB159_11
.LBB159_179:
	v_add_co_u32 v1, vcc_lo, 0x3000, v35
	v_add_co_ci_u32_e32 v2, vcc_lo, 0, v36, vcc_lo
	global_load_b64 v[15:16], v[1:2], off offset:2048
	s_or_b32 exec_lo, exec_lo, s2
	s_delay_alu instid0(SALU_CYCLE_1)
	s_mov_b32 s2, exec_lo
	v_cmpx_gt_u32_e64 s14, v74
	s_cbranch_execz .LBB159_12
.LBB159_180:
	v_add_co_u32 v1, vcc_lo, 0x4000, v35
	v_add_co_ci_u32_e32 v2, vcc_lo, 0, v36, vcc_lo
	global_load_b64 v[17:18], v[1:2], off
	s_or_b32 exec_lo, exec_lo, s2
	s_delay_alu instid0(SALU_CYCLE_1)
	s_mov_b32 s2, exec_lo
	v_cmpx_gt_u32_e64 s14, v73
	s_cbranch_execz .LBB159_13
.LBB159_181:
	v_add_co_u32 v1, vcc_lo, 0x4000, v35
	v_add_co_ci_u32_e32 v2, vcc_lo, 0, v36, vcc_lo
	global_load_b64 v[19:20], v[1:2], off offset:2048
	s_or_b32 exec_lo, exec_lo, s2
	s_delay_alu instid0(SALU_CYCLE_1)
	s_mov_b32 s2, exec_lo
	v_cmpx_gt_u32_e64 s14, v72
	s_cbranch_execz .LBB159_14
.LBB159_182:
	v_add_co_u32 v1, vcc_lo, 0x5000, v35
	v_add_co_ci_u32_e32 v2, vcc_lo, 0, v36, vcc_lo
	global_load_b64 v[21:22], v[1:2], off
	s_or_b32 exec_lo, exec_lo, s2
	s_delay_alu instid0(SALU_CYCLE_1)
	s_mov_b32 s2, exec_lo
	v_cmpx_gt_u32_e64 s14, v71
	s_cbranch_execz .LBB159_15
.LBB159_183:
	v_add_co_u32 v1, vcc_lo, 0x5000, v35
	v_add_co_ci_u32_e32 v2, vcc_lo, 0, v36, vcc_lo
	global_load_b64 v[23:24], v[1:2], off offset:2048
	s_or_b32 exec_lo, exec_lo, s2
	s_delay_alu instid0(SALU_CYCLE_1)
	s_mov_b32 s2, exec_lo
	v_cmpx_gt_u32_e64 s14, v70
	s_cbranch_execz .LBB159_16
.LBB159_184:
	v_add_co_u32 v1, vcc_lo, 0x6000, v35
	v_add_co_ci_u32_e32 v2, vcc_lo, 0, v36, vcc_lo
	global_load_b64 v[25:26], v[1:2], off
	s_or_b32 exec_lo, exec_lo, s2
	s_delay_alu instid0(SALU_CYCLE_1)
	s_mov_b32 s2, exec_lo
	v_cmpx_gt_u32_e64 s14, v69
	s_cbranch_execz .LBB159_17
.LBB159_185:
	v_add_co_u32 v1, vcc_lo, 0x6000, v35
	v_add_co_ci_u32_e32 v2, vcc_lo, 0, v36, vcc_lo
	global_load_b64 v[27:28], v[1:2], off offset:2048
	s_or_b32 exec_lo, exec_lo, s2
	s_delay_alu instid0(SALU_CYCLE_1)
	s_mov_b32 s2, exec_lo
	v_cmpx_gt_u32_e64 s14, v68
	s_cbranch_execz .LBB159_18
.LBB159_186:
	v_add_co_u32 v1, vcc_lo, 0x7000, v35
	v_add_co_ci_u32_e32 v2, vcc_lo, 0, v36, vcc_lo
	global_load_b64 v[29:30], v[1:2], off
	s_or_b32 exec_lo, exec_lo, s2
	s_delay_alu instid0(SALU_CYCLE_1)
	s_mov_b32 s2, exec_lo
	v_cmpx_gt_u32_e64 s14, v67
	s_cbranch_execnz .LBB159_19
	s_branch .LBB159_20
.LBB159_187:
	s_waitcnt lgkmcnt(15)
	global_store_b64 v[34:35], v[4:5], off
	s_or_b32 exec_lo, exec_lo, s2
	s_delay_alu instid0(SALU_CYCLE_1)
	s_mov_b32 s2, exec_lo
	v_cmpx_gt_u32_e64 s14, v81
	s_cbranch_execz .LBB159_101
.LBB159_188:
	s_waitcnt lgkmcnt(14)
	global_store_b64 v[34:35], v[2:3], off offset:2048
	s_or_b32 exec_lo, exec_lo, s2
	s_delay_alu instid0(SALU_CYCLE_1)
	s_mov_b32 s2, exec_lo
	v_cmpx_gt_u32_e64 s14, v80
	s_cbranch_execz .LBB159_102
.LBB159_189:
	v_add_co_u32 v36, vcc_lo, 0x1000, v34
	v_add_co_ci_u32_e32 v37, vcc_lo, 0, v35, vcc_lo
	s_waitcnt lgkmcnt(13)
	global_store_b64 v[36:37], v[6:7], off
	s_or_b32 exec_lo, exec_lo, s2
	s_delay_alu instid0(SALU_CYCLE_1)
	s_mov_b32 s2, exec_lo
	v_cmpx_gt_u32_e64 s14, v79
	s_cbranch_execz .LBB159_103
.LBB159_190:
	v_add_co_u32 v36, vcc_lo, 0x1000, v34
	v_add_co_ci_u32_e32 v37, vcc_lo, 0, v35, vcc_lo
	s_waitcnt lgkmcnt(12)
	global_store_b64 v[36:37], v[8:9], off offset:2048
	s_or_b32 exec_lo, exec_lo, s2
	s_delay_alu instid0(SALU_CYCLE_1)
	s_mov_b32 s2, exec_lo
	v_cmpx_gt_u32_e64 s14, v78
	s_cbranch_execz .LBB159_104
.LBB159_191:
	v_add_co_u32 v36, vcc_lo, 0x2000, v34
	v_add_co_ci_u32_e32 v37, vcc_lo, 0, v35, vcc_lo
	s_waitcnt lgkmcnt(11)
	global_store_b64 v[36:37], v[10:11], off
	s_or_b32 exec_lo, exec_lo, s2
	s_delay_alu instid0(SALU_CYCLE_1)
	s_mov_b32 s2, exec_lo
	v_cmpx_gt_u32_e64 s14, v77
	s_cbranch_execz .LBB159_105
.LBB159_192:
	v_add_co_u32 v36, vcc_lo, 0x2000, v34
	v_add_co_ci_u32_e32 v37, vcc_lo, 0, v35, vcc_lo
	s_waitcnt lgkmcnt(10)
	global_store_b64 v[36:37], v[12:13], off offset:2048
	s_or_b32 exec_lo, exec_lo, s2
	s_delay_alu instid0(SALU_CYCLE_1)
	s_mov_b32 s2, exec_lo
	v_cmpx_gt_u32_e64 s14, v76
	s_cbranch_execz .LBB159_106
.LBB159_193:
	v_add_co_u32 v36, vcc_lo, 0x3000, v34
	v_add_co_ci_u32_e32 v37, vcc_lo, 0, v35, vcc_lo
	s_waitcnt lgkmcnt(9)
	global_store_b64 v[36:37], v[14:15], off
	s_or_b32 exec_lo, exec_lo, s2
	s_delay_alu instid0(SALU_CYCLE_1)
	s_mov_b32 s2, exec_lo
	v_cmpx_gt_u32_e64 s14, v75
	s_cbranch_execz .LBB159_107
.LBB159_194:
	v_add_co_u32 v36, vcc_lo, 0x3000, v34
	v_add_co_ci_u32_e32 v37, vcc_lo, 0, v35, vcc_lo
	s_waitcnt lgkmcnt(8)
	global_store_b64 v[36:37], v[16:17], off offset:2048
	s_or_b32 exec_lo, exec_lo, s2
	s_delay_alu instid0(SALU_CYCLE_1)
	s_mov_b32 s2, exec_lo
	v_cmpx_gt_u32_e64 s14, v74
	s_cbranch_execz .LBB159_108
.LBB159_195:
	v_add_co_u32 v36, vcc_lo, 0x4000, v34
	v_add_co_ci_u32_e32 v37, vcc_lo, 0, v35, vcc_lo
	s_waitcnt lgkmcnt(7)
	global_store_b64 v[36:37], v[18:19], off
	s_or_b32 exec_lo, exec_lo, s2
	s_delay_alu instid0(SALU_CYCLE_1)
	s_mov_b32 s2, exec_lo
	v_cmpx_gt_u32_e64 s14, v73
	s_cbranch_execz .LBB159_109
.LBB159_196:
	v_add_co_u32 v36, vcc_lo, 0x4000, v34
	v_add_co_ci_u32_e32 v37, vcc_lo, 0, v35, vcc_lo
	s_waitcnt lgkmcnt(6)
	global_store_b64 v[36:37], v[20:21], off offset:2048
	s_or_b32 exec_lo, exec_lo, s2
	s_delay_alu instid0(SALU_CYCLE_1)
	s_mov_b32 s2, exec_lo
	v_cmpx_gt_u32_e64 s14, v72
	s_cbranch_execz .LBB159_110
.LBB159_197:
	v_add_co_u32 v36, vcc_lo, 0x5000, v34
	v_add_co_ci_u32_e32 v37, vcc_lo, 0, v35, vcc_lo
	s_waitcnt lgkmcnt(5)
	global_store_b64 v[36:37], v[22:23], off
	s_or_b32 exec_lo, exec_lo, s2
	s_delay_alu instid0(SALU_CYCLE_1)
	s_mov_b32 s2, exec_lo
	v_cmpx_gt_u32_e64 s14, v71
	s_cbranch_execz .LBB159_111
.LBB159_198:
	v_add_co_u32 v36, vcc_lo, 0x5000, v34
	v_add_co_ci_u32_e32 v37, vcc_lo, 0, v35, vcc_lo
	s_waitcnt lgkmcnt(4)
	global_store_b64 v[36:37], v[24:25], off offset:2048
	s_or_b32 exec_lo, exec_lo, s2
	s_delay_alu instid0(SALU_CYCLE_1)
	s_mov_b32 s2, exec_lo
	v_cmpx_gt_u32_e64 s14, v70
	s_cbranch_execz .LBB159_112
.LBB159_199:
	v_add_co_u32 v36, vcc_lo, 0x6000, v34
	v_add_co_ci_u32_e32 v37, vcc_lo, 0, v35, vcc_lo
	s_waitcnt lgkmcnt(3)
	global_store_b64 v[36:37], v[26:27], off
	s_or_b32 exec_lo, exec_lo, s2
	s_delay_alu instid0(SALU_CYCLE_1)
	s_mov_b32 s2, exec_lo
	v_cmpx_gt_u32_e64 s14, v69
	s_cbranch_execz .LBB159_113
.LBB159_200:
	v_add_co_u32 v36, vcc_lo, 0x6000, v34
	v_add_co_ci_u32_e32 v37, vcc_lo, 0, v35, vcc_lo
	s_waitcnt lgkmcnt(2)
	global_store_b64 v[36:37], v[28:29], off offset:2048
	s_or_b32 exec_lo, exec_lo, s2
	s_delay_alu instid0(SALU_CYCLE_1)
	s_mov_b32 s2, exec_lo
	v_cmpx_gt_u32_e64 s14, v68
	s_cbranch_execz .LBB159_114
.LBB159_201:
	v_add_co_u32 v36, vcc_lo, 0x7000, v34
	v_add_co_ci_u32_e32 v37, vcc_lo, 0, v35, vcc_lo
	s_waitcnt lgkmcnt(1)
	global_store_b64 v[36:37], v[30:31], off
	s_or_b32 exec_lo, exec_lo, s2
	s_delay_alu instid0(SALU_CYCLE_1)
	s_mov_b32 s2, exec_lo
	v_cmpx_gt_u32_e64 s14, v67
	s_cbranch_execnz .LBB159_115
	s_branch .LBB159_116
	.section	.rodata,"a",@progbits
	.p2align	6, 0x0
	.amdhsa_kernel _ZN7rocprim6detail20lookback_scan_kernelILNS0_25lookback_scan_determinismE0ELb1ENS0_19wrapped_scan_configINS_14default_configEyEEN6hipcub22TransformInputIteratorIyNS6_6CastOpIyEEPylEESA_NS6_3MinENS_12future_valueIySA_EEyNS0_19lookback_scan_stateIyLb0ELb1EEEEEvT2_T3_mT5_T4_T7_jPT6_SN_bb
		.amdhsa_group_segment_fixed_size 33792
		.amdhsa_private_segment_fixed_size 0
		.amdhsa_kernarg_size 84
		.amdhsa_user_sgpr_count 15
		.amdhsa_user_sgpr_dispatch_ptr 0
		.amdhsa_user_sgpr_queue_ptr 0
		.amdhsa_user_sgpr_kernarg_segment_ptr 1
		.amdhsa_user_sgpr_dispatch_id 0
		.amdhsa_user_sgpr_private_segment_size 0
		.amdhsa_wavefront_size32 1
		.amdhsa_uses_dynamic_stack 0
		.amdhsa_enable_private_segment 0
		.amdhsa_system_sgpr_workgroup_id_x 1
		.amdhsa_system_sgpr_workgroup_id_y 0
		.amdhsa_system_sgpr_workgroup_id_z 0
		.amdhsa_system_sgpr_workgroup_info 0
		.amdhsa_system_vgpr_workitem_id 0
		.amdhsa_next_free_vgpr 96
		.amdhsa_next_free_sgpr 68
		.amdhsa_reserve_vcc 1
		.amdhsa_float_round_mode_32 0
		.amdhsa_float_round_mode_16_64 0
		.amdhsa_float_denorm_mode_32 3
		.amdhsa_float_denorm_mode_16_64 3
		.amdhsa_dx10_clamp 1
		.amdhsa_ieee_mode 1
		.amdhsa_fp16_overflow 0
		.amdhsa_workgroup_processor_mode 1
		.amdhsa_memory_ordered 1
		.amdhsa_forward_progress 0
		.amdhsa_shared_vgpr_count 0
		.amdhsa_exception_fp_ieee_invalid_op 0
		.amdhsa_exception_fp_denorm_src 0
		.amdhsa_exception_fp_ieee_div_zero 0
		.amdhsa_exception_fp_ieee_overflow 0
		.amdhsa_exception_fp_ieee_underflow 0
		.amdhsa_exception_fp_ieee_inexact 0
		.amdhsa_exception_int_div_zero 0
	.end_amdhsa_kernel
	.section	.text._ZN7rocprim6detail20lookback_scan_kernelILNS0_25lookback_scan_determinismE0ELb1ENS0_19wrapped_scan_configINS_14default_configEyEEN6hipcub22TransformInputIteratorIyNS6_6CastOpIyEEPylEESA_NS6_3MinENS_12future_valueIySA_EEyNS0_19lookback_scan_stateIyLb0ELb1EEEEEvT2_T3_mT5_T4_T7_jPT6_SN_bb,"axG",@progbits,_ZN7rocprim6detail20lookback_scan_kernelILNS0_25lookback_scan_determinismE0ELb1ENS0_19wrapped_scan_configINS_14default_configEyEEN6hipcub22TransformInputIteratorIyNS6_6CastOpIyEEPylEESA_NS6_3MinENS_12future_valueIySA_EEyNS0_19lookback_scan_stateIyLb0ELb1EEEEEvT2_T3_mT5_T4_T7_jPT6_SN_bb,comdat
.Lfunc_end159:
	.size	_ZN7rocprim6detail20lookback_scan_kernelILNS0_25lookback_scan_determinismE0ELb1ENS0_19wrapped_scan_configINS_14default_configEyEEN6hipcub22TransformInputIteratorIyNS6_6CastOpIyEEPylEESA_NS6_3MinENS_12future_valueIySA_EEyNS0_19lookback_scan_stateIyLb0ELb1EEEEEvT2_T3_mT5_T4_T7_jPT6_SN_bb, .Lfunc_end159-_ZN7rocprim6detail20lookback_scan_kernelILNS0_25lookback_scan_determinismE0ELb1ENS0_19wrapped_scan_configINS_14default_configEyEEN6hipcub22TransformInputIteratorIyNS6_6CastOpIyEEPylEESA_NS6_3MinENS_12future_valueIySA_EEyNS0_19lookback_scan_stateIyLb0ELb1EEEEEvT2_T3_mT5_T4_T7_jPT6_SN_bb
                                        ; -- End function
	.section	.AMDGPU.csdata,"",@progbits
; Kernel info:
; codeLenInByte = 11116
; NumSgprs: 70
; NumVgprs: 96
; ScratchSize: 0
; MemoryBound: 1
; FloatMode: 240
; IeeeMode: 1
; LDSByteSize: 33792 bytes/workgroup (compile time only)
; SGPRBlocks: 8
; VGPRBlocks: 11
; NumSGPRsForWavesPerEU: 70
; NumVGPRsForWavesPerEU: 96
; Occupancy: 6
; WaveLimiterHint : 1
; COMPUTE_PGM_RSRC2:SCRATCH_EN: 0
; COMPUTE_PGM_RSRC2:USER_SGPR: 15
; COMPUTE_PGM_RSRC2:TRAP_HANDLER: 0
; COMPUTE_PGM_RSRC2:TGID_X_EN: 1
; COMPUTE_PGM_RSRC2:TGID_Y_EN: 0
; COMPUTE_PGM_RSRC2:TGID_Z_EN: 0
; COMPUTE_PGM_RSRC2:TIDIG_COMP_CNT: 0
	.section	.text._ZN7rocprim6detail18single_scan_kernelILb1ENS0_19wrapped_scan_configINS_14default_configEyEEN6hipcub22TransformInputIteratorIyNS5_6CastOpIyEEPylEES9_NS5_3MinENS_12future_valueIyS9_EEyEEvT1_mT4_T2_T3_,"axG",@progbits,_ZN7rocprim6detail18single_scan_kernelILb1ENS0_19wrapped_scan_configINS_14default_configEyEEN6hipcub22TransformInputIteratorIyNS5_6CastOpIyEEPylEES9_NS5_3MinENS_12future_valueIyS9_EEyEEvT1_mT4_T2_T3_,comdat
	.protected	_ZN7rocprim6detail18single_scan_kernelILb1ENS0_19wrapped_scan_configINS_14default_configEyEEN6hipcub22TransformInputIteratorIyNS5_6CastOpIyEEPylEES9_NS5_3MinENS_12future_valueIyS9_EEyEEvT1_mT4_T2_T3_ ; -- Begin function _ZN7rocprim6detail18single_scan_kernelILb1ENS0_19wrapped_scan_configINS_14default_configEyEEN6hipcub22TransformInputIteratorIyNS5_6CastOpIyEEPylEES9_NS5_3MinENS_12future_valueIyS9_EEyEEvT1_mT4_T2_T3_
	.globl	_ZN7rocprim6detail18single_scan_kernelILb1ENS0_19wrapped_scan_configINS_14default_configEyEEN6hipcub22TransformInputIteratorIyNS5_6CastOpIyEEPylEES9_NS5_3MinENS_12future_valueIyS9_EEyEEvT1_mT4_T2_T3_
	.p2align	8
	.type	_ZN7rocprim6detail18single_scan_kernelILb1ENS0_19wrapped_scan_configINS_14default_configEyEEN6hipcub22TransformInputIteratorIyNS5_6CastOpIyEEPylEES9_NS5_3MinENS_12future_valueIyS9_EEyEEvT1_mT4_T2_T3_,@function
_ZN7rocprim6detail18single_scan_kernelILb1ENS0_19wrapped_scan_configINS_14default_configEyEEN6hipcub22TransformInputIteratorIyNS5_6CastOpIyEEPylEES9_NS5_3MinENS_12future_valueIyS9_EEyEEvT1_mT4_T2_T3_: ; @_ZN7rocprim6detail18single_scan_kernelILb1ENS0_19wrapped_scan_configINS_14default_configEyEEN6hipcub22TransformInputIteratorIyNS5_6CastOpIyEEPylEES9_NS5_3MinENS_12future_valueIyS9_EEyEEvT1_mT4_T2_T3_
; %bb.0:
	s_clause 0x1
	s_load_b64 s[2:3], s[0:1], 0x0
	s_load_b128 s[20:23], s[0:1], 0x10
	s_waitcnt lgkmcnt(0)
	s_load_b64 s[36:37], s[2:3], 0x0
	v_cmp_gt_u32_e32 vcc_lo, s20, v0
	s_waitcnt lgkmcnt(0)
	s_mov_b32 s38, s36
	s_mov_b32 s39, s37
	;; [unrolled: 1-line block ×30, first 2 shown]
	v_lshlrev_b32_e32 v53, 3, v0
	v_dual_mov_b32 v1, s36 :: v_dual_mov_b32 v4, s39
	v_dual_mov_b32 v2, s37 :: v_dual_mov_b32 v33, s36
	s_delay_alu instid0(VALU_DEP_3) | instskip(NEXT) | instid1(VALU_DEP_1)
	v_add_co_u32 v35, s2, s2, v53
	v_add_co_ci_u32_e64 v36, null, s3, 0, s2
	v_dual_mov_b32 v3, s38 :: v_dual_mov_b32 v6, s41
	v_dual_mov_b32 v5, s40 :: v_dual_mov_b32 v8, s43
	;; [unrolled: 1-line block ×15, first 2 shown]
	s_and_saveexec_b32 s2, vcc_lo
	s_cbranch_execz .LBB160_2
; %bb.1:
	global_load_b64 v[33:34], v[35:36], off
	v_dual_mov_b32 v1, s36 :: v_dual_mov_b32 v2, s37
	v_dual_mov_b32 v3, s38 :: v_dual_mov_b32 v4, s39
	v_dual_mov_b32 v5, s40 :: v_dual_mov_b32 v6, s41
	v_dual_mov_b32 v7, s42 :: v_dual_mov_b32 v8, s43
	v_dual_mov_b32 v9, s44 :: v_dual_mov_b32 v10, s45
	v_dual_mov_b32 v11, s46 :: v_dual_mov_b32 v12, s47
	v_dual_mov_b32 v13, s48 :: v_dual_mov_b32 v14, s49
	v_dual_mov_b32 v15, s50 :: v_dual_mov_b32 v16, s51
	v_dual_mov_b32 v17, s52 :: v_dual_mov_b32 v18, s53
	v_dual_mov_b32 v19, s54 :: v_dual_mov_b32 v20, s55
	v_dual_mov_b32 v21, s56 :: v_dual_mov_b32 v22, s57
	v_dual_mov_b32 v23, s58 :: v_dual_mov_b32 v24, s59
	v_dual_mov_b32 v25, s60 :: v_dual_mov_b32 v26, s61
	v_dual_mov_b32 v27, s62 :: v_dual_mov_b32 v28, s63
	v_dual_mov_b32 v29, s64 :: v_dual_mov_b32 v30, s65
	v_dual_mov_b32 v31, s66 :: v_dual_mov_b32 v32, s67
.LBB160_2:
	s_or_b32 exec_lo, exec_lo, s2
	v_or_b32_e32 v1, 0x100, v0
	s_delay_alu instid0(VALU_DEP_1) | instskip(NEXT) | instid1(VALU_DEP_1)
	v_cmp_gt_u32_e64 s2, s20, v1
	s_and_saveexec_b32 s3, s2
	s_cbranch_execz .LBB160_4
; %bb.3:
	global_load_b64 v[3:4], v[35:36], off offset:2048
.LBB160_4:
	s_or_b32 exec_lo, exec_lo, s3
	v_or_b32_e32 v2, 0x200, v0
	s_delay_alu instid0(VALU_DEP_1) | instskip(NEXT) | instid1(VALU_DEP_1)
	v_cmp_gt_u32_e64 s3, s20, v2
	s_and_saveexec_b32 s5, s3
	s_cbranch_execz .LBB160_6
; %bb.5:
	v_add_co_u32 v5, s4, 0x1000, v35
	s_delay_alu instid0(VALU_DEP_1)
	v_add_co_ci_u32_e64 v6, s4, 0, v36, s4
	global_load_b64 v[5:6], v[5:6], off
.LBB160_6:
	s_or_b32 exec_lo, exec_lo, s5
	v_or_b32_e32 v37, 0x300, v0
	s_delay_alu instid0(VALU_DEP_1) | instskip(NEXT) | instid1(VALU_DEP_1)
	v_cmp_gt_u32_e64 s4, s20, v37
	s_and_saveexec_b32 s6, s4
	s_cbranch_execz .LBB160_8
; %bb.7:
	v_add_co_u32 v7, s5, 0x1000, v35
	s_delay_alu instid0(VALU_DEP_1)
	v_add_co_ci_u32_e64 v8, s5, 0, v36, s5
	global_load_b64 v[7:8], v[7:8], off offset:2048
.LBB160_8:
	s_or_b32 exec_lo, exec_lo, s6
	v_or_b32_e32 v38, 0x400, v0
	s_delay_alu instid0(VALU_DEP_1) | instskip(NEXT) | instid1(VALU_DEP_1)
	v_cmp_gt_u32_e64 s5, s20, v38
	s_and_saveexec_b32 s7, s5
	s_cbranch_execz .LBB160_10
; %bb.9:
	v_add_co_u32 v9, s6, 0x2000, v35
	s_delay_alu instid0(VALU_DEP_1)
	v_add_co_ci_u32_e64 v10, s6, 0, v36, s6
	global_load_b64 v[9:10], v[9:10], off
.LBB160_10:
	s_or_b32 exec_lo, exec_lo, s7
	v_or_b32_e32 v39, 0x500, v0
	s_delay_alu instid0(VALU_DEP_1) | instskip(NEXT) | instid1(VALU_DEP_1)
	v_cmp_gt_u32_e64 s6, s20, v39
	s_and_saveexec_b32 s8, s6
	s_cbranch_execz .LBB160_12
; %bb.11:
	v_add_co_u32 v11, s7, 0x2000, v35
	s_delay_alu instid0(VALU_DEP_1)
	v_add_co_ci_u32_e64 v12, s7, 0, v36, s7
	global_load_b64 v[11:12], v[11:12], off offset:2048
.LBB160_12:
	;; [unrolled: 24-line block ×6, first 2 shown]
	s_or_b32 exec_lo, exec_lo, s16
	v_or_b32_e32 v48, 0xe00, v0
	s_delay_alu instid0(VALU_DEP_1) | instskip(NEXT) | instid1(VALU_DEP_1)
	v_cmp_gt_u32_e64 s15, s20, v48
	s_and_saveexec_b32 s17, s15
	s_cbranch_execz .LBB160_30
; %bb.29:
	v_add_co_u32 v29, s16, 0x7000, v35
	s_delay_alu instid0(VALU_DEP_1)
	v_add_co_ci_u32_e64 v30, s16, 0, v36, s16
	global_load_b64 v[29:30], v[29:30], off
.LBB160_30:
	s_or_b32 exec_lo, exec_lo, s17
	s_load_b64 s[16:17], s[0:1], 0x20
	v_or_b32_e32 v49, 0xf00, v0
	s_delay_alu instid0(VALU_DEP_1) | instskip(NEXT) | instid1(VALU_DEP_1)
	v_cmp_gt_u32_e64 s0, s20, v49
	s_and_saveexec_b32 s18, s0
	s_cbranch_execz .LBB160_32
; %bb.31:
	v_add_co_u32 v31, s1, 0x7000, v35
	s_delay_alu instid0(VALU_DEP_1)
	v_add_co_ci_u32_e64 v32, s1, 0, v36, s1
	global_load_b64 v[31:32], v[31:32], off offset:2048
.LBB160_32:
	s_or_b32 exec_lo, exec_lo, s18
	v_lshrrev_b32_e32 v1, 2, v1
	v_lshrrev_b32_e32 v2, 2, v2
	;; [unrolled: 1-line block ×5, first 2 shown]
	v_and_b32_e32 v1, 0x78, v1
	v_lshrrev_b32_e32 v38, 2, v39
	s_load_b64 s[18:19], s[22:23], 0x0
	v_and_b32_e32 v35, 56, v35
	s_mov_b32 s20, exec_lo
	v_add_nc_u32_e32 v55, v1, v53
	v_and_b32_e32 v1, 0xf8, v2
	v_and_b32_e32 v2, 0xf8, v36
	v_add_nc_u32_e32 v54, v35, v53
	v_and_b32_e32 v35, 0x1f8, v37
	s_waitcnt vmcnt(0)
	ds_store_b64 v54, v[33:34]
	ds_store_b64 v55, v[3:4] offset:2048
	v_add_nc_u32_e32 v56, v1, v53
	v_and_b32_e32 v1, 0x1f8, v38
	v_add_nc_u32_e32 v57, v2, v53
	v_lshrrev_b32_e32 v2, 2, v40
	v_lshrrev_b32_e32 v3, 2, v42
	;; [unrolled: 1-line block ×3, first 2 shown]
	v_add_nc_u32_e32 v59, v1, v53
	v_add_nc_u32_e32 v58, v35, v53
	v_and_b32_e32 v1, 0x1f8, v2
	v_lshrrev_b32_e32 v2, 2, v41
	v_and_b32_e32 v3, 0x3f8, v3
	v_and_b32_e32 v4, 0x3f8, v4
	ds_store_b64 v56, v[5:6] offset:4096
	v_add_nc_u32_e32 v60, v1, v53
	v_and_b32_e32 v1, 0x1f8, v2
	v_lshrrev_b32_e32 v2, 2, v44
	v_add_nc_u32_e32 v62, v3, v53
	v_lshrrev_b32_e32 v3, 2, v47
	v_add_nc_u32_e32 v63, v4, v53
	v_add_nc_u32_e32 v61, v1, v53
	v_and_b32_e32 v1, 0x3f8, v2
	v_lshrrev_b32_e32 v2, 2, v45
	v_and_b32_e32 v3, 0x3f8, v3
	v_lshrrev_b32_e32 v4, 2, v48
	ds_store_b64 v57, v[7:8] offset:6144
	ds_store_b64 v58, v[9:10] offset:8192
	v_add_nc_u32_e32 v64, v1, v53
	v_and_b32_e32 v1, 0x3f8, v2
	v_lshrrev_b32_e32 v2, 2, v46
	v_add_nc_u32_e32 v67, v3, v53
	v_lshrrev_b32_e32 v3, 1, v0
	v_and_b32_e32 v4, 0x3f8, v4
	v_add_nc_u32_e32 v65, v1, v53
	v_and_b32_e32 v1, 0x3f8, v2
	v_lshrrev_b32_e32 v2, 2, v49
	ds_store_b64 v59, v[11:12] offset:10240
	v_add_nc_u32_e32 v68, v4, v53
	ds_store_b64 v60, v[13:14] offset:12288
	v_add_nc_u32_e32 v66, v1, v53
	v_and_b32_e32 v1, 0x3f8, v2
	v_lshlrev_b32_e32 v2, 4, v0
	ds_store_b64 v61, v[15:16] offset:14336
	ds_store_b64 v62, v[17:18] offset:16384
	;; [unrolled: 1-line block ×4, first 2 shown]
	v_add_nc_u32_e32 v69, v1, v53
	v_add_lshl_u32 v70, v3, v2, 3
	ds_store_b64 v65, v[23:24] offset:22528
	ds_store_b64 v66, v[25:26] offset:24576
	;; [unrolled: 1-line block ×5, first 2 shown]
	s_waitcnt lgkmcnt(0)
	s_barrier
	buffer_gl0_inv
	ds_load_2addr_b64 v[5:8], v70 offset1:1
	ds_load_2addr_b64 v[1:4], v70 offset0:2 offset1:3
	ds_load_2addr_b64 v[17:20], v70 offset0:4 offset1:5
	;; [unrolled: 1-line block ×6, first 2 shown]
	s_waitcnt lgkmcnt(6)
	v_cmp_lt_u64_e64 s1, v[5:6], v[7:8]
	s_delay_alu instid0(VALU_DEP_1) | instskip(SKIP_2) | instid1(VALU_DEP_1)
	v_cndmask_b32_e64 v10, v8, v6, s1
	v_cndmask_b32_e64 v9, v7, v5, s1
	s_waitcnt lgkmcnt(5)
	v_cmp_lt_u64_e64 s1, v[9:10], v[1:2]
	s_delay_alu instid0(VALU_DEP_1) | instskip(SKIP_1) | instid1(VALU_DEP_1)
	v_cndmask_b32_e64 v10, v2, v10, s1
	v_cndmask_b32_e64 v9, v1, v9, s1
	v_cmp_lt_u64_e64 s1, v[9:10], v[3:4]
	s_delay_alu instid0(VALU_DEP_1) | instskip(SKIP_2) | instid1(VALU_DEP_1)
	v_cndmask_b32_e64 v10, v4, v10, s1
	v_cndmask_b32_e64 v9, v3, v9, s1
	s_waitcnt lgkmcnt(4)
	v_cmp_lt_u64_e64 s1, v[9:10], v[17:18]
	s_delay_alu instid0(VALU_DEP_1) | instskip(SKIP_1) | instid1(VALU_DEP_1)
	v_cndmask_b32_e64 v10, v18, v10, s1
	v_cndmask_b32_e64 v9, v17, v9, s1
	;; [unrolled: 9-line block ×5, first 2 shown]
	v_cmp_lt_u64_e64 s1, v[9:10], v[23:24]
	s_delay_alu instid0(VALU_DEP_1)
	v_cndmask_b32_e64 v34, v24, v10, s1
	v_cndmask_b32_e64 v33, v23, v9, s1
	ds_load_2addr_b64 v[9:12], v70 offset0:14 offset1:15
	s_waitcnt lgkmcnt(0)
	s_barrier
	buffer_gl0_inv
	v_cmp_lt_u64_e64 s1, v[33:34], v[29:30]
	s_delay_alu instid0(VALU_DEP_1) | instskip(SKIP_1) | instid1(VALU_DEP_1)
	v_cndmask_b32_e64 v34, v30, v34, s1
	v_cndmask_b32_e64 v33, v29, v33, s1
	v_cmp_lt_u64_e64 s1, v[33:34], v[31:32]
	s_delay_alu instid0(VALU_DEP_1) | instskip(SKIP_1) | instid1(VALU_DEP_1)
	v_cndmask_b32_e64 v34, v32, v34, s1
	v_cndmask_b32_e64 v33, v31, v33, s1
	;; [unrolled: 4-line block ×3, first 2 shown]
	v_cmp_lt_u64_e64 s1, v[33:34], v[11:12]
	s_delay_alu instid0(VALU_DEP_1)
	v_cndmask_b32_e64 v12, v12, v34, s1
	v_cndmask_b32_e64 v11, v11, v33, s1
	ds_store_b64 v54, v[11:12]
	s_waitcnt lgkmcnt(0)
	s_barrier
	buffer_gl0_inv
	v_cmpx_gt_u32_e32 32, v0
	s_cbranch_execz .LBB160_44
; %bb.33:
	v_lshlrev_b32_e32 v33, 1, v0
	v_mbcnt_lo_u32_b32 v72, -1, 0
	s_mov_b32 s21, exec_lo
	s_delay_alu instid0(VALU_DEP_2) | instskip(NEXT) | instid1(VALU_DEP_2)
	v_and_b32_e32 v33, 0x1f8, v33
	v_and_b32_e32 v73, 15, v72
	s_delay_alu instid0(VALU_DEP_2)
	v_lshl_or_b32 v71, v0, 6, v33
	ds_load_2addr_b64 v[37:40], v71 offset1:1
	ds_load_2addr_b64 v[33:36], v71 offset0:2 offset1:3
	ds_load_2addr_b64 v[41:44], v71 offset0:4 offset1:5
	s_waitcnt lgkmcnt(2)
	v_cmp_lt_u64_e64 s1, v[37:38], v[39:40]
	s_delay_alu instid0(VALU_DEP_1) | instskip(SKIP_2) | instid1(VALU_DEP_1)
	v_cndmask_b32_e64 v46, v40, v38, s1
	v_cndmask_b32_e64 v45, v39, v37, s1
	s_waitcnt lgkmcnt(1)
	v_cmp_lt_u64_e64 s1, v[45:46], v[33:34]
	s_delay_alu instid0(VALU_DEP_1) | instskip(SKIP_1) | instid1(VALU_DEP_1)
	v_cndmask_b32_e64 v46, v34, v46, s1
	v_cndmask_b32_e64 v45, v33, v45, s1
	v_cmp_lt_u64_e64 s1, v[45:46], v[35:36]
	s_delay_alu instid0(VALU_DEP_1) | instskip(SKIP_4) | instid1(VALU_DEP_1)
	v_cndmask_b32_e64 v50, v36, v46, s1
	v_cndmask_b32_e64 v49, v35, v45, s1
	ds_load_2addr_b64 v[45:48], v71 offset0:6 offset1:7
	s_waitcnt lgkmcnt(1)
	v_cmp_lt_u64_e64 s1, v[49:50], v[41:42]
	v_cndmask_b32_e64 v50, v42, v50, s1
	v_cndmask_b32_e64 v49, v41, v49, s1
	s_delay_alu instid0(VALU_DEP_1) | instskip(NEXT) | instid1(VALU_DEP_1)
	v_cmp_lt_u64_e64 s1, v[49:50], v[43:44]
	v_cndmask_b32_e64 v50, v44, v50, s1
	v_cndmask_b32_e64 v49, v43, v49, s1
	s_waitcnt lgkmcnt(0)
	s_delay_alu instid0(VALU_DEP_1) | instskip(NEXT) | instid1(VALU_DEP_1)
	v_cmp_lt_u64_e64 s1, v[49:50], v[45:46]
	v_cndmask_b32_e64 v50, v46, v50, s1
	v_cndmask_b32_e64 v49, v45, v49, s1
	s_delay_alu instid0(VALU_DEP_1) | instskip(NEXT) | instid1(VALU_DEP_1)
	v_cmp_lt_u64_e64 s1, v[49:50], v[47:48]
	v_cndmask_b32_e64 v50, v48, v50, s1
	v_cndmask_b32_e64 v49, v47, v49, s1
	s_delay_alu instid0(VALU_DEP_2) | instskip(NEXT) | instid1(VALU_DEP_2)
	v_mov_b32_dpp v52, v50 row_shr:1 row_mask:0xf bank_mask:0xf
	v_mov_b32_dpp v51, v49 row_shr:1 row_mask:0xf bank_mask:0xf
	v_cmpx_ne_u32_e32 0, v73
; %bb.34:
	s_delay_alu instid0(VALU_DEP_2) | instskip(NEXT) | instid1(VALU_DEP_1)
	v_cmp_lt_u64_e64 s1, v[51:52], v[49:50]
	v_cndmask_b32_e64 v50, v50, v52, s1
	v_cndmask_b32_e64 v49, v49, v51, s1
; %bb.35:
	s_or_b32 exec_lo, exec_lo, s21
	s_delay_alu instid0(VALU_DEP_1) | instskip(NEXT) | instid1(VALU_DEP_3)
	v_mov_b32_dpp v51, v49 row_shr:2 row_mask:0xf bank_mask:0xf
	v_mov_b32_dpp v52, v50 row_shr:2 row_mask:0xf bank_mask:0xf
	s_mov_b32 s21, exec_lo
	v_cmpx_lt_u32_e32 1, v73
; %bb.36:
	s_delay_alu instid0(VALU_DEP_2) | instskip(NEXT) | instid1(VALU_DEP_1)
	v_cmp_lt_u64_e64 s1, v[51:52], v[49:50]
	v_cndmask_b32_e64 v50, v50, v52, s1
	v_cndmask_b32_e64 v49, v49, v51, s1
; %bb.37:
	s_or_b32 exec_lo, exec_lo, s21
	s_delay_alu instid0(VALU_DEP_1) | instskip(NEXT) | instid1(VALU_DEP_3)
	v_mov_b32_dpp v51, v49 row_shr:4 row_mask:0xf bank_mask:0xf
	v_mov_b32_dpp v52, v50 row_shr:4 row_mask:0xf bank_mask:0xf
	s_mov_b32 s21, exec_lo
	v_cmpx_lt_u32_e32 3, v73
	;; [unrolled: 12-line block ×3, first 2 shown]
; %bb.40:
	s_delay_alu instid0(VALU_DEP_2) | instskip(NEXT) | instid1(VALU_DEP_1)
	v_cmp_lt_u64_e64 s1, v[51:52], v[49:50]
	v_cndmask_b32_e64 v50, v50, v52, s1
	v_cndmask_b32_e64 v49, v49, v51, s1
; %bb.41:
	s_or_b32 exec_lo, exec_lo, s21
	ds_swizzle_b32 v51, v49 offset:swizzle(BROADCAST,32,15)
	ds_swizzle_b32 v52, v50 offset:swizzle(BROADCAST,32,15)
	v_and_b32_e32 v73, 16, v72
	s_mov_b32 s21, exec_lo
	s_delay_alu instid0(VALU_DEP_1)
	v_cmpx_ne_u32_e32 0, v73
	s_cbranch_execz .LBB160_43
; %bb.42:
	s_waitcnt lgkmcnt(0)
	v_cmp_lt_u64_e64 s1, v[51:52], v[49:50]
	s_delay_alu instid0(VALU_DEP_1)
	v_cndmask_b32_e64 v49, v49, v51, s1
	v_cndmask_b32_e64 v50, v50, v52, s1
.LBB160_43:
	s_or_b32 exec_lo, exec_lo, s21
	s_waitcnt lgkmcnt(1)
	v_add_nc_u32_e32 v51, -1, v72
	s_delay_alu instid0(VALU_DEP_1) | instskip(NEXT) | instid1(VALU_DEP_1)
	v_cmp_gt_i32_e64 s1, 0, v51
	v_cndmask_b32_e64 v51, v51, v72, s1
	s_delay_alu instid0(VALU_DEP_1) | instskip(SKIP_4) | instid1(VALU_DEP_1)
	v_lshlrev_b32_e32 v51, 2, v51
	ds_bpermute_b32 v49, v51, v49
	ds_bpermute_b32 v50, v51, v50
	s_waitcnt lgkmcnt(0)
	v_cmp_lt_u64_e64 s1, v[49:50], v[37:38]
	v_cndmask_b32_e64 v37, v37, v49, s1
	v_cndmask_b32_e64 v38, v38, v50, s1
	v_cmp_eq_u32_e64 s1, 0, v0
	s_delay_alu instid0(VALU_DEP_1) | instskip(NEXT) | instid1(VALU_DEP_4)
	v_cndmask_b32_e64 v12, v38, v12, s1
	v_cndmask_b32_e64 v11, v37, v11, s1
	s_delay_alu instid0(VALU_DEP_1) | instskip(NEXT) | instid1(VALU_DEP_1)
	v_cmp_lt_u64_e64 s1, v[11:12], v[39:40]
	v_cndmask_b32_e64 v38, v40, v12, s1
	v_cndmask_b32_e64 v37, v39, v11, s1
	s_delay_alu instid0(VALU_DEP_1) | instskip(NEXT) | instid1(VALU_DEP_1)
	v_cmp_lt_u64_e64 s1, v[37:38], v[33:34]
	;; [unrolled: 4-line block ×7, first 2 shown]
	v_cndmask_b32_e64 v46, v48, v44, s1
	v_cndmask_b32_e64 v45, v47, v43, s1
	ds_store_2addr_b64 v71, v[11:12], v[37:38] offset1:1
	ds_store_2addr_b64 v71, v[33:34], v[35:36] offset0:2 offset1:3
	ds_store_2addr_b64 v71, v[39:40], v[41:42] offset0:4 offset1:5
	;; [unrolled: 1-line block ×3, first 2 shown]
.LBB160_44:
	s_or_b32 exec_lo, exec_lo, s20
	v_dual_mov_b32 v11, s18 :: v_dual_mov_b32 v12, s19
	s_mov_b32 s20, exec_lo
	s_waitcnt lgkmcnt(0)
	s_barrier
	buffer_gl0_inv
	v_cmpx_ne_u32_e32 0, v0
	s_cbranch_execz .LBB160_46
; %bb.45:
	v_add_nc_u32_e32 v0, -1, v0
	s_delay_alu instid0(VALU_DEP_1) | instskip(NEXT) | instid1(VALU_DEP_1)
	v_lshrrev_b32_e32 v11, 5, v0
	v_add_lshl_u32 v0, v11, v0, 3
	ds_load_b64 v[11:12], v0
	s_waitcnt lgkmcnt(0)
	v_cmp_lt_u64_e64 s1, s[18:19], v[11:12]
	s_delay_alu instid0(VALU_DEP_1)
	v_cndmask_b32_e64 v12, v12, s19, s1
	v_cndmask_b32_e64 v11, v11, s18, s1
.LBB160_46:
	s_or_b32 exec_lo, exec_lo, s20
	s_delay_alu instid0(VALU_DEP_1) | instskip(SKIP_4) | instid1(VALU_DEP_1)
	v_cmp_lt_u64_e64 s1, v[11:12], v[5:6]
	s_barrier
	buffer_gl0_inv
	v_cndmask_b32_e64 v6, v6, v12, s1
	v_cndmask_b32_e64 v5, v5, v11, s1
	v_cmp_lt_u64_e64 s1, v[5:6], v[7:8]
	s_delay_alu instid0(VALU_DEP_1) | instskip(SKIP_1) | instid1(VALU_DEP_1)
	v_cndmask_b32_e64 v8, v8, v6, s1
	v_cndmask_b32_e64 v7, v7, v5, s1
	v_cmp_lt_u64_e64 s1, v[7:8], v[1:2]
	s_delay_alu instid0(VALU_DEP_1) | instskip(SKIP_4) | instid1(VALU_DEP_1)
	v_cndmask_b32_e64 v2, v2, v8, s1
	v_cndmask_b32_e64 v1, v1, v7, s1
	ds_store_2addr_b64 v70, v[11:12], v[5:6] offset1:1
	ds_store_2addr_b64 v70, v[7:8], v[1:2] offset0:2 offset1:3
	v_cmp_lt_u64_e64 s1, v[1:2], v[3:4]
	v_cndmask_b32_e64 v4, v4, v2, s1
	v_cndmask_b32_e64 v3, v3, v1, s1
	s_delay_alu instid0(VALU_DEP_1) | instskip(NEXT) | instid1(VALU_DEP_1)
	v_cmp_lt_u64_e64 s1, v[3:4], v[17:18]
	v_cndmask_b32_e64 v18, v18, v4, s1
	v_cndmask_b32_e64 v17, v17, v3, s1
	s_delay_alu instid0(VALU_DEP_1) | instskip(NEXT) | instid1(VALU_DEP_1)
	;; [unrolled: 4-line block ×11, first 2 shown]
	v_cmp_lt_u64_e64 s1, v[31:32], v[9:10]
	v_cndmask_b32_e64 v1, v10, v32, s1
	v_cndmask_b32_e64 v0, v9, v31, s1
	ds_store_2addr_b64 v70, v[3:4], v[17:18] offset0:4 offset1:5
	ds_store_2addr_b64 v70, v[19:20], v[13:14] offset0:6 offset1:7
	;; [unrolled: 1-line block ×6, first 2 shown]
	s_waitcnt lgkmcnt(0)
	s_barrier
	buffer_gl0_inv
	ds_load_b64 v[30:31], v55 offset:2048
	ds_load_b64 v[28:29], v56 offset:4096
	;; [unrolled: 1-line block ×15, first 2 shown]
	v_add_co_u32 v2, s1, s16, v53
	s_delay_alu instid0(VALU_DEP_1)
	v_add_co_ci_u32_e64 v3, null, s17, 0, s1
	s_and_saveexec_b32 s1, vcc_lo
	s_cbranch_execnz .LBB160_63
; %bb.47:
	s_or_b32 exec_lo, exec_lo, s1
	s_and_saveexec_b32 s1, s2
	s_cbranch_execnz .LBB160_64
.LBB160_48:
	s_or_b32 exec_lo, exec_lo, s1
	s_and_saveexec_b32 s1, s3
	s_cbranch_execnz .LBB160_65
.LBB160_49:
	s_or_b32 exec_lo, exec_lo, s1
	s_and_saveexec_b32 s1, s4
	s_cbranch_execnz .LBB160_66
.LBB160_50:
	s_or_b32 exec_lo, exec_lo, s1
	s_and_saveexec_b32 s1, s5
	s_cbranch_execnz .LBB160_67
.LBB160_51:
	s_or_b32 exec_lo, exec_lo, s1
	s_and_saveexec_b32 s1, s6
	s_cbranch_execnz .LBB160_68
.LBB160_52:
	s_or_b32 exec_lo, exec_lo, s1
	s_and_saveexec_b32 s1, s7
	s_cbranch_execnz .LBB160_69
.LBB160_53:
	s_or_b32 exec_lo, exec_lo, s1
	s_and_saveexec_b32 s1, s8
	s_cbranch_execnz .LBB160_70
.LBB160_54:
	s_or_b32 exec_lo, exec_lo, s1
	s_and_saveexec_b32 s1, s9
	s_cbranch_execnz .LBB160_71
.LBB160_55:
	s_or_b32 exec_lo, exec_lo, s1
	s_and_saveexec_b32 s1, s10
	s_cbranch_execnz .LBB160_72
.LBB160_56:
	s_or_b32 exec_lo, exec_lo, s1
	s_and_saveexec_b32 s1, s11
	s_cbranch_execnz .LBB160_73
.LBB160_57:
	s_or_b32 exec_lo, exec_lo, s1
	s_and_saveexec_b32 s1, s12
	s_cbranch_execnz .LBB160_74
.LBB160_58:
	s_or_b32 exec_lo, exec_lo, s1
	s_and_saveexec_b32 s1, s13
	s_cbranch_execnz .LBB160_75
.LBB160_59:
	s_or_b32 exec_lo, exec_lo, s1
	s_and_saveexec_b32 s1, s14
	s_cbranch_execnz .LBB160_76
.LBB160_60:
	s_or_b32 exec_lo, exec_lo, s1
	s_and_saveexec_b32 s1, s15
	s_cbranch_execnz .LBB160_77
.LBB160_61:
	s_or_b32 exec_lo, exec_lo, s1
	s_and_saveexec_b32 s1, s0
	s_cbranch_execnz .LBB160_78
.LBB160_62:
	s_nop 0
	s_sendmsg sendmsg(MSG_DEALLOC_VGPRS)
	s_endpgm
.LBB160_63:
	ds_load_b64 v[32:33], v54
	s_waitcnt lgkmcnt(0)
	global_store_b64 v[2:3], v[32:33], off
	s_or_b32 exec_lo, exec_lo, s1
	s_and_saveexec_b32 s1, s2
	s_cbranch_execz .LBB160_48
.LBB160_64:
	s_waitcnt lgkmcnt(14)
	global_store_b64 v[2:3], v[30:31], off offset:2048
	s_or_b32 exec_lo, exec_lo, s1
	s_and_saveexec_b32 s1, s3
	s_cbranch_execz .LBB160_49
.LBB160_65:
	s_waitcnt lgkmcnt(14)
	v_add_co_u32 v30, vcc_lo, 0x1000, v2
	v_add_co_ci_u32_e32 v31, vcc_lo, 0, v3, vcc_lo
	s_waitcnt lgkmcnt(13)
	global_store_b64 v[30:31], v[28:29], off
	s_or_b32 exec_lo, exec_lo, s1
	s_and_saveexec_b32 s1, s4
	s_cbranch_execz .LBB160_50
.LBB160_66:
	s_waitcnt lgkmcnt(13)
	v_add_co_u32 v28, vcc_lo, 0x1000, v2
	v_add_co_ci_u32_e32 v29, vcc_lo, 0, v3, vcc_lo
	s_waitcnt lgkmcnt(12)
	global_store_b64 v[28:29], v[26:27], off offset:2048
	s_or_b32 exec_lo, exec_lo, s1
	s_and_saveexec_b32 s1, s5
	s_cbranch_execz .LBB160_51
.LBB160_67:
	s_waitcnt lgkmcnt(12)
	v_add_co_u32 v26, vcc_lo, 0x2000, v2
	v_add_co_ci_u32_e32 v27, vcc_lo, 0, v3, vcc_lo
	s_waitcnt lgkmcnt(11)
	global_store_b64 v[26:27], v[24:25], off
	s_or_b32 exec_lo, exec_lo, s1
	s_and_saveexec_b32 s1, s6
	s_cbranch_execz .LBB160_52
.LBB160_68:
	s_waitcnt lgkmcnt(11)
	v_add_co_u32 v24, vcc_lo, 0x2000, v2
	v_add_co_ci_u32_e32 v25, vcc_lo, 0, v3, vcc_lo
	s_waitcnt lgkmcnt(10)
	global_store_b64 v[24:25], v[22:23], off offset:2048
	s_or_b32 exec_lo, exec_lo, s1
	s_and_saveexec_b32 s1, s7
	s_cbranch_execz .LBB160_53
.LBB160_69:
	s_waitcnt lgkmcnt(10)
	v_add_co_u32 v22, vcc_lo, 0x3000, v2
	v_add_co_ci_u32_e32 v23, vcc_lo, 0, v3, vcc_lo
	s_waitcnt lgkmcnt(9)
	global_store_b64 v[22:23], v[20:21], off
	s_or_b32 exec_lo, exec_lo, s1
	s_and_saveexec_b32 s1, s8
	s_cbranch_execz .LBB160_54
.LBB160_70:
	s_waitcnt lgkmcnt(9)
	v_add_co_u32 v20, vcc_lo, 0x3000, v2
	v_add_co_ci_u32_e32 v21, vcc_lo, 0, v3, vcc_lo
	s_waitcnt lgkmcnt(8)
	global_store_b64 v[20:21], v[18:19], off offset:2048
	s_or_b32 exec_lo, exec_lo, s1
	s_and_saveexec_b32 s1, s9
	s_cbranch_execz .LBB160_55
.LBB160_71:
	s_waitcnt lgkmcnt(8)
	v_add_co_u32 v18, vcc_lo, 0x4000, v2
	v_add_co_ci_u32_e32 v19, vcc_lo, 0, v3, vcc_lo
	s_waitcnt lgkmcnt(7)
	global_store_b64 v[18:19], v[16:17], off
	s_or_b32 exec_lo, exec_lo, s1
	s_and_saveexec_b32 s1, s10
	s_cbranch_execz .LBB160_56
.LBB160_72:
	s_waitcnt lgkmcnt(7)
	v_add_co_u32 v16, vcc_lo, 0x4000, v2
	v_add_co_ci_u32_e32 v17, vcc_lo, 0, v3, vcc_lo
	s_waitcnt lgkmcnt(6)
	global_store_b64 v[16:17], v[14:15], off offset:2048
	s_or_b32 exec_lo, exec_lo, s1
	s_and_saveexec_b32 s1, s11
	s_cbranch_execz .LBB160_57
.LBB160_73:
	s_waitcnt lgkmcnt(6)
	v_add_co_u32 v14, vcc_lo, 0x5000, v2
	v_add_co_ci_u32_e32 v15, vcc_lo, 0, v3, vcc_lo
	s_waitcnt lgkmcnt(5)
	global_store_b64 v[14:15], v[12:13], off
	s_or_b32 exec_lo, exec_lo, s1
	s_and_saveexec_b32 s1, s12
	s_cbranch_execz .LBB160_58
.LBB160_74:
	s_waitcnt lgkmcnt(5)
	v_add_co_u32 v12, vcc_lo, 0x5000, v2
	v_add_co_ci_u32_e32 v13, vcc_lo, 0, v3, vcc_lo
	s_waitcnt lgkmcnt(4)
	global_store_b64 v[12:13], v[10:11], off offset:2048
	s_or_b32 exec_lo, exec_lo, s1
	s_and_saveexec_b32 s1, s13
	s_cbranch_execz .LBB160_59
.LBB160_75:
	s_waitcnt lgkmcnt(4)
	v_add_co_u32 v10, vcc_lo, 0x6000, v2
	v_add_co_ci_u32_e32 v11, vcc_lo, 0, v3, vcc_lo
	s_waitcnt lgkmcnt(3)
	global_store_b64 v[10:11], v[8:9], off
	s_or_b32 exec_lo, exec_lo, s1
	s_and_saveexec_b32 s1, s14
	s_cbranch_execz .LBB160_60
.LBB160_76:
	s_waitcnt lgkmcnt(3)
	v_add_co_u32 v8, vcc_lo, 0x6000, v2
	v_add_co_ci_u32_e32 v9, vcc_lo, 0, v3, vcc_lo
	s_waitcnt lgkmcnt(2)
	global_store_b64 v[8:9], v[6:7], off offset:2048
	s_or_b32 exec_lo, exec_lo, s1
	s_and_saveexec_b32 s1, s15
	s_cbranch_execz .LBB160_61
.LBB160_77:
	s_waitcnt lgkmcnt(2)
	v_add_co_u32 v6, vcc_lo, 0x7000, v2
	v_add_co_ci_u32_e32 v7, vcc_lo, 0, v3, vcc_lo
	s_waitcnt lgkmcnt(1)
	global_store_b64 v[6:7], v[4:5], off
	s_or_b32 exec_lo, exec_lo, s1
	s_and_saveexec_b32 s1, s0
	s_cbranch_execz .LBB160_62
.LBB160_78:
	v_add_co_u32 v2, vcc_lo, 0x7000, v2
	v_add_co_ci_u32_e32 v3, vcc_lo, 0, v3, vcc_lo
	s_waitcnt lgkmcnt(0)
	global_store_b64 v[2:3], v[0:1], off offset:2048
	s_nop 0
	s_sendmsg sendmsg(MSG_DEALLOC_VGPRS)
	s_endpgm
	.section	.rodata,"a",@progbits
	.p2align	6, 0x0
	.amdhsa_kernel _ZN7rocprim6detail18single_scan_kernelILb1ENS0_19wrapped_scan_configINS_14default_configEyEEN6hipcub22TransformInputIteratorIyNS5_6CastOpIyEEPylEES9_NS5_3MinENS_12future_valueIyS9_EEyEEvT1_mT4_T2_T3_
		.amdhsa_group_segment_fixed_size 33792
		.amdhsa_private_segment_fixed_size 0
		.amdhsa_kernarg_size 44
		.amdhsa_user_sgpr_count 15
		.amdhsa_user_sgpr_dispatch_ptr 0
		.amdhsa_user_sgpr_queue_ptr 0
		.amdhsa_user_sgpr_kernarg_segment_ptr 1
		.amdhsa_user_sgpr_dispatch_id 0
		.amdhsa_user_sgpr_private_segment_size 0
		.amdhsa_wavefront_size32 1
		.amdhsa_uses_dynamic_stack 0
		.amdhsa_enable_private_segment 0
		.amdhsa_system_sgpr_workgroup_id_x 1
		.amdhsa_system_sgpr_workgroup_id_y 0
		.amdhsa_system_sgpr_workgroup_id_z 0
		.amdhsa_system_sgpr_workgroup_info 0
		.amdhsa_system_vgpr_workitem_id 0
		.amdhsa_next_free_vgpr 74
		.amdhsa_next_free_sgpr 68
		.amdhsa_reserve_vcc 1
		.amdhsa_float_round_mode_32 0
		.amdhsa_float_round_mode_16_64 0
		.amdhsa_float_denorm_mode_32 3
		.amdhsa_float_denorm_mode_16_64 3
		.amdhsa_dx10_clamp 1
		.amdhsa_ieee_mode 1
		.amdhsa_fp16_overflow 0
		.amdhsa_workgroup_processor_mode 1
		.amdhsa_memory_ordered 1
		.amdhsa_forward_progress 0
		.amdhsa_shared_vgpr_count 0
		.amdhsa_exception_fp_ieee_invalid_op 0
		.amdhsa_exception_fp_denorm_src 0
		.amdhsa_exception_fp_ieee_div_zero 0
		.amdhsa_exception_fp_ieee_overflow 0
		.amdhsa_exception_fp_ieee_underflow 0
		.amdhsa_exception_fp_ieee_inexact 0
		.amdhsa_exception_int_div_zero 0
	.end_amdhsa_kernel
	.section	.text._ZN7rocprim6detail18single_scan_kernelILb1ENS0_19wrapped_scan_configINS_14default_configEyEEN6hipcub22TransformInputIteratorIyNS5_6CastOpIyEEPylEES9_NS5_3MinENS_12future_valueIyS9_EEyEEvT1_mT4_T2_T3_,"axG",@progbits,_ZN7rocprim6detail18single_scan_kernelILb1ENS0_19wrapped_scan_configINS_14default_configEyEEN6hipcub22TransformInputIteratorIyNS5_6CastOpIyEEPylEES9_NS5_3MinENS_12future_valueIyS9_EEyEEvT1_mT4_T2_T3_,comdat
.Lfunc_end160:
	.size	_ZN7rocprim6detail18single_scan_kernelILb1ENS0_19wrapped_scan_configINS_14default_configEyEEN6hipcub22TransformInputIteratorIyNS5_6CastOpIyEEPylEES9_NS5_3MinENS_12future_valueIyS9_EEyEEvT1_mT4_T2_T3_, .Lfunc_end160-_ZN7rocprim6detail18single_scan_kernelILb1ENS0_19wrapped_scan_configINS_14default_configEyEEN6hipcub22TransformInputIteratorIyNS5_6CastOpIyEEPylEES9_NS5_3MinENS_12future_valueIyS9_EEyEEvT1_mT4_T2_T3_
                                        ; -- End function
	.section	.AMDGPU.csdata,"",@progbits
; Kernel info:
; codeLenInByte = 4944
; NumSgprs: 70
; NumVgprs: 74
; ScratchSize: 0
; MemoryBound: 1
; FloatMode: 240
; IeeeMode: 1
; LDSByteSize: 33792 bytes/workgroup (compile time only)
; SGPRBlocks: 8
; VGPRBlocks: 9
; NumSGPRsForWavesPerEU: 70
; NumVGPRsForWavesPerEU: 74
; Occupancy: 6
; WaveLimiterHint : 0
; COMPUTE_PGM_RSRC2:SCRATCH_EN: 0
; COMPUTE_PGM_RSRC2:USER_SGPR: 15
; COMPUTE_PGM_RSRC2:TRAP_HANDLER: 0
; COMPUTE_PGM_RSRC2:TGID_X_EN: 1
; COMPUTE_PGM_RSRC2:TGID_Y_EN: 0
; COMPUTE_PGM_RSRC2:TGID_Z_EN: 0
; COMPUTE_PGM_RSRC2:TIDIG_COMP_CNT: 0
	.section	.text._ZL18fill_initial_valueIyEvPT_S0_,"axG",@progbits,_ZL18fill_initial_valueIyEvPT_S0_,comdat
	.globl	_ZL18fill_initial_valueIyEvPT_S0_ ; -- Begin function _ZL18fill_initial_valueIyEvPT_S0_
	.p2align	8
	.type	_ZL18fill_initial_valueIyEvPT_S0_,@function
_ZL18fill_initial_valueIyEvPT_S0_:      ; @_ZL18fill_initial_valueIyEvPT_S0_
; %bb.0:
	s_load_b128 s[0:3], s[0:1], 0x0
	s_waitcnt lgkmcnt(0)
	v_dual_mov_b32 v2, 0 :: v_dual_mov_b32 v1, s3
	v_mov_b32_e32 v0, s2
	global_store_b64 v2, v[0:1], s[0:1]
	s_nop 0
	s_sendmsg sendmsg(MSG_DEALLOC_VGPRS)
	s_endpgm
	.section	.rodata,"a",@progbits
	.p2align	6, 0x0
	.amdhsa_kernel _ZL18fill_initial_valueIyEvPT_S0_
		.amdhsa_group_segment_fixed_size 0
		.amdhsa_private_segment_fixed_size 0
		.amdhsa_kernarg_size 16
		.amdhsa_user_sgpr_count 15
		.amdhsa_user_sgpr_dispatch_ptr 0
		.amdhsa_user_sgpr_queue_ptr 0
		.amdhsa_user_sgpr_kernarg_segment_ptr 1
		.amdhsa_user_sgpr_dispatch_id 0
		.amdhsa_user_sgpr_private_segment_size 0
		.amdhsa_wavefront_size32 1
		.amdhsa_uses_dynamic_stack 0
		.amdhsa_enable_private_segment 0
		.amdhsa_system_sgpr_workgroup_id_x 1
		.amdhsa_system_sgpr_workgroup_id_y 0
		.amdhsa_system_sgpr_workgroup_id_z 0
		.amdhsa_system_sgpr_workgroup_info 0
		.amdhsa_system_vgpr_workitem_id 0
		.amdhsa_next_free_vgpr 3
		.amdhsa_next_free_sgpr 4
		.amdhsa_reserve_vcc 0
		.amdhsa_float_round_mode_32 0
		.amdhsa_float_round_mode_16_64 0
		.amdhsa_float_denorm_mode_32 3
		.amdhsa_float_denorm_mode_16_64 3
		.amdhsa_dx10_clamp 1
		.amdhsa_ieee_mode 1
		.amdhsa_fp16_overflow 0
		.amdhsa_workgroup_processor_mode 1
		.amdhsa_memory_ordered 1
		.amdhsa_forward_progress 0
		.amdhsa_shared_vgpr_count 0
		.amdhsa_exception_fp_ieee_invalid_op 0
		.amdhsa_exception_fp_denorm_src 0
		.amdhsa_exception_fp_ieee_div_zero 0
		.amdhsa_exception_fp_ieee_overflow 0
		.amdhsa_exception_fp_ieee_underflow 0
		.amdhsa_exception_fp_ieee_inexact 0
		.amdhsa_exception_int_div_zero 0
	.end_amdhsa_kernel
	.section	.text._ZL18fill_initial_valueIyEvPT_S0_,"axG",@progbits,_ZL18fill_initial_valueIyEvPT_S0_,comdat
.Lfunc_end161:
	.size	_ZL18fill_initial_valueIyEvPT_S0_, .Lfunc_end161-_ZL18fill_initial_valueIyEvPT_S0_
                                        ; -- End function
	.section	.AMDGPU.csdata,"",@progbits
; Kernel info:
; codeLenInByte = 44
; NumSgprs: 4
; NumVgprs: 3
; ScratchSize: 0
; MemoryBound: 0
; FloatMode: 240
; IeeeMode: 1
; LDSByteSize: 0 bytes/workgroup (compile time only)
; SGPRBlocks: 0
; VGPRBlocks: 0
; NumSGPRsForWavesPerEU: 4
; NumVGPRsForWavesPerEU: 3
; Occupancy: 16
; WaveLimiterHint : 0
; COMPUTE_PGM_RSRC2:SCRATCH_EN: 0
; COMPUTE_PGM_RSRC2:USER_SGPR: 15
; COMPUTE_PGM_RSRC2:TRAP_HANDLER: 0
; COMPUTE_PGM_RSRC2:TGID_X_EN: 1
; COMPUTE_PGM_RSRC2:TGID_Y_EN: 0
; COMPUTE_PGM_RSRC2:TGID_Z_EN: 0
; COMPUTE_PGM_RSRC2:TIDIG_COMP_CNT: 0
	.text
	.p2alignl 7, 3214868480
	.fill 96, 4, 3214868480
	.type	__hip_cuid_3eed34db67ad8825,@object ; @__hip_cuid_3eed34db67ad8825
	.section	.bss,"aw",@nobits
	.globl	__hip_cuid_3eed34db67ad8825
__hip_cuid_3eed34db67ad8825:
	.byte	0                               ; 0x0
	.size	__hip_cuid_3eed34db67ad8825, 1

	.ident	"AMD clang version 19.0.0git (https://github.com/RadeonOpenCompute/llvm-project roc-6.4.0 25133 c7fe45cf4b819c5991fe208aaa96edf142730f1d)"
	.section	".note.GNU-stack","",@progbits
	.addrsig
	.addrsig_sym __hip_cuid_3eed34db67ad8825
	.amdgpu_metadata
---
amdhsa.kernels:
  - .args:
      - .address_space:  global
        .offset:         0
        .size:           8
        .value_kind:     global_buffer
      - .offset:         8
        .size:           4
        .value_kind:     by_value
      - .offset:         12
        .size:           4
        .value_kind:     by_value
      - .address_space:  global
        .offset:         16
        .size:           8
        .value_kind:     global_buffer
      - .offset:         24
        .size:           4
        .value_kind:     hidden_block_count_x
      - .offset:         28
        .size:           4
        .value_kind:     hidden_block_count_y
      - .offset:         32
        .size:           4
        .value_kind:     hidden_block_count_z
      - .offset:         36
        .size:           2
        .value_kind:     hidden_group_size_x
      - .offset:         38
        .size:           2
        .value_kind:     hidden_group_size_y
      - .offset:         40
        .size:           2
        .value_kind:     hidden_group_size_z
      - .offset:         42
        .size:           2
        .value_kind:     hidden_remainder_x
      - .offset:         44
        .size:           2
        .value_kind:     hidden_remainder_y
      - .offset:         46
        .size:           2
        .value_kind:     hidden_remainder_z
      - .offset:         64
        .size:           8
        .value_kind:     hidden_global_offset_x
      - .offset:         72
        .size:           8
        .value_kind:     hidden_global_offset_y
      - .offset:         80
        .size:           8
        .value_kind:     hidden_global_offset_z
      - .offset:         88
        .size:           2
        .value_kind:     hidden_grid_dims
    .group_segment_fixed_size: 0
    .kernarg_segment_align: 8
    .kernarg_segment_size: 280
    .language:       OpenCL C
    .language_version:
      - 2
      - 0
    .max_flat_workgroup_size: 256
    .name:           _ZN7rocprim6detail31init_lookback_scan_state_kernelINS0_19lookback_scan_stateIiLb1ELb1EEEEEvT_jjPNS4_10value_typeE
    .private_segment_fixed_size: 0
    .sgpr_count:     18
    .sgpr_spill_count: 0
    .symbol:         _ZN7rocprim6detail31init_lookback_scan_state_kernelINS0_19lookback_scan_stateIiLb1ELb1EEEEEvT_jjPNS4_10value_typeE.kd
    .uniform_work_group_size: 1
    .uses_dynamic_stack: false
    .vgpr_count:     6
    .vgpr_spill_count: 0
    .wavefront_size: 32
    .workgroup_processor_mode: 1
  - .args:
      - .address_space:  global
        .offset:         0
        .size:           8
        .value_kind:     global_buffer
      - .offset:         8
        .size:           4
        .value_kind:     by_value
      - .offset:         12
        .size:           4
        .value_kind:     by_value
      - .address_space:  global
        .offset:         16
        .size:           8
        .value_kind:     global_buffer
      - .offset:         24
        .size:           4
        .value_kind:     hidden_block_count_x
      - .offset:         28
        .size:           4
        .value_kind:     hidden_block_count_y
      - .offset:         32
        .size:           4
        .value_kind:     hidden_block_count_z
      - .offset:         36
        .size:           2
        .value_kind:     hidden_group_size_x
      - .offset:         38
        .size:           2
        .value_kind:     hidden_group_size_y
      - .offset:         40
        .size:           2
        .value_kind:     hidden_group_size_z
      - .offset:         42
        .size:           2
        .value_kind:     hidden_remainder_x
      - .offset:         44
        .size:           2
        .value_kind:     hidden_remainder_y
      - .offset:         46
        .size:           2
        .value_kind:     hidden_remainder_z
      - .offset:         64
        .size:           8
        .value_kind:     hidden_global_offset_x
      - .offset:         72
        .size:           8
        .value_kind:     hidden_global_offset_y
      - .offset:         80
        .size:           8
        .value_kind:     hidden_global_offset_z
      - .offset:         88
        .size:           2
        .value_kind:     hidden_grid_dims
    .group_segment_fixed_size: 0
    .kernarg_segment_align: 8
    .kernarg_segment_size: 280
    .language:       OpenCL C
    .language_version:
      - 2
      - 0
    .max_flat_workgroup_size: 256
    .name:           _ZN7rocprim6detail31init_lookback_scan_state_kernelINS0_19lookback_scan_stateIiLb0ELb1EEEEEvT_jjPNS4_10value_typeE
    .private_segment_fixed_size: 0
    .sgpr_count:     18
    .sgpr_spill_count: 0
    .symbol:         _ZN7rocprim6detail31init_lookback_scan_state_kernelINS0_19lookback_scan_stateIiLb0ELb1EEEEEvT_jjPNS4_10value_typeE.kd
    .uniform_work_group_size: 1
    .uses_dynamic_stack: false
    .vgpr_count:     6
    .vgpr_spill_count: 0
    .wavefront_size: 32
    .workgroup_processor_mode: 1
  - .args:
      - .offset:         0
        .size:           16
        .value_kind:     by_value
      - .address_space:  global
        .offset:         16
        .size:           8
        .value_kind:     global_buffer
      - .offset:         24
        .size:           8
        .value_kind:     by_value
      - .offset:         32
        .size:           4
        .value_kind:     by_value
      - .offset:         36
        .size:           1
        .value_kind:     by_value
      - .address_space:  global
        .offset:         40
        .size:           8
        .value_kind:     global_buffer
      - .offset:         48
        .size:           4
        .value_kind:     by_value
      - .address_space:  global
        .offset:         56
        .size:           8
        .value_kind:     global_buffer
      - .address_space:  global
        .offset:         64
        .size:           8
        .value_kind:     global_buffer
      - .offset:         72
        .size:           1
        .value_kind:     by_value
      - .offset:         73
        .size:           1
        .value_kind:     by_value
    .group_segment_fixed_size: 0
    .kernarg_segment_align: 8
    .kernarg_segment_size: 76
    .language:       OpenCL C
    .language_version:
      - 2
      - 0
    .max_flat_workgroup_size: 64
    .name:           _ZN7rocprim6detail20lookback_scan_kernelILNS0_25lookback_scan_determinismE0ELb0ENS0_19wrapped_scan_configINS_14default_configEiEEN6hipcub22TransformInputIteratorIiNS6_6CastOpIiEEPilEEPlNS6_3SumEiiNS0_19lookback_scan_stateIiLb1ELb1EEEEEvT2_T3_mT5_T4_T7_jPT6_SM_bb
    .private_segment_fixed_size: 0
    .sgpr_count:     0
    .sgpr_spill_count: 0
    .symbol:         _ZN7rocprim6detail20lookback_scan_kernelILNS0_25lookback_scan_determinismE0ELb0ENS0_19wrapped_scan_configINS_14default_configEiEEN6hipcub22TransformInputIteratorIiNS6_6CastOpIiEEPilEEPlNS6_3SumEiiNS0_19lookback_scan_stateIiLb1ELb1EEEEEvT2_T3_mT5_T4_T7_jPT6_SM_bb.kd
    .uniform_work_group_size: 1
    .uses_dynamic_stack: false
    .vgpr_count:     0
    .vgpr_spill_count: 0
    .wavefront_size: 32
    .workgroup_processor_mode: 1
  - .args:
      - .offset:         0
        .size:           16
        .value_kind:     by_value
      - .address_space:  global
        .offset:         16
        .size:           8
        .value_kind:     global_buffer
      - .offset:         24
        .size:           8
        .value_kind:     by_value
      - .offset:         32
        .size:           4
        .value_kind:     by_value
      - .offset:         36
        .size:           1
        .value_kind:     by_value
      - .address_space:  global
        .offset:         40
        .size:           8
        .value_kind:     global_buffer
      - .offset:         48
        .size:           4
        .value_kind:     by_value
      - .address_space:  global
        .offset:         56
        .size:           8
        .value_kind:     global_buffer
      - .address_space:  global
        .offset:         64
        .size:           8
        .value_kind:     global_buffer
      - .offset:         72
        .size:           1
        .value_kind:     by_value
      - .offset:         73
        .size:           1
        .value_kind:     by_value
    .group_segment_fixed_size: 4224
    .kernarg_segment_align: 8
    .kernarg_segment_size: 76
    .language:       OpenCL C
    .language_version:
      - 2
      - 0
    .max_flat_workgroup_size: 64
    .name:           _ZN7rocprim6detail20lookback_scan_kernelILNS0_25lookback_scan_determinismE0ELb0ENS0_19wrapped_scan_configINS_14default_configEiEEN6hipcub22TransformInputIteratorIiNS6_6CastOpIiEEPilEEPlNS6_3SumEiiNS0_19lookback_scan_stateIiLb0ELb1EEEEEvT2_T3_mT5_T4_T7_jPT6_SM_bb
    .private_segment_fixed_size: 0
    .sgpr_count:     37
    .sgpr_spill_count: 0
    .symbol:         _ZN7rocprim6detail20lookback_scan_kernelILNS0_25lookback_scan_determinismE0ELb0ENS0_19wrapped_scan_configINS_14default_configEiEEN6hipcub22TransformInputIteratorIiNS6_6CastOpIiEEPilEEPlNS6_3SumEiiNS0_19lookback_scan_stateIiLb0ELb1EEEEEvT2_T3_mT5_T4_T7_jPT6_SM_bb.kd
    .uniform_work_group_size: 1
    .uses_dynamic_stack: false
    .vgpr_count:     70
    .vgpr_spill_count: 0
    .wavefront_size: 32
    .workgroup_processor_mode: 1
  - .args:
      - .address_space:  global
        .offset:         0
        .size:           8
        .value_kind:     global_buffer
      - .offset:         8
        .size:           8
        .value_kind:     by_value
      - .address_space:  global
        .offset:         16
        .size:           8
        .value_kind:     global_buffer
      - .offset:         24
        .size:           1
        .value_kind:     by_value
      - .offset:         32
        .size:           4
        .value_kind:     hidden_block_count_x
      - .offset:         36
        .size:           4
        .value_kind:     hidden_block_count_y
      - .offset:         40
        .size:           4
        .value_kind:     hidden_block_count_z
      - .offset:         44
        .size:           2
        .value_kind:     hidden_group_size_x
      - .offset:         46
        .size:           2
        .value_kind:     hidden_group_size_y
      - .offset:         48
        .size:           2
        .value_kind:     hidden_group_size_z
      - .offset:         50
        .size:           2
        .value_kind:     hidden_remainder_x
      - .offset:         52
        .size:           2
        .value_kind:     hidden_remainder_y
      - .offset:         54
        .size:           2
        .value_kind:     hidden_remainder_z
      - .offset:         72
        .size:           8
        .value_kind:     hidden_global_offset_x
      - .offset:         80
        .size:           8
        .value_kind:     hidden_global_offset_y
      - .offset:         88
        .size:           8
        .value_kind:     hidden_global_offset_z
      - .offset:         96
        .size:           2
        .value_kind:     hidden_grid_dims
    .group_segment_fixed_size: 0
    .kernarg_segment_align: 8
    .kernarg_segment_size: 288
    .language:       OpenCL C
    .language_version:
      - 2
      - 0
    .max_flat_workgroup_size: 256
    .name:           _ZN7rocprim6detail16transform_kernelINS0_24wrapped_transform_configINS_14default_configEiEEiPiS5_NS_8identityIiEEEEvT1_mT2_T3_
    .private_segment_fixed_size: 0
    .sgpr_count:     24
    .sgpr_spill_count: 0
    .symbol:         _ZN7rocprim6detail16transform_kernelINS0_24wrapped_transform_configINS_14default_configEiEEiPiS5_NS_8identityIiEEEEvT1_mT2_T3_.kd
    .uniform_work_group_size: 1
    .uses_dynamic_stack: false
    .vgpr_count:     28
    .vgpr_spill_count: 0
    .wavefront_size: 32
    .workgroup_processor_mode: 1
  - .args:
      - .offset:         0
        .size:           16
        .value_kind:     by_value
      - .offset:         16
        .size:           8
        .value_kind:     by_value
      - .offset:         24
        .size:           4
        .value_kind:     by_value
      - .address_space:  global
        .offset:         32
        .size:           8
        .value_kind:     global_buffer
      - .offset:         40
        .size:           1
        .value_kind:     by_value
    .group_segment_fixed_size: 4224
    .kernarg_segment_align: 8
    .kernarg_segment_size: 44
    .language:       OpenCL C
    .language_version:
      - 2
      - 0
    .max_flat_workgroup_size: 64
    .name:           _ZN7rocprim6detail18single_scan_kernelILb0ENS0_19wrapped_scan_configINS_14default_configEiEEN6hipcub22TransformInputIteratorIiNS5_6CastOpIiEEPilEEPlNS5_3SumEiiEEvT1_mT4_T2_T3_
    .private_segment_fixed_size: 0
    .sgpr_count:     23
    .sgpr_spill_count: 0
    .symbol:         _ZN7rocprim6detail18single_scan_kernelILb0ENS0_19wrapped_scan_configINS_14default_configEiEEN6hipcub22TransformInputIteratorIiNS5_6CastOpIiEEPilEEPlNS5_3SumEiiEEvT1_mT4_T2_T3_.kd
    .uniform_work_group_size: 1
    .uses_dynamic_stack: false
    .vgpr_count:     43
    .vgpr_spill_count: 0
    .wavefront_size: 32
    .workgroup_processor_mode: 1
  - .args:
      - .address_space:  global
        .offset:         0
        .size:           8
        .value_kind:     global_buffer
      - .offset:         8
        .size:           4
        .value_kind:     by_value
      - .offset:         12
        .size:           4
        .value_kind:     by_value
      - .address_space:  global
        .offset:         16
        .size:           8
        .value_kind:     global_buffer
      - .offset:         24
        .size:           4
        .value_kind:     hidden_block_count_x
      - .offset:         28
        .size:           4
        .value_kind:     hidden_block_count_y
      - .offset:         32
        .size:           4
        .value_kind:     hidden_block_count_z
      - .offset:         36
        .size:           2
        .value_kind:     hidden_group_size_x
      - .offset:         38
        .size:           2
        .value_kind:     hidden_group_size_y
      - .offset:         40
        .size:           2
        .value_kind:     hidden_group_size_z
      - .offset:         42
        .size:           2
        .value_kind:     hidden_remainder_x
      - .offset:         44
        .size:           2
        .value_kind:     hidden_remainder_y
      - .offset:         46
        .size:           2
        .value_kind:     hidden_remainder_z
      - .offset:         64
        .size:           8
        .value_kind:     hidden_global_offset_x
      - .offset:         72
        .size:           8
        .value_kind:     hidden_global_offset_y
      - .offset:         80
        .size:           8
        .value_kind:     hidden_global_offset_z
      - .offset:         88
        .size:           2
        .value_kind:     hidden_grid_dims
    .group_segment_fixed_size: 0
    .kernarg_segment_align: 8
    .kernarg_segment_size: 280
    .language:       OpenCL C
    .language_version:
      - 2
      - 0
    .max_flat_workgroup_size: 256
    .name:           _ZN7rocprim6detail31init_lookback_scan_state_kernelINS0_19lookback_scan_stateI6__halfLb1ELb1EEEEEvT_jjPNS5_10value_typeE
    .private_segment_fixed_size: 0
    .sgpr_count:     18
    .sgpr_spill_count: 0
    .symbol:         _ZN7rocprim6detail31init_lookback_scan_state_kernelINS0_19lookback_scan_stateI6__halfLb1ELb1EEEEEvT_jjPNS5_10value_typeE.kd
    .uniform_work_group_size: 1
    .uses_dynamic_stack: false
    .vgpr_count:     6
    .vgpr_spill_count: 0
    .wavefront_size: 32
    .workgroup_processor_mode: 1
  - .args:
      - .address_space:  global
        .offset:         0
        .size:           8
        .value_kind:     global_buffer
      - .offset:         8
        .size:           4
        .value_kind:     by_value
      - .offset:         12
        .size:           4
        .value_kind:     by_value
      - .address_space:  global
        .offset:         16
        .size:           8
        .value_kind:     global_buffer
      - .offset:         24
        .size:           4
        .value_kind:     hidden_block_count_x
      - .offset:         28
        .size:           4
        .value_kind:     hidden_block_count_y
      - .offset:         32
        .size:           4
        .value_kind:     hidden_block_count_z
      - .offset:         36
        .size:           2
        .value_kind:     hidden_group_size_x
      - .offset:         38
        .size:           2
        .value_kind:     hidden_group_size_y
      - .offset:         40
        .size:           2
        .value_kind:     hidden_group_size_z
      - .offset:         42
        .size:           2
        .value_kind:     hidden_remainder_x
      - .offset:         44
        .size:           2
        .value_kind:     hidden_remainder_y
      - .offset:         46
        .size:           2
        .value_kind:     hidden_remainder_z
      - .offset:         64
        .size:           8
        .value_kind:     hidden_global_offset_x
      - .offset:         72
        .size:           8
        .value_kind:     hidden_global_offset_y
      - .offset:         80
        .size:           8
        .value_kind:     hidden_global_offset_z
      - .offset:         88
        .size:           2
        .value_kind:     hidden_grid_dims
    .group_segment_fixed_size: 0
    .kernarg_segment_align: 8
    .kernarg_segment_size: 280
    .language:       OpenCL C
    .language_version:
      - 2
      - 0
    .max_flat_workgroup_size: 256
    .name:           _ZN7rocprim6detail31init_lookback_scan_state_kernelINS0_19lookback_scan_stateI6__halfLb0ELb1EEEEEvT_jjPNS5_10value_typeE
    .private_segment_fixed_size: 0
    .sgpr_count:     18
    .sgpr_spill_count: 0
    .symbol:         _ZN7rocprim6detail31init_lookback_scan_state_kernelINS0_19lookback_scan_stateI6__halfLb0ELb1EEEEEvT_jjPNS5_10value_typeE.kd
    .uniform_work_group_size: 1
    .uses_dynamic_stack: false
    .vgpr_count:     6
    .vgpr_spill_count: 0
    .wavefront_size: 32
    .workgroup_processor_mode: 1
  - .args:
      - .address_space:  global
        .offset:         0
        .size:           8
        .value_kind:     global_buffer
      - .address_space:  global
        .offset:         8
        .size:           8
        .value_kind:     global_buffer
      - .offset:         16
        .size:           8
        .value_kind:     by_value
      - .offset:         24
        .size:           2
        .value_kind:     by_value
      - .offset:         26
        .size:           1
        .value_kind:     by_value
      - .address_space:  global
        .offset:         32
        .size:           8
        .value_kind:     global_buffer
      - .offset:         40
        .size:           4
        .value_kind:     by_value
      - .address_space:  global
        .offset:         48
        .size:           8
        .value_kind:     global_buffer
      - .address_space:  global
        .offset:         56
        .size:           8
        .value_kind:     global_buffer
      - .offset:         64
        .size:           1
        .value_kind:     by_value
      - .offset:         65
        .size:           1
        .value_kind:     by_value
    .group_segment_fixed_size: 0
    .kernarg_segment_align: 8
    .kernarg_segment_size: 68
    .language:       OpenCL C
    .language_version:
      - 2
      - 0
    .max_flat_workgroup_size: 64
    .name:           _ZN7rocprim6detail20lookback_scan_kernelILNS0_25lookback_scan_determinismE0ELb0ENS0_19wrapped_scan_configINS_14default_configE6__halfEEPS5_S7_N6hipcub3MaxES5_S5_NS0_19lookback_scan_stateIS5_Lb1ELb1EEEEEvT2_T3_mT5_T4_T7_jPT6_SI_bb
    .private_segment_fixed_size: 0
    .sgpr_count:     0
    .sgpr_spill_count: 0
    .symbol:         _ZN7rocprim6detail20lookback_scan_kernelILNS0_25lookback_scan_determinismE0ELb0ENS0_19wrapped_scan_configINS_14default_configE6__halfEEPS5_S7_N6hipcub3MaxES5_S5_NS0_19lookback_scan_stateIS5_Lb1ELb1EEEEEvT2_T3_mT5_T4_T7_jPT6_SI_bb.kd
    .uniform_work_group_size: 1
    .uses_dynamic_stack: false
    .vgpr_count:     0
    .vgpr_spill_count: 0
    .wavefront_size: 32
    .workgroup_processor_mode: 1
  - .args:
      - .address_space:  global
        .offset:         0
        .size:           8
        .value_kind:     global_buffer
      - .address_space:  global
        .offset:         8
        .size:           8
        .value_kind:     global_buffer
      - .offset:         16
        .size:           8
        .value_kind:     by_value
      - .offset:         24
        .size:           2
        .value_kind:     by_value
      - .offset:         26
        .size:           1
        .value_kind:     by_value
      - .address_space:  global
        .offset:         32
        .size:           8
        .value_kind:     global_buffer
      - .offset:         40
        .size:           4
        .value_kind:     by_value
      - .address_space:  global
        .offset:         48
        .size:           8
        .value_kind:     global_buffer
      - .address_space:  global
        .offset:         56
        .size:           8
        .value_kind:     global_buffer
      - .offset:         64
        .size:           1
        .value_kind:     by_value
      - .offset:         65
        .size:           1
        .value_kind:     by_value
    .group_segment_fixed_size: 2816
    .kernarg_segment_align: 8
    .kernarg_segment_size: 68
    .language:       OpenCL C
    .language_version:
      - 2
      - 0
    .max_flat_workgroup_size: 64
    .name:           _ZN7rocprim6detail20lookback_scan_kernelILNS0_25lookback_scan_determinismE0ELb0ENS0_19wrapped_scan_configINS_14default_configE6__halfEEPS5_S7_N6hipcub3MaxES5_S5_NS0_19lookback_scan_stateIS5_Lb0ELb1EEEEEvT2_T3_mT5_T4_T7_jPT6_SI_bb
    .private_segment_fixed_size: 0
    .sgpr_count:     23
    .sgpr_spill_count: 0
    .symbol:         _ZN7rocprim6detail20lookback_scan_kernelILNS0_25lookback_scan_determinismE0ELb0ENS0_19wrapped_scan_configINS_14default_configE6__halfEEPS5_S7_N6hipcub3MaxES5_S5_NS0_19lookback_scan_stateIS5_Lb0ELb1EEEEEvT2_T3_mT5_T4_T7_jPT6_SI_bb.kd
    .uniform_work_group_size: 1
    .uses_dynamic_stack: false
    .vgpr_count:     50
    .vgpr_spill_count: 0
    .wavefront_size: 32
    .workgroup_processor_mode: 1
  - .args:
      - .address_space:  global
        .offset:         0
        .size:           8
        .value_kind:     global_buffer
      - .offset:         8
        .size:           8
        .value_kind:     by_value
      - .address_space:  global
        .offset:         16
        .size:           8
        .value_kind:     global_buffer
      - .offset:         24
        .size:           1
        .value_kind:     by_value
      - .offset:         32
        .size:           4
        .value_kind:     hidden_block_count_x
      - .offset:         36
        .size:           4
        .value_kind:     hidden_block_count_y
      - .offset:         40
        .size:           4
        .value_kind:     hidden_block_count_z
      - .offset:         44
        .size:           2
        .value_kind:     hidden_group_size_x
      - .offset:         46
        .size:           2
        .value_kind:     hidden_group_size_y
      - .offset:         48
        .size:           2
        .value_kind:     hidden_group_size_z
      - .offset:         50
        .size:           2
        .value_kind:     hidden_remainder_x
      - .offset:         52
        .size:           2
        .value_kind:     hidden_remainder_y
      - .offset:         54
        .size:           2
        .value_kind:     hidden_remainder_z
      - .offset:         72
        .size:           8
        .value_kind:     hidden_global_offset_x
      - .offset:         80
        .size:           8
        .value_kind:     hidden_global_offset_y
      - .offset:         88
        .size:           8
        .value_kind:     hidden_global_offset_z
      - .offset:         96
        .size:           2
        .value_kind:     hidden_grid_dims
    .group_segment_fixed_size: 0
    .kernarg_segment_align: 8
    .kernarg_segment_size: 288
    .language:       OpenCL C
    .language_version:
      - 2
      - 0
    .max_flat_workgroup_size: 1024
    .name:           _ZN7rocprim6detail16transform_kernelINS0_24wrapped_transform_configINS_14default_configE6__halfEES4_PS4_S6_NS_8identityIS4_EEEEvT1_mT2_T3_
    .private_segment_fixed_size: 0
    .sgpr_count:     18
    .sgpr_spill_count: 0
    .symbol:         _ZN7rocprim6detail16transform_kernelINS0_24wrapped_transform_configINS_14default_configE6__halfEES4_PS4_S6_NS_8identityIS4_EEEEvT1_mT2_T3_.kd
    .uniform_work_group_size: 1
    .uses_dynamic_stack: false
    .vgpr_count:     6
    .vgpr_spill_count: 0
    .wavefront_size: 32
    .workgroup_processor_mode: 1
  - .args:
      - .address_space:  global
        .offset:         0
        .size:           8
        .value_kind:     global_buffer
      - .offset:         8
        .size:           8
        .value_kind:     by_value
      - .offset:         16
        .size:           2
        .value_kind:     by_value
      - .address_space:  global
        .offset:         24
        .size:           8
        .value_kind:     global_buffer
      - .offset:         32
        .size:           1
        .value_kind:     by_value
    .group_segment_fixed_size: 2816
    .kernarg_segment_align: 8
    .kernarg_segment_size: 36
    .language:       OpenCL C
    .language_version:
      - 2
      - 0
    .max_flat_workgroup_size: 64
    .name:           _ZN7rocprim6detail18single_scan_kernelILb0ENS0_19wrapped_scan_configINS_14default_configE6__halfEEPS4_S6_N6hipcub3MaxES4_S4_EEvT1_mT4_T2_T3_
    .private_segment_fixed_size: 0
    .sgpr_count:     29
    .sgpr_spill_count: 0
    .symbol:         _ZN7rocprim6detail18single_scan_kernelILb0ENS0_19wrapped_scan_configINS_14default_configE6__halfEEPS4_S6_N6hipcub3MaxES4_S4_EEvT1_mT4_T2_T3_.kd
    .uniform_work_group_size: 1
    .uses_dynamic_stack: false
    .vgpr_count:     34
    .vgpr_spill_count: 0
    .wavefront_size: 32
    .workgroup_processor_mode: 1
  - .args:
      - .address_space:  global
        .offset:         0
        .size:           8
        .value_kind:     global_buffer
      - .offset:         8
        .size:           4
        .value_kind:     by_value
      - .offset:         12
        .size:           4
        .value_kind:     by_value
      - .address_space:  global
        .offset:         16
        .size:           8
        .value_kind:     global_buffer
      - .offset:         24
        .size:           4
        .value_kind:     hidden_block_count_x
      - .offset:         28
        .size:           4
        .value_kind:     hidden_block_count_y
      - .offset:         32
        .size:           4
        .value_kind:     hidden_block_count_z
      - .offset:         36
        .size:           2
        .value_kind:     hidden_group_size_x
      - .offset:         38
        .size:           2
        .value_kind:     hidden_group_size_y
      - .offset:         40
        .size:           2
        .value_kind:     hidden_group_size_z
      - .offset:         42
        .size:           2
        .value_kind:     hidden_remainder_x
      - .offset:         44
        .size:           2
        .value_kind:     hidden_remainder_y
      - .offset:         46
        .size:           2
        .value_kind:     hidden_remainder_z
      - .offset:         64
        .size:           8
        .value_kind:     hidden_global_offset_x
      - .offset:         72
        .size:           8
        .value_kind:     hidden_global_offset_y
      - .offset:         80
        .size:           8
        .value_kind:     hidden_global_offset_z
      - .offset:         88
        .size:           2
        .value_kind:     hidden_grid_dims
    .group_segment_fixed_size: 0
    .kernarg_segment_align: 8
    .kernarg_segment_size: 280
    .language:       OpenCL C
    .language_version:
      - 2
      - 0
    .max_flat_workgroup_size: 256
    .name:           _ZN7rocprim6detail31init_lookback_scan_state_kernelINS0_19lookback_scan_stateI12hip_bfloat16Lb1ELb1EEEEEvT_jjPNS5_10value_typeE
    .private_segment_fixed_size: 0
    .sgpr_count:     18
    .sgpr_spill_count: 0
    .symbol:         _ZN7rocprim6detail31init_lookback_scan_state_kernelINS0_19lookback_scan_stateI12hip_bfloat16Lb1ELb1EEEEEvT_jjPNS5_10value_typeE.kd
    .uniform_work_group_size: 1
    .uses_dynamic_stack: false
    .vgpr_count:     6
    .vgpr_spill_count: 0
    .wavefront_size: 32
    .workgroup_processor_mode: 1
  - .args:
      - .address_space:  global
        .offset:         0
        .size:           8
        .value_kind:     global_buffer
      - .offset:         8
        .size:           4
        .value_kind:     by_value
      - .offset:         12
        .size:           4
        .value_kind:     by_value
      - .address_space:  global
        .offset:         16
        .size:           8
        .value_kind:     global_buffer
      - .offset:         24
        .size:           4
        .value_kind:     hidden_block_count_x
      - .offset:         28
        .size:           4
        .value_kind:     hidden_block_count_y
      - .offset:         32
        .size:           4
        .value_kind:     hidden_block_count_z
      - .offset:         36
        .size:           2
        .value_kind:     hidden_group_size_x
      - .offset:         38
        .size:           2
        .value_kind:     hidden_group_size_y
      - .offset:         40
        .size:           2
        .value_kind:     hidden_group_size_z
      - .offset:         42
        .size:           2
        .value_kind:     hidden_remainder_x
      - .offset:         44
        .size:           2
        .value_kind:     hidden_remainder_y
      - .offset:         46
        .size:           2
        .value_kind:     hidden_remainder_z
      - .offset:         64
        .size:           8
        .value_kind:     hidden_global_offset_x
      - .offset:         72
        .size:           8
        .value_kind:     hidden_global_offset_y
      - .offset:         80
        .size:           8
        .value_kind:     hidden_global_offset_z
      - .offset:         88
        .size:           2
        .value_kind:     hidden_grid_dims
    .group_segment_fixed_size: 0
    .kernarg_segment_align: 8
    .kernarg_segment_size: 280
    .language:       OpenCL C
    .language_version:
      - 2
      - 0
    .max_flat_workgroup_size: 256
    .name:           _ZN7rocprim6detail31init_lookback_scan_state_kernelINS0_19lookback_scan_stateI12hip_bfloat16Lb0ELb1EEEEEvT_jjPNS5_10value_typeE
    .private_segment_fixed_size: 0
    .sgpr_count:     18
    .sgpr_spill_count: 0
    .symbol:         _ZN7rocprim6detail31init_lookback_scan_state_kernelINS0_19lookback_scan_stateI12hip_bfloat16Lb0ELb1EEEEEvT_jjPNS5_10value_typeE.kd
    .uniform_work_group_size: 1
    .uses_dynamic_stack: false
    .vgpr_count:     6
    .vgpr_spill_count: 0
    .wavefront_size: 32
    .workgroup_processor_mode: 1
  - .args:
      - .address_space:  global
        .offset:         0
        .size:           8
        .value_kind:     global_buffer
      - .address_space:  global
        .offset:         8
        .size:           8
        .value_kind:     global_buffer
      - .offset:         16
        .size:           8
        .value_kind:     by_value
      - .offset:         24
        .size:           2
        .value_kind:     by_value
      - .offset:         26
        .size:           1
        .value_kind:     by_value
      - .address_space:  global
        .offset:         32
        .size:           8
        .value_kind:     global_buffer
      - .offset:         40
        .size:           4
        .value_kind:     by_value
      - .address_space:  global
        .offset:         48
        .size:           8
        .value_kind:     global_buffer
      - .address_space:  global
        .offset:         56
        .size:           8
        .value_kind:     global_buffer
      - .offset:         64
        .size:           1
        .value_kind:     by_value
      - .offset:         65
        .size:           1
        .value_kind:     by_value
    .group_segment_fixed_size: 0
    .kernarg_segment_align: 8
    .kernarg_segment_size: 68
    .language:       OpenCL C
    .language_version:
      - 2
      - 0
    .max_flat_workgroup_size: 64
    .name:           _ZN7rocprim6detail20lookback_scan_kernelILNS0_25lookback_scan_determinismE0ELb0ENS0_19wrapped_scan_configINS_14default_configE12hip_bfloat16EEPS5_S7_N6hipcub3MaxES5_S5_NS0_19lookback_scan_stateIS5_Lb1ELb1EEEEEvT2_T3_mT5_T4_T7_jPT6_SI_bb
    .private_segment_fixed_size: 0
    .sgpr_count:     0
    .sgpr_spill_count: 0
    .symbol:         _ZN7rocprim6detail20lookback_scan_kernelILNS0_25lookback_scan_determinismE0ELb0ENS0_19wrapped_scan_configINS_14default_configE12hip_bfloat16EEPS5_S7_N6hipcub3MaxES5_S5_NS0_19lookback_scan_stateIS5_Lb1ELb1EEEEEvT2_T3_mT5_T4_T7_jPT6_SI_bb.kd
    .uniform_work_group_size: 1
    .uses_dynamic_stack: false
    .vgpr_count:     0
    .vgpr_spill_count: 0
    .wavefront_size: 32
    .workgroup_processor_mode: 1
  - .args:
      - .address_space:  global
        .offset:         0
        .size:           8
        .value_kind:     global_buffer
      - .address_space:  global
        .offset:         8
        .size:           8
        .value_kind:     global_buffer
      - .offset:         16
        .size:           8
        .value_kind:     by_value
      - .offset:         24
        .size:           2
        .value_kind:     by_value
      - .offset:         26
        .size:           1
        .value_kind:     by_value
      - .address_space:  global
        .offset:         32
        .size:           8
        .value_kind:     global_buffer
      - .offset:         40
        .size:           4
        .value_kind:     by_value
      - .address_space:  global
        .offset:         48
        .size:           8
        .value_kind:     global_buffer
      - .address_space:  global
        .offset:         56
        .size:           8
        .value_kind:     global_buffer
      - .offset:         64
        .size:           1
        .value_kind:     by_value
      - .offset:         65
        .size:           1
        .value_kind:     by_value
    .group_segment_fixed_size: 2816
    .kernarg_segment_align: 8
    .kernarg_segment_size: 68
    .language:       OpenCL C
    .language_version:
      - 2
      - 0
    .max_flat_workgroup_size: 64
    .name:           _ZN7rocprim6detail20lookback_scan_kernelILNS0_25lookback_scan_determinismE0ELb0ENS0_19wrapped_scan_configINS_14default_configE12hip_bfloat16EEPS5_S7_N6hipcub3MaxES5_S5_NS0_19lookback_scan_stateIS5_Lb0ELb1EEEEEvT2_T3_mT5_T4_T7_jPT6_SI_bb
    .private_segment_fixed_size: 0
    .sgpr_count:     21
    .sgpr_spill_count: 0
    .symbol:         _ZN7rocprim6detail20lookback_scan_kernelILNS0_25lookback_scan_determinismE0ELb0ENS0_19wrapped_scan_configINS_14default_configE12hip_bfloat16EEPS5_S7_N6hipcub3MaxES5_S5_NS0_19lookback_scan_stateIS5_Lb0ELb1EEEEEvT2_T3_mT5_T4_T7_jPT6_SI_bb.kd
    .uniform_work_group_size: 1
    .uses_dynamic_stack: false
    .vgpr_count:     76
    .vgpr_spill_count: 0
    .wavefront_size: 32
    .workgroup_processor_mode: 1
  - .args:
      - .address_space:  global
        .offset:         0
        .size:           8
        .value_kind:     global_buffer
      - .offset:         8
        .size:           8
        .value_kind:     by_value
      - .address_space:  global
        .offset:         16
        .size:           8
        .value_kind:     global_buffer
      - .offset:         24
        .size:           1
        .value_kind:     by_value
      - .offset:         32
        .size:           4
        .value_kind:     hidden_block_count_x
      - .offset:         36
        .size:           4
        .value_kind:     hidden_block_count_y
      - .offset:         40
        .size:           4
        .value_kind:     hidden_block_count_z
      - .offset:         44
        .size:           2
        .value_kind:     hidden_group_size_x
      - .offset:         46
        .size:           2
        .value_kind:     hidden_group_size_y
      - .offset:         48
        .size:           2
        .value_kind:     hidden_group_size_z
      - .offset:         50
        .size:           2
        .value_kind:     hidden_remainder_x
      - .offset:         52
        .size:           2
        .value_kind:     hidden_remainder_y
      - .offset:         54
        .size:           2
        .value_kind:     hidden_remainder_z
      - .offset:         72
        .size:           8
        .value_kind:     hidden_global_offset_x
      - .offset:         80
        .size:           8
        .value_kind:     hidden_global_offset_y
      - .offset:         88
        .size:           8
        .value_kind:     hidden_global_offset_z
      - .offset:         96
        .size:           2
        .value_kind:     hidden_grid_dims
    .group_segment_fixed_size: 0
    .kernarg_segment_align: 8
    .kernarg_segment_size: 288
    .language:       OpenCL C
    .language_version:
      - 2
      - 0
    .max_flat_workgroup_size: 1024
    .name:           _ZN7rocprim6detail16transform_kernelINS0_24wrapped_transform_configINS_14default_configE12hip_bfloat16EES4_PS4_S6_NS_8identityIS4_EEEEvT1_mT2_T3_
    .private_segment_fixed_size: 0
    .sgpr_count:     18
    .sgpr_spill_count: 0
    .symbol:         _ZN7rocprim6detail16transform_kernelINS0_24wrapped_transform_configINS_14default_configE12hip_bfloat16EES4_PS4_S6_NS_8identityIS4_EEEEvT1_mT2_T3_.kd
    .uniform_work_group_size: 1
    .uses_dynamic_stack: false
    .vgpr_count:     6
    .vgpr_spill_count: 0
    .wavefront_size: 32
    .workgroup_processor_mode: 1
  - .args:
      - .address_space:  global
        .offset:         0
        .size:           8
        .value_kind:     global_buffer
      - .offset:         8
        .size:           8
        .value_kind:     by_value
      - .offset:         16
        .size:           2
        .value_kind:     by_value
      - .address_space:  global
        .offset:         24
        .size:           8
        .value_kind:     global_buffer
      - .offset:         32
        .size:           1
        .value_kind:     by_value
    .group_segment_fixed_size: 2816
    .kernarg_segment_align: 8
    .kernarg_segment_size: 36
    .language:       OpenCL C
    .language_version:
      - 2
      - 0
    .max_flat_workgroup_size: 64
    .name:           _ZN7rocprim6detail18single_scan_kernelILb0ENS0_19wrapped_scan_configINS_14default_configE12hip_bfloat16EEPS4_S6_N6hipcub3MaxES4_S4_EEvT1_mT4_T2_T3_
    .private_segment_fixed_size: 0
    .sgpr_count:     29
    .sgpr_spill_count: 0
    .symbol:         _ZN7rocprim6detail18single_scan_kernelILb0ENS0_19wrapped_scan_configINS_14default_configE12hip_bfloat16EEPS4_S6_N6hipcub3MaxES4_S4_EEvT1_mT4_T2_T3_.kd
    .uniform_work_group_size: 1
    .uses_dynamic_stack: false
    .vgpr_count:     61
    .vgpr_spill_count: 0
    .wavefront_size: 32
    .workgroup_processor_mode: 1
  - .args:
      - .offset:         0
        .size:           16
        .value_kind:     by_value
      - .address_space:  global
        .offset:         16
        .size:           8
        .value_kind:     global_buffer
      - .offset:         24
        .size:           8
        .value_kind:     by_value
      - .offset:         32
        .size:           4
        .value_kind:     by_value
      - .offset:         36
        .size:           1
        .value_kind:     by_value
      - .address_space:  global
        .offset:         40
        .size:           8
        .value_kind:     global_buffer
      - .offset:         48
        .size:           4
        .value_kind:     by_value
      - .address_space:  global
        .offset:         56
        .size:           8
        .value_kind:     global_buffer
      - .address_space:  global
        .offset:         64
        .size:           8
        .value_kind:     global_buffer
      - .offset:         72
        .size:           1
        .value_kind:     by_value
      - .offset:         73
        .size:           1
        .value_kind:     by_value
    .group_segment_fixed_size: 0
    .kernarg_segment_align: 8
    .kernarg_segment_size: 76
    .language:       OpenCL C
    .language_version:
      - 2
      - 0
    .max_flat_workgroup_size: 64
    .name:           _ZN7rocprim6detail20lookback_scan_kernelILNS0_25lookback_scan_determinismE0ELb0ENS0_19wrapped_scan_configINS_14default_configEiEEN6hipcub22TransformInputIteratorIiNS6_6CastOpIiEEPilEEPdNS6_3SumEiiNS0_19lookback_scan_stateIiLb1ELb1EEEEEvT2_T3_mT5_T4_T7_jPT6_SM_bb
    .private_segment_fixed_size: 0
    .sgpr_count:     0
    .sgpr_spill_count: 0
    .symbol:         _ZN7rocprim6detail20lookback_scan_kernelILNS0_25lookback_scan_determinismE0ELb0ENS0_19wrapped_scan_configINS_14default_configEiEEN6hipcub22TransformInputIteratorIiNS6_6CastOpIiEEPilEEPdNS6_3SumEiiNS0_19lookback_scan_stateIiLb1ELb1EEEEEvT2_T3_mT5_T4_T7_jPT6_SM_bb.kd
    .uniform_work_group_size: 1
    .uses_dynamic_stack: false
    .vgpr_count:     0
    .vgpr_spill_count: 0
    .wavefront_size: 32
    .workgroup_processor_mode: 1
  - .args:
      - .offset:         0
        .size:           16
        .value_kind:     by_value
      - .address_space:  global
        .offset:         16
        .size:           8
        .value_kind:     global_buffer
      - .offset:         24
        .size:           8
        .value_kind:     by_value
      - .offset:         32
        .size:           4
        .value_kind:     by_value
      - .offset:         36
        .size:           1
        .value_kind:     by_value
      - .address_space:  global
        .offset:         40
        .size:           8
        .value_kind:     global_buffer
      - .offset:         48
        .size:           4
        .value_kind:     by_value
      - .address_space:  global
        .offset:         56
        .size:           8
        .value_kind:     global_buffer
      - .address_space:  global
        .offset:         64
        .size:           8
        .value_kind:     global_buffer
      - .offset:         72
        .size:           1
        .value_kind:     by_value
      - .offset:         73
        .size:           1
        .value_kind:     by_value
    .group_segment_fixed_size: 4224
    .kernarg_segment_align: 8
    .kernarg_segment_size: 76
    .language:       OpenCL C
    .language_version:
      - 2
      - 0
    .max_flat_workgroup_size: 64
    .name:           _ZN7rocprim6detail20lookback_scan_kernelILNS0_25lookback_scan_determinismE0ELb0ENS0_19wrapped_scan_configINS_14default_configEiEEN6hipcub22TransformInputIteratorIiNS6_6CastOpIiEEPilEEPdNS6_3SumEiiNS0_19lookback_scan_stateIiLb0ELb1EEEEEvT2_T3_mT5_T4_T7_jPT6_SM_bb
    .private_segment_fixed_size: 0
    .sgpr_count:     37
    .sgpr_spill_count: 0
    .symbol:         _ZN7rocprim6detail20lookback_scan_kernelILNS0_25lookback_scan_determinismE0ELb0ENS0_19wrapped_scan_configINS_14default_configEiEEN6hipcub22TransformInputIteratorIiNS6_6CastOpIiEEPilEEPdNS6_3SumEiiNS0_19lookback_scan_stateIiLb0ELb1EEEEEvT2_T3_mT5_T4_T7_jPT6_SM_bb.kd
    .uniform_work_group_size: 1
    .uses_dynamic_stack: false
    .vgpr_count:     70
    .vgpr_spill_count: 0
    .wavefront_size: 32
    .workgroup_processor_mode: 1
  - .args:
      - .offset:         0
        .size:           16
        .value_kind:     by_value
      - .offset:         16
        .size:           8
        .value_kind:     by_value
      - .offset:         24
        .size:           4
        .value_kind:     by_value
      - .address_space:  global
        .offset:         32
        .size:           8
        .value_kind:     global_buffer
      - .offset:         40
        .size:           1
        .value_kind:     by_value
    .group_segment_fixed_size: 4224
    .kernarg_segment_align: 8
    .kernarg_segment_size: 44
    .language:       OpenCL C
    .language_version:
      - 2
      - 0
    .max_flat_workgroup_size: 64
    .name:           _ZN7rocprim6detail18single_scan_kernelILb0ENS0_19wrapped_scan_configINS_14default_configEiEEN6hipcub22TransformInputIteratorIiNS5_6CastOpIiEEPilEEPdNS5_3SumEiiEEvT1_mT4_T2_T3_
    .private_segment_fixed_size: 0
    .sgpr_count:     23
    .sgpr_spill_count: 0
    .symbol:         _ZN7rocprim6detail18single_scan_kernelILb0ENS0_19wrapped_scan_configINS_14default_configEiEEN6hipcub22TransformInputIteratorIiNS5_6CastOpIiEEPilEEPdNS5_3SumEiiEEvT1_mT4_T2_T3_.kd
    .uniform_work_group_size: 1
    .uses_dynamic_stack: false
    .vgpr_count:     43
    .vgpr_spill_count: 0
    .wavefront_size: 32
    .workgroup_processor_mode: 1
  - .args:
      - .address_space:  global
        .offset:         0
        .size:           8
        .value_kind:     global_buffer
      - .offset:         8
        .size:           4
        .value_kind:     by_value
      - .offset:         12
        .size:           4
        .value_kind:     by_value
      - .address_space:  global
        .offset:         16
        .size:           8
        .value_kind:     global_buffer
      - .offset:         24
        .size:           4
        .value_kind:     hidden_block_count_x
      - .offset:         28
        .size:           4
        .value_kind:     hidden_block_count_y
      - .offset:         32
        .size:           4
        .value_kind:     hidden_block_count_z
      - .offset:         36
        .size:           2
        .value_kind:     hidden_group_size_x
      - .offset:         38
        .size:           2
        .value_kind:     hidden_group_size_y
      - .offset:         40
        .size:           2
        .value_kind:     hidden_group_size_z
      - .offset:         42
        .size:           2
        .value_kind:     hidden_remainder_x
      - .offset:         44
        .size:           2
        .value_kind:     hidden_remainder_y
      - .offset:         46
        .size:           2
        .value_kind:     hidden_remainder_z
      - .offset:         64
        .size:           8
        .value_kind:     hidden_global_offset_x
      - .offset:         72
        .size:           8
        .value_kind:     hidden_global_offset_y
      - .offset:         80
        .size:           8
        .value_kind:     hidden_global_offset_z
      - .offset:         88
        .size:           2
        .value_kind:     hidden_grid_dims
    .group_segment_fixed_size: 0
    .kernarg_segment_align: 8
    .kernarg_segment_size: 280
    .language:       OpenCL C
    .language_version:
      - 2
      - 0
    .max_flat_workgroup_size: 256
    .name:           _ZN7rocprim6detail31init_lookback_scan_state_kernelINS0_19lookback_scan_stateIsLb1ELb1EEEEEvT_jjPNS4_10value_typeE
    .private_segment_fixed_size: 0
    .sgpr_count:     18
    .sgpr_spill_count: 0
    .symbol:         _ZN7rocprim6detail31init_lookback_scan_state_kernelINS0_19lookback_scan_stateIsLb1ELb1EEEEEvT_jjPNS4_10value_typeE.kd
    .uniform_work_group_size: 1
    .uses_dynamic_stack: false
    .vgpr_count:     6
    .vgpr_spill_count: 0
    .wavefront_size: 32
    .workgroup_processor_mode: 1
  - .args:
      - .address_space:  global
        .offset:         0
        .size:           8
        .value_kind:     global_buffer
      - .offset:         8
        .size:           4
        .value_kind:     by_value
      - .offset:         12
        .size:           4
        .value_kind:     by_value
      - .address_space:  global
        .offset:         16
        .size:           8
        .value_kind:     global_buffer
      - .offset:         24
        .size:           4
        .value_kind:     hidden_block_count_x
      - .offset:         28
        .size:           4
        .value_kind:     hidden_block_count_y
      - .offset:         32
        .size:           4
        .value_kind:     hidden_block_count_z
      - .offset:         36
        .size:           2
        .value_kind:     hidden_group_size_x
      - .offset:         38
        .size:           2
        .value_kind:     hidden_group_size_y
      - .offset:         40
        .size:           2
        .value_kind:     hidden_group_size_z
      - .offset:         42
        .size:           2
        .value_kind:     hidden_remainder_x
      - .offset:         44
        .size:           2
        .value_kind:     hidden_remainder_y
      - .offset:         46
        .size:           2
        .value_kind:     hidden_remainder_z
      - .offset:         64
        .size:           8
        .value_kind:     hidden_global_offset_x
      - .offset:         72
        .size:           8
        .value_kind:     hidden_global_offset_y
      - .offset:         80
        .size:           8
        .value_kind:     hidden_global_offset_z
      - .offset:         88
        .size:           2
        .value_kind:     hidden_grid_dims
    .group_segment_fixed_size: 0
    .kernarg_segment_align: 8
    .kernarg_segment_size: 280
    .language:       OpenCL C
    .language_version:
      - 2
      - 0
    .max_flat_workgroup_size: 256
    .name:           _ZN7rocprim6detail31init_lookback_scan_state_kernelINS0_19lookback_scan_stateIsLb0ELb1EEEEEvT_jjPNS4_10value_typeE
    .private_segment_fixed_size: 0
    .sgpr_count:     18
    .sgpr_spill_count: 0
    .symbol:         _ZN7rocprim6detail31init_lookback_scan_state_kernelINS0_19lookback_scan_stateIsLb0ELb1EEEEEvT_jjPNS4_10value_typeE.kd
    .uniform_work_group_size: 1
    .uses_dynamic_stack: false
    .vgpr_count:     6
    .vgpr_spill_count: 0
    .wavefront_size: 32
    .workgroup_processor_mode: 1
  - .args:
      - .offset:         0
        .size:           16
        .value_kind:     by_value
      - .address_space:  global
        .offset:         16
        .size:           8
        .value_kind:     global_buffer
      - .offset:         24
        .size:           8
        .value_kind:     by_value
      - .offset:         32
        .size:           2
        .value_kind:     by_value
      - .offset:         34
        .size:           1
        .value_kind:     by_value
      - .address_space:  global
        .offset:         40
        .size:           8
        .value_kind:     global_buffer
      - .offset:         48
        .size:           4
        .value_kind:     by_value
      - .address_space:  global
        .offset:         56
        .size:           8
        .value_kind:     global_buffer
      - .address_space:  global
        .offset:         64
        .size:           8
        .value_kind:     global_buffer
      - .offset:         72
        .size:           1
        .value_kind:     by_value
      - .offset:         73
        .size:           1
        .value_kind:     by_value
    .group_segment_fixed_size: 0
    .kernarg_segment_align: 8
    .kernarg_segment_size: 76
    .language:       OpenCL C
    .language_version:
      - 2
      - 0
    .max_flat_workgroup_size: 64
    .name:           _ZN7rocprim6detail20lookback_scan_kernelILNS0_25lookback_scan_determinismE0ELb0ENS0_19wrapped_scan_configINS_14default_configEsEEN6hipcub22TransformInputIteratorIsNS6_6CastOpIsEEPslEEPfNS6_3MaxEssNS0_19lookback_scan_stateIsLb1ELb1EEEEEvT2_T3_mT5_T4_T7_jPT6_SM_bb
    .private_segment_fixed_size: 0
    .sgpr_count:     0
    .sgpr_spill_count: 0
    .symbol:         _ZN7rocprim6detail20lookback_scan_kernelILNS0_25lookback_scan_determinismE0ELb0ENS0_19wrapped_scan_configINS_14default_configEsEEN6hipcub22TransformInputIteratorIsNS6_6CastOpIsEEPslEEPfNS6_3MaxEssNS0_19lookback_scan_stateIsLb1ELb1EEEEEvT2_T3_mT5_T4_T7_jPT6_SM_bb.kd
    .uniform_work_group_size: 1
    .uses_dynamic_stack: false
    .vgpr_count:     0
    .vgpr_spill_count: 0
    .wavefront_size: 32
    .workgroup_processor_mode: 1
  - .args:
      - .offset:         0
        .size:           16
        .value_kind:     by_value
      - .address_space:  global
        .offset:         16
        .size:           8
        .value_kind:     global_buffer
      - .offset:         24
        .size:           8
        .value_kind:     by_value
      - .offset:         32
        .size:           2
        .value_kind:     by_value
      - .offset:         34
        .size:           1
        .value_kind:     by_value
      - .address_space:  global
        .offset:         40
        .size:           8
        .value_kind:     global_buffer
      - .offset:         48
        .size:           4
        .value_kind:     by_value
      - .address_space:  global
        .offset:         56
        .size:           8
        .value_kind:     global_buffer
      - .address_space:  global
        .offset:         64
        .size:           8
        .value_kind:     global_buffer
      - .offset:         72
        .size:           1
        .value_kind:     by_value
      - .offset:         73
        .size:           1
        .value_kind:     by_value
    .group_segment_fixed_size: 2816
    .kernarg_segment_align: 8
    .kernarg_segment_size: 76
    .language:       OpenCL C
    .language_version:
      - 2
      - 0
    .max_flat_workgroup_size: 64
    .name:           _ZN7rocprim6detail20lookback_scan_kernelILNS0_25lookback_scan_determinismE0ELb0ENS0_19wrapped_scan_configINS_14default_configEsEEN6hipcub22TransformInputIteratorIsNS6_6CastOpIsEEPslEEPfNS6_3MaxEssNS0_19lookback_scan_stateIsLb0ELb1EEEEEvT2_T3_mT5_T4_T7_jPT6_SM_bb
    .private_segment_fixed_size: 0
    .sgpr_count:     22
    .sgpr_spill_count: 0
    .symbol:         _ZN7rocprim6detail20lookback_scan_kernelILNS0_25lookback_scan_determinismE0ELb0ENS0_19wrapped_scan_configINS_14default_configEsEEN6hipcub22TransformInputIteratorIsNS6_6CastOpIsEEPslEEPfNS6_3MaxEssNS0_19lookback_scan_stateIsLb0ELb1EEEEEvT2_T3_mT5_T4_T7_jPT6_SM_bb.kd
    .uniform_work_group_size: 1
    .uses_dynamic_stack: false
    .vgpr_count:     49
    .vgpr_spill_count: 0
    .wavefront_size: 32
    .workgroup_processor_mode: 1
  - .args:
      - .address_space:  global
        .offset:         0
        .size:           8
        .value_kind:     global_buffer
      - .offset:         8
        .size:           8
        .value_kind:     by_value
      - .address_space:  global
        .offset:         16
        .size:           8
        .value_kind:     global_buffer
      - .offset:         24
        .size:           1
        .value_kind:     by_value
      - .offset:         32
        .size:           4
        .value_kind:     hidden_block_count_x
      - .offset:         36
        .size:           4
        .value_kind:     hidden_block_count_y
      - .offset:         40
        .size:           4
        .value_kind:     hidden_block_count_z
      - .offset:         44
        .size:           2
        .value_kind:     hidden_group_size_x
      - .offset:         46
        .size:           2
        .value_kind:     hidden_group_size_y
      - .offset:         48
        .size:           2
        .value_kind:     hidden_group_size_z
      - .offset:         50
        .size:           2
        .value_kind:     hidden_remainder_x
      - .offset:         52
        .size:           2
        .value_kind:     hidden_remainder_y
      - .offset:         54
        .size:           2
        .value_kind:     hidden_remainder_z
      - .offset:         72
        .size:           8
        .value_kind:     hidden_global_offset_x
      - .offset:         80
        .size:           8
        .value_kind:     hidden_global_offset_y
      - .offset:         88
        .size:           8
        .value_kind:     hidden_global_offset_z
      - .offset:         96
        .size:           2
        .value_kind:     hidden_grid_dims
    .group_segment_fixed_size: 0
    .kernarg_segment_align: 8
    .kernarg_segment_size: 288
    .language:       OpenCL C
    .language_version:
      - 2
      - 0
    .max_flat_workgroup_size: 1024
    .name:           _ZN7rocprim6detail16transform_kernelINS0_24wrapped_transform_configINS_14default_configEsEEsPsS5_NS_8identityIsEEEEvT1_mT2_T3_
    .private_segment_fixed_size: 0
    .sgpr_count:     18
    .sgpr_spill_count: 0
    .symbol:         _ZN7rocprim6detail16transform_kernelINS0_24wrapped_transform_configINS_14default_configEsEEsPsS5_NS_8identityIsEEEEvT1_mT2_T3_.kd
    .uniform_work_group_size: 1
    .uses_dynamic_stack: false
    .vgpr_count:     6
    .vgpr_spill_count: 0
    .wavefront_size: 32
    .workgroup_processor_mode: 1
  - .args:
      - .offset:         0
        .size:           16
        .value_kind:     by_value
      - .offset:         16
        .size:           8
        .value_kind:     by_value
      - .offset:         24
        .size:           2
        .value_kind:     by_value
      - .address_space:  global
        .offset:         32
        .size:           8
        .value_kind:     global_buffer
      - .offset:         40
        .size:           1
        .value_kind:     by_value
    .group_segment_fixed_size: 2816
    .kernarg_segment_align: 8
    .kernarg_segment_size: 44
    .language:       OpenCL C
    .language_version:
      - 2
      - 0
    .max_flat_workgroup_size: 64
    .name:           _ZN7rocprim6detail18single_scan_kernelILb0ENS0_19wrapped_scan_configINS_14default_configEsEEN6hipcub22TransformInputIteratorIsNS5_6CastOpIsEEPslEEPfNS5_3MaxEssEEvT1_mT4_T2_T3_
    .private_segment_fixed_size: 0
    .sgpr_count:     28
    .sgpr_spill_count: 0
    .symbol:         _ZN7rocprim6detail18single_scan_kernelILb0ENS0_19wrapped_scan_configINS_14default_configEsEEN6hipcub22TransformInputIteratorIsNS5_6CastOpIsEEPslEEPfNS5_3MaxEssEEvT1_mT4_T2_T3_.kd
    .uniform_work_group_size: 1
    .uses_dynamic_stack: false
    .vgpr_count:     34
    .vgpr_spill_count: 0
    .wavefront_size: 32
    .workgroup_processor_mode: 1
  - .args:
      - .address_space:  global
        .offset:         0
        .size:           8
        .value_kind:     global_buffer
      - .offset:         8
        .size:           4
        .value_kind:     by_value
      - .offset:         12
        .size:           4
        .value_kind:     by_value
      - .address_space:  global
        .offset:         16
        .size:           8
        .value_kind:     global_buffer
      - .offset:         24
        .size:           4
        .value_kind:     hidden_block_count_x
      - .offset:         28
        .size:           4
        .value_kind:     hidden_block_count_y
      - .offset:         32
        .size:           4
        .value_kind:     hidden_block_count_z
      - .offset:         36
        .size:           2
        .value_kind:     hidden_group_size_x
      - .offset:         38
        .size:           2
        .value_kind:     hidden_group_size_y
      - .offset:         40
        .size:           2
        .value_kind:     hidden_group_size_z
      - .offset:         42
        .size:           2
        .value_kind:     hidden_remainder_x
      - .offset:         44
        .size:           2
        .value_kind:     hidden_remainder_y
      - .offset:         46
        .size:           2
        .value_kind:     hidden_remainder_z
      - .offset:         64
        .size:           8
        .value_kind:     hidden_global_offset_x
      - .offset:         72
        .size:           8
        .value_kind:     hidden_global_offset_y
      - .offset:         80
        .size:           8
        .value_kind:     hidden_global_offset_z
      - .offset:         88
        .size:           2
        .value_kind:     hidden_grid_dims
    .group_segment_fixed_size: 0
    .kernarg_segment_align: 8
    .kernarg_segment_size: 280
    .language:       OpenCL C
    .language_version:
      - 2
      - 0
    .max_flat_workgroup_size: 256
    .name:           _ZN7rocprim6detail31init_lookback_scan_state_kernelINS0_19lookback_scan_stateImLb1ELb1EEEEEvT_jjPNS4_10value_typeE
    .private_segment_fixed_size: 0
    .sgpr_count:     18
    .sgpr_spill_count: 0
    .symbol:         _ZN7rocprim6detail31init_lookback_scan_state_kernelINS0_19lookback_scan_stateImLb1ELb1EEEEEvT_jjPNS4_10value_typeE.kd
    .uniform_work_group_size: 1
    .uses_dynamic_stack: false
    .vgpr_count:     9
    .vgpr_spill_count: 0
    .wavefront_size: 32
    .workgroup_processor_mode: 1
  - .args:
      - .address_space:  global
        .offset:         0
        .size:           8
        .value_kind:     global_buffer
      - .offset:         8
        .size:           4
        .value_kind:     by_value
      - .offset:         12
        .size:           4
        .value_kind:     by_value
      - .address_space:  global
        .offset:         16
        .size:           8
        .value_kind:     global_buffer
      - .offset:         24
        .size:           4
        .value_kind:     hidden_block_count_x
      - .offset:         28
        .size:           4
        .value_kind:     hidden_block_count_y
      - .offset:         32
        .size:           4
        .value_kind:     hidden_block_count_z
      - .offset:         36
        .size:           2
        .value_kind:     hidden_group_size_x
      - .offset:         38
        .size:           2
        .value_kind:     hidden_group_size_y
      - .offset:         40
        .size:           2
        .value_kind:     hidden_group_size_z
      - .offset:         42
        .size:           2
        .value_kind:     hidden_remainder_x
      - .offset:         44
        .size:           2
        .value_kind:     hidden_remainder_y
      - .offset:         46
        .size:           2
        .value_kind:     hidden_remainder_z
      - .offset:         64
        .size:           8
        .value_kind:     hidden_global_offset_x
      - .offset:         72
        .size:           8
        .value_kind:     hidden_global_offset_y
      - .offset:         80
        .size:           8
        .value_kind:     hidden_global_offset_z
      - .offset:         88
        .size:           2
        .value_kind:     hidden_grid_dims
    .group_segment_fixed_size: 0
    .kernarg_segment_align: 8
    .kernarg_segment_size: 280
    .language:       OpenCL C
    .language_version:
      - 2
      - 0
    .max_flat_workgroup_size: 256
    .name:           _ZN7rocprim6detail31init_lookback_scan_state_kernelINS0_19lookback_scan_stateImLb0ELb1EEEEEvT_jjPNS4_10value_typeE
    .private_segment_fixed_size: 0
    .sgpr_count:     18
    .sgpr_spill_count: 0
    .symbol:         _ZN7rocprim6detail31init_lookback_scan_state_kernelINS0_19lookback_scan_stateImLb0ELb1EEEEEvT_jjPNS4_10value_typeE.kd
    .uniform_work_group_size: 1
    .uses_dynamic_stack: false
    .vgpr_count:     9
    .vgpr_spill_count: 0
    .wavefront_size: 32
    .workgroup_processor_mode: 1
  - .args:
      - .address_space:  global
        .offset:         0
        .size:           8
        .value_kind:     global_buffer
      - .address_space:  global
        .offset:         8
        .size:           8
        .value_kind:     global_buffer
      - .offset:         16
        .size:           8
        .value_kind:     by_value
      - .offset:         24
        .size:           8
        .value_kind:     by_value
      - .offset:         32
        .size:           1
        .value_kind:     by_value
      - .address_space:  global
        .offset:         40
        .size:           8
        .value_kind:     global_buffer
      - .offset:         48
        .size:           4
        .value_kind:     by_value
      - .address_space:  global
        .offset:         56
        .size:           8
        .value_kind:     global_buffer
      - .address_space:  global
        .offset:         64
        .size:           8
        .value_kind:     global_buffer
      - .offset:         72
        .size:           1
        .value_kind:     by_value
      - .offset:         73
        .size:           1
        .value_kind:     by_value
    .group_segment_fixed_size: 0
    .kernarg_segment_align: 8
    .kernarg_segment_size: 76
    .language:       OpenCL C
    .language_version:
      - 2
      - 0
    .max_flat_workgroup_size: 256
    .name:           _ZN7rocprim6detail20lookback_scan_kernelILNS0_25lookback_scan_determinismE0ELb0ENS0_19wrapped_scan_configINS_14default_configEmEEPmS6_N6hipcub3SumEmmNS0_19lookback_scan_stateImLb1ELb1EEEEEvT2_T3_mT5_T4_T7_jPT6_SH_bb
    .private_segment_fixed_size: 0
    .sgpr_count:     0
    .sgpr_spill_count: 0
    .symbol:         _ZN7rocprim6detail20lookback_scan_kernelILNS0_25lookback_scan_determinismE0ELb0ENS0_19wrapped_scan_configINS_14default_configEmEEPmS6_N6hipcub3SumEmmNS0_19lookback_scan_stateImLb1ELb1EEEEEvT2_T3_mT5_T4_T7_jPT6_SH_bb.kd
    .uniform_work_group_size: 1
    .uses_dynamic_stack: false
    .vgpr_count:     0
    .vgpr_spill_count: 0
    .wavefront_size: 32
    .workgroup_processor_mode: 1
  - .args:
      - .address_space:  global
        .offset:         0
        .size:           8
        .value_kind:     global_buffer
      - .address_space:  global
        .offset:         8
        .size:           8
        .value_kind:     global_buffer
      - .offset:         16
        .size:           8
        .value_kind:     by_value
      - .offset:         24
        .size:           8
        .value_kind:     by_value
      - .offset:         32
        .size:           1
        .value_kind:     by_value
      - .address_space:  global
        .offset:         40
        .size:           8
        .value_kind:     global_buffer
      - .offset:         48
        .size:           4
        .value_kind:     by_value
      - .address_space:  global
        .offset:         56
        .size:           8
        .value_kind:     global_buffer
      - .address_space:  global
        .offset:         64
        .size:           8
        .value_kind:     global_buffer
      - .offset:         72
        .size:           1
        .value_kind:     by_value
      - .offset:         73
        .size:           1
        .value_kind:     by_value
    .group_segment_fixed_size: 33792
    .kernarg_segment_align: 8
    .kernarg_segment_size: 76
    .language:       OpenCL C
    .language_version:
      - 2
      - 0
    .max_flat_workgroup_size: 256
    .name:           _ZN7rocprim6detail20lookback_scan_kernelILNS0_25lookback_scan_determinismE0ELb0ENS0_19wrapped_scan_configINS_14default_configEmEEPmS6_N6hipcub3SumEmmNS0_19lookback_scan_stateImLb0ELb1EEEEEvT2_T3_mT5_T4_T7_jPT6_SH_bb
    .private_segment_fixed_size: 0
    .sgpr_count:     70
    .sgpr_spill_count: 0
    .symbol:         _ZN7rocprim6detail20lookback_scan_kernelILNS0_25lookback_scan_determinismE0ELb0ENS0_19wrapped_scan_configINS_14default_configEmEEPmS6_N6hipcub3SumEmmNS0_19lookback_scan_stateImLb0ELb1EEEEEvT2_T3_mT5_T4_T7_jPT6_SH_bb.kd
    .uniform_work_group_size: 1
    .uses_dynamic_stack: false
    .vgpr_count:     96
    .vgpr_spill_count: 0
    .wavefront_size: 32
    .workgroup_processor_mode: 1
  - .args:
      - .address_space:  global
        .offset:         0
        .size:           8
        .value_kind:     global_buffer
      - .offset:         8
        .size:           8
        .value_kind:     by_value
      - .address_space:  global
        .offset:         16
        .size:           8
        .value_kind:     global_buffer
      - .offset:         24
        .size:           1
        .value_kind:     by_value
      - .offset:         32
        .size:           4
        .value_kind:     hidden_block_count_x
      - .offset:         36
        .size:           4
        .value_kind:     hidden_block_count_y
      - .offset:         40
        .size:           4
        .value_kind:     hidden_block_count_z
      - .offset:         44
        .size:           2
        .value_kind:     hidden_group_size_x
      - .offset:         46
        .size:           2
        .value_kind:     hidden_group_size_y
      - .offset:         48
        .size:           2
        .value_kind:     hidden_group_size_z
      - .offset:         50
        .size:           2
        .value_kind:     hidden_remainder_x
      - .offset:         52
        .size:           2
        .value_kind:     hidden_remainder_y
      - .offset:         54
        .size:           2
        .value_kind:     hidden_remainder_z
      - .offset:         72
        .size:           8
        .value_kind:     hidden_global_offset_x
      - .offset:         80
        .size:           8
        .value_kind:     hidden_global_offset_y
      - .offset:         88
        .size:           8
        .value_kind:     hidden_global_offset_z
      - .offset:         96
        .size:           2
        .value_kind:     hidden_grid_dims
    .group_segment_fixed_size: 0
    .kernarg_segment_align: 8
    .kernarg_segment_size: 288
    .language:       OpenCL C
    .language_version:
      - 2
      - 0
    .max_flat_workgroup_size: 512
    .name:           _ZN7rocprim6detail16transform_kernelINS0_24wrapped_transform_configINS_14default_configEmEEmPmS5_NS_8identityImEEEEvT1_mT2_T3_
    .private_segment_fixed_size: 0
    .sgpr_count:     18
    .sgpr_spill_count: 0
    .symbol:         _ZN7rocprim6detail16transform_kernelINS0_24wrapped_transform_configINS_14default_configEmEEmPmS5_NS_8identityImEEEEvT1_mT2_T3_.kd
    .uniform_work_group_size: 1
    .uses_dynamic_stack: false
    .vgpr_count:     5
    .vgpr_spill_count: 0
    .wavefront_size: 32
    .workgroup_processor_mode: 1
  - .args:
      - .address_space:  global
        .offset:         0
        .size:           8
        .value_kind:     global_buffer
      - .offset:         8
        .size:           8
        .value_kind:     by_value
      - .offset:         16
        .size:           8
        .value_kind:     by_value
      - .address_space:  global
        .offset:         24
        .size:           8
        .value_kind:     global_buffer
      - .offset:         32
        .size:           1
        .value_kind:     by_value
    .group_segment_fixed_size: 33792
    .kernarg_segment_align: 8
    .kernarg_segment_size: 36
    .language:       OpenCL C
    .language_version:
      - 2
      - 0
    .max_flat_workgroup_size: 256
    .name:           _ZN7rocprim6detail18single_scan_kernelILb0ENS0_19wrapped_scan_configINS_14default_configEmEEPmS5_N6hipcub3SumEmmEEvT1_mT4_T2_T3_
    .private_segment_fixed_size: 0
    .sgpr_count:     70
    .sgpr_spill_count: 0
    .symbol:         _ZN7rocprim6detail18single_scan_kernelILb0ENS0_19wrapped_scan_configINS_14default_configEmEEPmS5_N6hipcub3SumEmmEEvT1_mT4_T2_T3_.kd
    .uniform_work_group_size: 1
    .uses_dynamic_stack: false
    .vgpr_count:     79
    .vgpr_spill_count: 0
    .wavefront_size: 32
    .workgroup_processor_mode: 1
  - .args:
      - .address_space:  global
        .offset:         0
        .size:           8
        .value_kind:     global_buffer
      - .offset:         8
        .size:           4
        .value_kind:     by_value
      - .offset:         12
        .size:           4
        .value_kind:     by_value
      - .address_space:  global
        .offset:         16
        .size:           8
        .value_kind:     global_buffer
      - .offset:         24
        .size:           4
        .value_kind:     hidden_block_count_x
      - .offset:         28
        .size:           4
        .value_kind:     hidden_block_count_y
      - .offset:         32
        .size:           4
        .value_kind:     hidden_block_count_z
      - .offset:         36
        .size:           2
        .value_kind:     hidden_group_size_x
      - .offset:         38
        .size:           2
        .value_kind:     hidden_group_size_y
      - .offset:         40
        .size:           2
        .value_kind:     hidden_group_size_z
      - .offset:         42
        .size:           2
        .value_kind:     hidden_remainder_x
      - .offset:         44
        .size:           2
        .value_kind:     hidden_remainder_y
      - .offset:         46
        .size:           2
        .value_kind:     hidden_remainder_z
      - .offset:         64
        .size:           8
        .value_kind:     hidden_global_offset_x
      - .offset:         72
        .size:           8
        .value_kind:     hidden_global_offset_y
      - .offset:         80
        .size:           8
        .value_kind:     hidden_global_offset_z
      - .offset:         88
        .size:           2
        .value_kind:     hidden_grid_dims
    .group_segment_fixed_size: 0
    .kernarg_segment_align: 8
    .kernarg_segment_size: 280
    .language:       OpenCL C
    .language_version:
      - 2
      - 0
    .max_flat_workgroup_size: 256
    .name:           _ZN7rocprim6detail31init_lookback_scan_state_kernelINS0_19lookback_scan_stateIyLb1ELb1EEEEEvT_jjPNS4_10value_typeE
    .private_segment_fixed_size: 0
    .sgpr_count:     18
    .sgpr_spill_count: 0
    .symbol:         _ZN7rocprim6detail31init_lookback_scan_state_kernelINS0_19lookback_scan_stateIyLb1ELb1EEEEEvT_jjPNS4_10value_typeE.kd
    .uniform_work_group_size: 1
    .uses_dynamic_stack: false
    .vgpr_count:     9
    .vgpr_spill_count: 0
    .wavefront_size: 32
    .workgroup_processor_mode: 1
  - .args:
      - .address_space:  global
        .offset:         0
        .size:           8
        .value_kind:     global_buffer
      - .offset:         8
        .size:           4
        .value_kind:     by_value
      - .offset:         12
        .size:           4
        .value_kind:     by_value
      - .address_space:  global
        .offset:         16
        .size:           8
        .value_kind:     global_buffer
      - .offset:         24
        .size:           4
        .value_kind:     hidden_block_count_x
      - .offset:         28
        .size:           4
        .value_kind:     hidden_block_count_y
      - .offset:         32
        .size:           4
        .value_kind:     hidden_block_count_z
      - .offset:         36
        .size:           2
        .value_kind:     hidden_group_size_x
      - .offset:         38
        .size:           2
        .value_kind:     hidden_group_size_y
      - .offset:         40
        .size:           2
        .value_kind:     hidden_group_size_z
      - .offset:         42
        .size:           2
        .value_kind:     hidden_remainder_x
      - .offset:         44
        .size:           2
        .value_kind:     hidden_remainder_y
      - .offset:         46
        .size:           2
        .value_kind:     hidden_remainder_z
      - .offset:         64
        .size:           8
        .value_kind:     hidden_global_offset_x
      - .offset:         72
        .size:           8
        .value_kind:     hidden_global_offset_y
      - .offset:         80
        .size:           8
        .value_kind:     hidden_global_offset_z
      - .offset:         88
        .size:           2
        .value_kind:     hidden_grid_dims
    .group_segment_fixed_size: 0
    .kernarg_segment_align: 8
    .kernarg_segment_size: 280
    .language:       OpenCL C
    .language_version:
      - 2
      - 0
    .max_flat_workgroup_size: 256
    .name:           _ZN7rocprim6detail31init_lookback_scan_state_kernelINS0_19lookback_scan_stateIyLb0ELb1EEEEEvT_jjPNS4_10value_typeE
    .private_segment_fixed_size: 0
    .sgpr_count:     18
    .sgpr_spill_count: 0
    .symbol:         _ZN7rocprim6detail31init_lookback_scan_state_kernelINS0_19lookback_scan_stateIyLb0ELb1EEEEEvT_jjPNS4_10value_typeE.kd
    .uniform_work_group_size: 1
    .uses_dynamic_stack: false
    .vgpr_count:     9
    .vgpr_spill_count: 0
    .wavefront_size: 32
    .workgroup_processor_mode: 1
  - .args:
      - .address_space:  global
        .offset:         0
        .size:           8
        .value_kind:     global_buffer
      - .address_space:  global
        .offset:         8
        .size:           8
        .value_kind:     global_buffer
      - .offset:         16
        .size:           8
        .value_kind:     by_value
      - .offset:         24
        .size:           8
        .value_kind:     by_value
      - .offset:         32
        .size:           1
        .value_kind:     by_value
      - .address_space:  global
        .offset:         40
        .size:           8
        .value_kind:     global_buffer
      - .offset:         48
        .size:           4
        .value_kind:     by_value
      - .address_space:  global
        .offset:         56
        .size:           8
        .value_kind:     global_buffer
      - .address_space:  global
        .offset:         64
        .size:           8
        .value_kind:     global_buffer
      - .offset:         72
        .size:           1
        .value_kind:     by_value
      - .offset:         73
        .size:           1
        .value_kind:     by_value
    .group_segment_fixed_size: 0
    .kernarg_segment_align: 8
    .kernarg_segment_size: 76
    .language:       OpenCL C
    .language_version:
      - 2
      - 0
    .max_flat_workgroup_size: 256
    .name:           _ZN7rocprim6detail20lookback_scan_kernelILNS0_25lookback_scan_determinismE0ELb0ENS0_19wrapped_scan_configINS_14default_configEyEEPyS6_N6hipcub3MinEyyNS0_19lookback_scan_stateIyLb1ELb1EEEEEvT2_T3_mT5_T4_T7_jPT6_SH_bb
    .private_segment_fixed_size: 0
    .sgpr_count:     0
    .sgpr_spill_count: 0
    .symbol:         _ZN7rocprim6detail20lookback_scan_kernelILNS0_25lookback_scan_determinismE0ELb0ENS0_19wrapped_scan_configINS_14default_configEyEEPyS6_N6hipcub3MinEyyNS0_19lookback_scan_stateIyLb1ELb1EEEEEvT2_T3_mT5_T4_T7_jPT6_SH_bb.kd
    .uniform_work_group_size: 1
    .uses_dynamic_stack: false
    .vgpr_count:     0
    .vgpr_spill_count: 0
    .wavefront_size: 32
    .workgroup_processor_mode: 1
  - .args:
      - .address_space:  global
        .offset:         0
        .size:           8
        .value_kind:     global_buffer
      - .address_space:  global
        .offset:         8
        .size:           8
        .value_kind:     global_buffer
      - .offset:         16
        .size:           8
        .value_kind:     by_value
      - .offset:         24
        .size:           8
        .value_kind:     by_value
      - .offset:         32
        .size:           1
        .value_kind:     by_value
      - .address_space:  global
        .offset:         40
        .size:           8
        .value_kind:     global_buffer
      - .offset:         48
        .size:           4
        .value_kind:     by_value
      - .address_space:  global
        .offset:         56
        .size:           8
        .value_kind:     global_buffer
      - .address_space:  global
        .offset:         64
        .size:           8
        .value_kind:     global_buffer
      - .offset:         72
        .size:           1
        .value_kind:     by_value
      - .offset:         73
        .size:           1
        .value_kind:     by_value
    .group_segment_fixed_size: 33792
    .kernarg_segment_align: 8
    .kernarg_segment_size: 76
    .language:       OpenCL C
    .language_version:
      - 2
      - 0
    .max_flat_workgroup_size: 256
    .name:           _ZN7rocprim6detail20lookback_scan_kernelILNS0_25lookback_scan_determinismE0ELb0ENS0_19wrapped_scan_configINS_14default_configEyEEPyS6_N6hipcub3MinEyyNS0_19lookback_scan_stateIyLb0ELb1EEEEEvT2_T3_mT5_T4_T7_jPT6_SH_bb
    .private_segment_fixed_size: 0
    .sgpr_count:     70
    .sgpr_spill_count: 0
    .symbol:         _ZN7rocprim6detail20lookback_scan_kernelILNS0_25lookback_scan_determinismE0ELb0ENS0_19wrapped_scan_configINS_14default_configEyEEPyS6_N6hipcub3MinEyyNS0_19lookback_scan_stateIyLb0ELb1EEEEEvT2_T3_mT5_T4_T7_jPT6_SH_bb.kd
    .uniform_work_group_size: 1
    .uses_dynamic_stack: false
    .vgpr_count:     96
    .vgpr_spill_count: 0
    .wavefront_size: 32
    .workgroup_processor_mode: 1
  - .args:
      - .address_space:  global
        .offset:         0
        .size:           8
        .value_kind:     global_buffer
      - .offset:         8
        .size:           8
        .value_kind:     by_value
      - .address_space:  global
        .offset:         16
        .size:           8
        .value_kind:     global_buffer
      - .offset:         24
        .size:           1
        .value_kind:     by_value
      - .offset:         32
        .size:           4
        .value_kind:     hidden_block_count_x
      - .offset:         36
        .size:           4
        .value_kind:     hidden_block_count_y
      - .offset:         40
        .size:           4
        .value_kind:     hidden_block_count_z
      - .offset:         44
        .size:           2
        .value_kind:     hidden_group_size_x
      - .offset:         46
        .size:           2
        .value_kind:     hidden_group_size_y
      - .offset:         48
        .size:           2
        .value_kind:     hidden_group_size_z
      - .offset:         50
        .size:           2
        .value_kind:     hidden_remainder_x
      - .offset:         52
        .size:           2
        .value_kind:     hidden_remainder_y
      - .offset:         54
        .size:           2
        .value_kind:     hidden_remainder_z
      - .offset:         72
        .size:           8
        .value_kind:     hidden_global_offset_x
      - .offset:         80
        .size:           8
        .value_kind:     hidden_global_offset_y
      - .offset:         88
        .size:           8
        .value_kind:     hidden_global_offset_z
      - .offset:         96
        .size:           2
        .value_kind:     hidden_grid_dims
    .group_segment_fixed_size: 0
    .kernarg_segment_align: 8
    .kernarg_segment_size: 288
    .language:       OpenCL C
    .language_version:
      - 2
      - 0
    .max_flat_workgroup_size: 512
    .name:           _ZN7rocprim6detail16transform_kernelINS0_24wrapped_transform_configINS_14default_configEyEEyPyS5_NS_8identityIyEEEEvT1_mT2_T3_
    .private_segment_fixed_size: 0
    .sgpr_count:     18
    .sgpr_spill_count: 0
    .symbol:         _ZN7rocprim6detail16transform_kernelINS0_24wrapped_transform_configINS_14default_configEyEEyPyS5_NS_8identityIyEEEEvT1_mT2_T3_.kd
    .uniform_work_group_size: 1
    .uses_dynamic_stack: false
    .vgpr_count:     5
    .vgpr_spill_count: 0
    .wavefront_size: 32
    .workgroup_processor_mode: 1
  - .args:
      - .address_space:  global
        .offset:         0
        .size:           8
        .value_kind:     global_buffer
      - .offset:         8
        .size:           8
        .value_kind:     by_value
      - .offset:         16
        .size:           8
        .value_kind:     by_value
      - .address_space:  global
        .offset:         24
        .size:           8
        .value_kind:     global_buffer
      - .offset:         32
        .size:           1
        .value_kind:     by_value
    .group_segment_fixed_size: 33792
    .kernarg_segment_align: 8
    .kernarg_segment_size: 36
    .language:       OpenCL C
    .language_version:
      - 2
      - 0
    .max_flat_workgroup_size: 256
    .name:           _ZN7rocprim6detail18single_scan_kernelILb0ENS0_19wrapped_scan_configINS_14default_configEyEEPyS5_N6hipcub3MinEyyEEvT1_mT4_T2_T3_
    .private_segment_fixed_size: 0
    .sgpr_count:     70
    .sgpr_spill_count: 0
    .symbol:         _ZN7rocprim6detail18single_scan_kernelILb0ENS0_19wrapped_scan_configINS_14default_configEyEEPyS5_N6hipcub3MinEyyEEvT1_mT4_T2_T3_.kd
    .uniform_work_group_size: 1
    .uses_dynamic_stack: false
    .vgpr_count:     76
    .vgpr_spill_count: 0
    .wavefront_size: 32
    .workgroup_processor_mode: 1
  - .args:
      - .address_space:  global
        .offset:         0
        .size:           8
        .value_kind:     global_buffer
      - .offset:         8
        .size:           4
        .value_kind:     by_value
      - .offset:         12
        .size:           4
        .value_kind:     by_value
      - .address_space:  global
        .offset:         16
        .size:           8
        .value_kind:     global_buffer
      - .offset:         24
        .size:           4
        .value_kind:     hidden_block_count_x
      - .offset:         28
        .size:           4
        .value_kind:     hidden_block_count_y
      - .offset:         32
        .size:           4
        .value_kind:     hidden_block_count_z
      - .offset:         36
        .size:           2
        .value_kind:     hidden_group_size_x
      - .offset:         38
        .size:           2
        .value_kind:     hidden_group_size_y
      - .offset:         40
        .size:           2
        .value_kind:     hidden_group_size_z
      - .offset:         42
        .size:           2
        .value_kind:     hidden_remainder_x
      - .offset:         44
        .size:           2
        .value_kind:     hidden_remainder_y
      - .offset:         46
        .size:           2
        .value_kind:     hidden_remainder_z
      - .offset:         64
        .size:           8
        .value_kind:     hidden_global_offset_x
      - .offset:         72
        .size:           8
        .value_kind:     hidden_global_offset_y
      - .offset:         80
        .size:           8
        .value_kind:     hidden_global_offset_z
      - .offset:         88
        .size:           2
        .value_kind:     hidden_grid_dims
    .group_segment_fixed_size: 0
    .kernarg_segment_align: 8
    .kernarg_segment_size: 280
    .language:       OpenCL C
    .language_version:
      - 2
      - 0
    .max_flat_workgroup_size: 256
    .name:           _ZN7rocprim6detail31init_lookback_scan_state_kernelINS0_19lookback_scan_stateINS_5tupleIJibEEELb1ELb1EEEEEvT_jjPNS6_10value_typeE
    .private_segment_fixed_size: 0
    .sgpr_count:     18
    .sgpr_spill_count: 0
    .symbol:         _ZN7rocprim6detail31init_lookback_scan_state_kernelINS0_19lookback_scan_stateINS_5tupleIJibEEELb1ELb1EEEEEvT_jjPNS6_10value_typeE.kd
    .uniform_work_group_size: 1
    .uses_dynamic_stack: false
    .vgpr_count:     9
    .vgpr_spill_count: 0
    .wavefront_size: 32
    .workgroup_processor_mode: 1
  - .args:
      - .address_space:  global
        .offset:         0
        .size:           8
        .value_kind:     global_buffer
      - .offset:         8
        .size:           4
        .value_kind:     by_value
      - .offset:         12
        .size:           4
        .value_kind:     by_value
      - .address_space:  global
        .offset:         16
        .size:           8
        .value_kind:     global_buffer
      - .offset:         24
        .size:           4
        .value_kind:     hidden_block_count_x
      - .offset:         28
        .size:           4
        .value_kind:     hidden_block_count_y
      - .offset:         32
        .size:           4
        .value_kind:     hidden_block_count_z
      - .offset:         36
        .size:           2
        .value_kind:     hidden_group_size_x
      - .offset:         38
        .size:           2
        .value_kind:     hidden_group_size_y
      - .offset:         40
        .size:           2
        .value_kind:     hidden_group_size_z
      - .offset:         42
        .size:           2
        .value_kind:     hidden_remainder_x
      - .offset:         44
        .size:           2
        .value_kind:     hidden_remainder_y
      - .offset:         46
        .size:           2
        .value_kind:     hidden_remainder_z
      - .offset:         64
        .size:           8
        .value_kind:     hidden_global_offset_x
      - .offset:         72
        .size:           8
        .value_kind:     hidden_global_offset_y
      - .offset:         80
        .size:           8
        .value_kind:     hidden_global_offset_z
      - .offset:         88
        .size:           2
        .value_kind:     hidden_grid_dims
    .group_segment_fixed_size: 0
    .kernarg_segment_align: 8
    .kernarg_segment_size: 280
    .language:       OpenCL C
    .language_version:
      - 2
      - 0
    .max_flat_workgroup_size: 256
    .name:           _ZN7rocprim6detail31init_lookback_scan_state_kernelINS0_19lookback_scan_stateINS_5tupleIJibEEELb0ELb1EEEEEvT_jjPNS6_10value_typeE
    .private_segment_fixed_size: 0
    .sgpr_count:     18
    .sgpr_spill_count: 0
    .symbol:         _ZN7rocprim6detail31init_lookback_scan_state_kernelINS0_19lookback_scan_stateINS_5tupleIJibEEELb0ELb1EEEEEvT_jjPNS6_10value_typeE.kd
    .uniform_work_group_size: 1
    .uses_dynamic_stack: false
    .vgpr_count:     9
    .vgpr_spill_count: 0
    .wavefront_size: 32
    .workgroup_processor_mode: 1
  - .args:
      - .address_space:  global
        .offset:         0
        .size:           8
        .value_kind:     global_buffer
      - .offset:         8
        .size:           16
        .value_kind:     by_value
      - .address_space:  global
        .offset:         24
        .size:           8
        .value_kind:     global_buffer
      - .offset:         32
        .size:           4
        .value_kind:     by_value
      - .offset:         36
        .size:           1
        .value_kind:     by_value
      - .offset:         37
        .size:           1
        .value_kind:     by_value
      - .address_space:  global
        .offset:         40
        .size:           8
        .value_kind:     global_buffer
      - .offset:         48
        .size:           8
        .value_kind:     by_value
      - .offset:         56
        .size:           8
        .value_kind:     by_value
      - .offset:         64
        .size:           8
        .value_kind:     by_value
      - .address_space:  global
        .offset:         72
        .size:           8
        .value_kind:     global_buffer
    .group_segment_fixed_size: 0
    .kernarg_segment_align: 8
    .kernarg_segment_size: 80
    .language:       OpenCL C
    .language_version:
      - 2
      - 0
    .max_flat_workgroup_size: 256
    .name:           _ZN7rocprim6detail25device_scan_by_key_kernelILNS0_25lookback_scan_determinismE0ELb0ENS0_26wrapped_scan_by_key_configINS_14default_configEiiEEPiN6hipcub22TransformInputIteratorIiNS7_6CastOpIiEES6_lEEPliNS7_8EqualityENS7_3SumENS0_19lookback_scan_stateINS_5tupleIJibEEELb1ELb1EEEiEEvT2_T3_T4_T5_T6_T7_T8_mmmPKNSG_IJT9_bEEE
    .private_segment_fixed_size: 0
    .sgpr_count:     0
    .sgpr_spill_count: 0
    .symbol:         _ZN7rocprim6detail25device_scan_by_key_kernelILNS0_25lookback_scan_determinismE0ELb0ENS0_26wrapped_scan_by_key_configINS_14default_configEiiEEPiN6hipcub22TransformInputIteratorIiNS7_6CastOpIiEES6_lEEPliNS7_8EqualityENS7_3SumENS0_19lookback_scan_stateINS_5tupleIJibEEELb1ELb1EEEiEEvT2_T3_T4_T5_T6_T7_T8_mmmPKNSG_IJT9_bEEE.kd
    .uniform_work_group_size: 1
    .uses_dynamic_stack: false
    .vgpr_count:     0
    .vgpr_spill_count: 0
    .wavefront_size: 32
    .workgroup_processor_mode: 1
  - .args:
      - .address_space:  global
        .offset:         0
        .size:           8
        .value_kind:     global_buffer
      - .offset:         8
        .size:           16
        .value_kind:     by_value
      - .address_space:  global
        .offset:         24
        .size:           8
        .value_kind:     global_buffer
      - .offset:         32
        .size:           4
        .value_kind:     by_value
      - .offset:         36
        .size:           1
        .value_kind:     by_value
      - .offset:         37
        .size:           1
        .value_kind:     by_value
      - .address_space:  global
        .offset:         40
        .size:           8
        .value_kind:     global_buffer
      - .offset:         48
        .size:           8
        .value_kind:     by_value
      - .offset:         56
        .size:           8
        .value_kind:     by_value
      - .offset:         64
        .size:           8
        .value_kind:     by_value
      - .address_space:  global
        .offset:         72
        .size:           8
        .value_kind:     global_buffer
    .group_segment_fixed_size: 11264
    .kernarg_segment_align: 8
    .kernarg_segment_size: 80
    .language:       OpenCL C
    .language_version:
      - 2
      - 0
    .max_flat_workgroup_size: 256
    .name:           _ZN7rocprim6detail25device_scan_by_key_kernelILNS0_25lookback_scan_determinismE0ELb0ENS0_26wrapped_scan_by_key_configINS_14default_configEiiEEPiN6hipcub22TransformInputIteratorIiNS7_6CastOpIiEES6_lEEPliNS7_8EqualityENS7_3SumENS0_19lookback_scan_stateINS_5tupleIJibEEELb0ELb1EEEiEEvT2_T3_T4_T5_T6_T7_T8_mmmPKNSG_IJT9_bEEE
    .private_segment_fixed_size: 0
    .sgpr_count:     42
    .sgpr_spill_count: 0
    .symbol:         _ZN7rocprim6detail25device_scan_by_key_kernelILNS0_25lookback_scan_determinismE0ELb0ENS0_26wrapped_scan_by_key_configINS_14default_configEiiEEPiN6hipcub22TransformInputIteratorIiNS7_6CastOpIiEES6_lEEPliNS7_8EqualityENS7_3SumENS0_19lookback_scan_stateINS_5tupleIJibEEELb0ELb1EEEiEEvT2_T3_T4_T5_T6_T7_T8_mmmPKNSG_IJT9_bEEE.kd
    .uniform_work_group_size: 1
    .uses_dynamic_stack: false
    .vgpr_count:     49
    .vgpr_spill_count: 0
    .wavefront_size: 32
    .workgroup_processor_mode: 1
  - .args:
      - .address_space:  global
        .offset:         0
        .size:           8
        .value_kind:     global_buffer
      - .offset:         8
        .size:           4
        .value_kind:     by_value
      - .offset:         12
        .size:           4
        .value_kind:     by_value
      - .address_space:  global
        .offset:         16
        .size:           8
        .value_kind:     global_buffer
      - .offset:         24
        .size:           4
        .value_kind:     hidden_block_count_x
      - .offset:         28
        .size:           4
        .value_kind:     hidden_block_count_y
      - .offset:         32
        .size:           4
        .value_kind:     hidden_block_count_z
      - .offset:         36
        .size:           2
        .value_kind:     hidden_group_size_x
      - .offset:         38
        .size:           2
        .value_kind:     hidden_group_size_y
      - .offset:         40
        .size:           2
        .value_kind:     hidden_group_size_z
      - .offset:         42
        .size:           2
        .value_kind:     hidden_remainder_x
      - .offset:         44
        .size:           2
        .value_kind:     hidden_remainder_y
      - .offset:         46
        .size:           2
        .value_kind:     hidden_remainder_z
      - .offset:         64
        .size:           8
        .value_kind:     hidden_global_offset_x
      - .offset:         72
        .size:           8
        .value_kind:     hidden_global_offset_y
      - .offset:         80
        .size:           8
        .value_kind:     hidden_global_offset_z
      - .offset:         88
        .size:           2
        .value_kind:     hidden_grid_dims
    .group_segment_fixed_size: 0
    .kernarg_segment_align: 8
    .kernarg_segment_size: 280
    .language:       OpenCL C
    .language_version:
      - 2
      - 0
    .max_flat_workgroup_size: 256
    .name:           _ZN7rocprim6detail31init_lookback_scan_state_kernelINS0_19lookback_scan_stateINS_5tupleIJ6__halfbEEELb1ELb1EEEEEvT_jjPNS7_10value_typeE
    .private_segment_fixed_size: 0
    .sgpr_count:     18
    .sgpr_spill_count: 0
    .symbol:         _ZN7rocprim6detail31init_lookback_scan_state_kernelINS0_19lookback_scan_stateINS_5tupleIJ6__halfbEEELb1ELb1EEEEEvT_jjPNS7_10value_typeE.kd
    .uniform_work_group_size: 1
    .uses_dynamic_stack: false
    .vgpr_count:     6
    .vgpr_spill_count: 0
    .wavefront_size: 32
    .workgroup_processor_mode: 1
  - .args:
      - .address_space:  global
        .offset:         0
        .size:           8
        .value_kind:     global_buffer
      - .offset:         8
        .size:           4
        .value_kind:     by_value
      - .offset:         12
        .size:           4
        .value_kind:     by_value
      - .address_space:  global
        .offset:         16
        .size:           8
        .value_kind:     global_buffer
      - .offset:         24
        .size:           4
        .value_kind:     hidden_block_count_x
      - .offset:         28
        .size:           4
        .value_kind:     hidden_block_count_y
      - .offset:         32
        .size:           4
        .value_kind:     hidden_block_count_z
      - .offset:         36
        .size:           2
        .value_kind:     hidden_group_size_x
      - .offset:         38
        .size:           2
        .value_kind:     hidden_group_size_y
      - .offset:         40
        .size:           2
        .value_kind:     hidden_group_size_z
      - .offset:         42
        .size:           2
        .value_kind:     hidden_remainder_x
      - .offset:         44
        .size:           2
        .value_kind:     hidden_remainder_y
      - .offset:         46
        .size:           2
        .value_kind:     hidden_remainder_z
      - .offset:         64
        .size:           8
        .value_kind:     hidden_global_offset_x
      - .offset:         72
        .size:           8
        .value_kind:     hidden_global_offset_y
      - .offset:         80
        .size:           8
        .value_kind:     hidden_global_offset_z
      - .offset:         88
        .size:           2
        .value_kind:     hidden_grid_dims
    .group_segment_fixed_size: 0
    .kernarg_segment_align: 8
    .kernarg_segment_size: 280
    .language:       OpenCL C
    .language_version:
      - 2
      - 0
    .max_flat_workgroup_size: 256
    .name:           _ZN7rocprim6detail31init_lookback_scan_state_kernelINS0_19lookback_scan_stateINS_5tupleIJ6__halfbEEELb0ELb1EEEEEvT_jjPNS7_10value_typeE
    .private_segment_fixed_size: 0
    .sgpr_count:     18
    .sgpr_spill_count: 0
    .symbol:         _ZN7rocprim6detail31init_lookback_scan_state_kernelINS0_19lookback_scan_stateINS_5tupleIJ6__halfbEEELb0ELb1EEEEEvT_jjPNS7_10value_typeE.kd
    .uniform_work_group_size: 1
    .uses_dynamic_stack: false
    .vgpr_count:     6
    .vgpr_spill_count: 0
    .wavefront_size: 32
    .workgroup_processor_mode: 1
  - .args:
      - .address_space:  global
        .offset:         0
        .size:           8
        .value_kind:     global_buffer
      - .offset:         8
        .size:           16
        .value_kind:     by_value
      - .address_space:  global
        .offset:         24
        .size:           8
        .value_kind:     global_buffer
      - .offset:         32
        .size:           2
        .value_kind:     by_value
      - .offset:         34
        .size:           1
        .value_kind:     by_value
      - .offset:         35
        .size:           1
        .value_kind:     by_value
      - .address_space:  global
        .offset:         40
        .size:           8
        .value_kind:     global_buffer
      - .offset:         48
        .size:           8
        .value_kind:     by_value
      - .offset:         56
        .size:           8
        .value_kind:     by_value
      - .offset:         64
        .size:           8
        .value_kind:     by_value
      - .address_space:  global
        .offset:         72
        .size:           8
        .value_kind:     global_buffer
    .group_segment_fixed_size: 0
    .kernarg_segment_align: 8
    .kernarg_segment_size: 80
    .language:       OpenCL C
    .language_version:
      - 2
      - 0
    .max_flat_workgroup_size: 64
    .name:           _ZN7rocprim6detail25device_scan_by_key_kernelILNS0_25lookback_scan_determinismE0ELb0ENS0_26wrapped_scan_by_key_configINS_14default_configEi6__halfEEPiN6hipcub22TransformInputIteratorIS5_NS8_6CastOpIS5_EEPS5_lEESC_S5_NS8_8EqualityENS8_3SumENS0_19lookback_scan_stateINS_5tupleIJS5_bEEELb1ELb1EEES5_EEvT2_T3_T4_T5_T6_T7_T8_mmmPKNSH_IJT9_bEEE
    .private_segment_fixed_size: 0
    .sgpr_count:     0
    .sgpr_spill_count: 0
    .symbol:         _ZN7rocprim6detail25device_scan_by_key_kernelILNS0_25lookback_scan_determinismE0ELb0ENS0_26wrapped_scan_by_key_configINS_14default_configEi6__halfEEPiN6hipcub22TransformInputIteratorIS5_NS8_6CastOpIS5_EEPS5_lEESC_S5_NS8_8EqualityENS8_3SumENS0_19lookback_scan_stateINS_5tupleIJS5_bEEELb1ELb1EEES5_EEvT2_T3_T4_T5_T6_T7_T8_mmmPKNSH_IJT9_bEEE.kd
    .uniform_work_group_size: 1
    .uses_dynamic_stack: false
    .vgpr_count:     0
    .vgpr_spill_count: 0
    .wavefront_size: 32
    .workgroup_processor_mode: 1
  - .args:
      - .address_space:  global
        .offset:         0
        .size:           8
        .value_kind:     global_buffer
      - .offset:         8
        .size:           16
        .value_kind:     by_value
      - .address_space:  global
        .offset:         24
        .size:           8
        .value_kind:     global_buffer
      - .offset:         32
        .size:           2
        .value_kind:     by_value
      - .offset:         34
        .size:           1
        .value_kind:     by_value
      - .offset:         35
        .size:           1
        .value_kind:     by_value
      - .address_space:  global
        .offset:         40
        .size:           8
        .value_kind:     global_buffer
      - .offset:         48
        .size:           8
        .value_kind:     by_value
      - .offset:         56
        .size:           8
        .value_kind:     by_value
      - .offset:         64
        .size:           8
        .value_kind:     by_value
      - .address_space:  global
        .offset:         72
        .size:           8
        .value_kind:     global_buffer
    .group_segment_fixed_size: 6144
    .kernarg_segment_align: 8
    .kernarg_segment_size: 80
    .language:       OpenCL C
    .language_version:
      - 2
      - 0
    .max_flat_workgroup_size: 64
    .name:           _ZN7rocprim6detail25device_scan_by_key_kernelILNS0_25lookback_scan_determinismE0ELb0ENS0_26wrapped_scan_by_key_configINS_14default_configEi6__halfEEPiN6hipcub22TransformInputIteratorIS5_NS8_6CastOpIS5_EEPS5_lEESC_S5_NS8_8EqualityENS8_3SumENS0_19lookback_scan_stateINS_5tupleIJS5_bEEELb0ELb1EEES5_EEvT2_T3_T4_T5_T6_T7_T8_mmmPKNSH_IJT9_bEEE
    .private_segment_fixed_size: 0
    .sgpr_count:     56
    .sgpr_spill_count: 0
    .symbol:         _ZN7rocprim6detail25device_scan_by_key_kernelILNS0_25lookback_scan_determinismE0ELb0ENS0_26wrapped_scan_by_key_configINS_14default_configEi6__halfEEPiN6hipcub22TransformInputIteratorIS5_NS8_6CastOpIS5_EEPS5_lEESC_S5_NS8_8EqualityENS8_3SumENS0_19lookback_scan_stateINS_5tupleIJS5_bEEELb0ELb1EEES5_EEvT2_T3_T4_T5_T6_T7_T8_mmmPKNSH_IJT9_bEEE.kd
    .uniform_work_group_size: 1
    .uses_dynamic_stack: false
    .vgpr_count:     91
    .vgpr_spill_count: 0
    .wavefront_size: 32
    .workgroup_processor_mode: 1
  - .args:
      - .address_space:  global
        .offset:         0
        .size:           8
        .value_kind:     global_buffer
      - .offset:         8
        .size:           16
        .value_kind:     by_value
      - .address_space:  global
        .offset:         24
        .size:           8
        .value_kind:     global_buffer
      - .offset:         32
        .size:           2
        .value_kind:     by_value
      - .offset:         34
        .size:           1
        .value_kind:     by_value
      - .offset:         35
        .size:           1
        .value_kind:     by_value
      - .address_space:  global
        .offset:         40
        .size:           8
        .value_kind:     global_buffer
      - .offset:         48
        .size:           8
        .value_kind:     by_value
      - .offset:         56
        .size:           8
        .value_kind:     by_value
      - .offset:         64
        .size:           8
        .value_kind:     by_value
      - .address_space:  global
        .offset:         72
        .size:           8
        .value_kind:     global_buffer
    .group_segment_fixed_size: 0
    .kernarg_segment_align: 8
    .kernarg_segment_size: 80
    .language:       OpenCL C
    .language_version:
      - 2
      - 0
    .max_flat_workgroup_size: 64
    .name:           _ZN7rocprim6detail25device_scan_by_key_kernelILNS0_25lookback_scan_determinismE0ELb0ENS0_26wrapped_scan_by_key_configINS_14default_configEi6__halfEEPiN6hipcub22TransformInputIteratorIS5_NS8_6CastOpIS5_EEPS5_lEESC_S5_NS8_8EqualityENS8_3MaxENS0_19lookback_scan_stateINS_5tupleIJS5_bEEELb1ELb1EEES5_EEvT2_T3_T4_T5_T6_T7_T8_mmmPKNSH_IJT9_bEEE
    .private_segment_fixed_size: 0
    .sgpr_count:     0
    .sgpr_spill_count: 0
    .symbol:         _ZN7rocprim6detail25device_scan_by_key_kernelILNS0_25lookback_scan_determinismE0ELb0ENS0_26wrapped_scan_by_key_configINS_14default_configEi6__halfEEPiN6hipcub22TransformInputIteratorIS5_NS8_6CastOpIS5_EEPS5_lEESC_S5_NS8_8EqualityENS8_3MaxENS0_19lookback_scan_stateINS_5tupleIJS5_bEEELb1ELb1EEES5_EEvT2_T3_T4_T5_T6_T7_T8_mmmPKNSH_IJT9_bEEE.kd
    .uniform_work_group_size: 1
    .uses_dynamic_stack: false
    .vgpr_count:     0
    .vgpr_spill_count: 0
    .wavefront_size: 32
    .workgroup_processor_mode: 1
  - .args:
      - .address_space:  global
        .offset:         0
        .size:           8
        .value_kind:     global_buffer
      - .offset:         8
        .size:           16
        .value_kind:     by_value
      - .address_space:  global
        .offset:         24
        .size:           8
        .value_kind:     global_buffer
      - .offset:         32
        .size:           2
        .value_kind:     by_value
      - .offset:         34
        .size:           1
        .value_kind:     by_value
      - .offset:         35
        .size:           1
        .value_kind:     by_value
      - .address_space:  global
        .offset:         40
        .size:           8
        .value_kind:     global_buffer
      - .offset:         48
        .size:           8
        .value_kind:     by_value
      - .offset:         56
        .size:           8
        .value_kind:     by_value
      - .offset:         64
        .size:           8
        .value_kind:     by_value
      - .address_space:  global
        .offset:         72
        .size:           8
        .value_kind:     global_buffer
    .group_segment_fixed_size: 6144
    .kernarg_segment_align: 8
    .kernarg_segment_size: 80
    .language:       OpenCL C
    .language_version:
      - 2
      - 0
    .max_flat_workgroup_size: 64
    .name:           _ZN7rocprim6detail25device_scan_by_key_kernelILNS0_25lookback_scan_determinismE0ELb0ENS0_26wrapped_scan_by_key_configINS_14default_configEi6__halfEEPiN6hipcub22TransformInputIteratorIS5_NS8_6CastOpIS5_EEPS5_lEESC_S5_NS8_8EqualityENS8_3MaxENS0_19lookback_scan_stateINS_5tupleIJS5_bEEELb0ELb1EEES5_EEvT2_T3_T4_T5_T6_T7_T8_mmmPKNSH_IJT9_bEEE
    .private_segment_fixed_size: 0
    .sgpr_count:     47
    .sgpr_spill_count: 0
    .symbol:         _ZN7rocprim6detail25device_scan_by_key_kernelILNS0_25lookback_scan_determinismE0ELb0ENS0_26wrapped_scan_by_key_configINS_14default_configEi6__halfEEPiN6hipcub22TransformInputIteratorIS5_NS8_6CastOpIS5_EEPS5_lEESC_S5_NS8_8EqualityENS8_3MaxENS0_19lookback_scan_stateINS_5tupleIJS5_bEEELb0ELb1EEES5_EEvT2_T3_T4_T5_T6_T7_T8_mmmPKNSH_IJT9_bEEE.kd
    .uniform_work_group_size: 1
    .uses_dynamic_stack: false
    .vgpr_count:     90
    .vgpr_spill_count: 0
    .wavefront_size: 32
    .workgroup_processor_mode: 1
  - .args:
      - .address_space:  global
        .offset:         0
        .size:           8
        .value_kind:     global_buffer
      - .offset:         8
        .size:           4
        .value_kind:     by_value
      - .offset:         12
        .size:           4
        .value_kind:     by_value
      - .address_space:  global
        .offset:         16
        .size:           8
        .value_kind:     global_buffer
      - .offset:         24
        .size:           4
        .value_kind:     hidden_block_count_x
      - .offset:         28
        .size:           4
        .value_kind:     hidden_block_count_y
      - .offset:         32
        .size:           4
        .value_kind:     hidden_block_count_z
      - .offset:         36
        .size:           2
        .value_kind:     hidden_group_size_x
      - .offset:         38
        .size:           2
        .value_kind:     hidden_group_size_y
      - .offset:         40
        .size:           2
        .value_kind:     hidden_group_size_z
      - .offset:         42
        .size:           2
        .value_kind:     hidden_remainder_x
      - .offset:         44
        .size:           2
        .value_kind:     hidden_remainder_y
      - .offset:         46
        .size:           2
        .value_kind:     hidden_remainder_z
      - .offset:         64
        .size:           8
        .value_kind:     hidden_global_offset_x
      - .offset:         72
        .size:           8
        .value_kind:     hidden_global_offset_y
      - .offset:         80
        .size:           8
        .value_kind:     hidden_global_offset_z
      - .offset:         88
        .size:           2
        .value_kind:     hidden_grid_dims
    .group_segment_fixed_size: 0
    .kernarg_segment_align: 8
    .kernarg_segment_size: 280
    .language:       OpenCL C
    .language_version:
      - 2
      - 0
    .max_flat_workgroup_size: 256
    .name:           _ZN7rocprim6detail31init_lookback_scan_state_kernelINS0_19lookback_scan_stateINS_5tupleIJ12hip_bfloat16bEEELb1ELb1EEEEEvT_jjPNS7_10value_typeE
    .private_segment_fixed_size: 0
    .sgpr_count:     18
    .sgpr_spill_count: 0
    .symbol:         _ZN7rocprim6detail31init_lookback_scan_state_kernelINS0_19lookback_scan_stateINS_5tupleIJ12hip_bfloat16bEEELb1ELb1EEEEEvT_jjPNS7_10value_typeE.kd
    .uniform_work_group_size: 1
    .uses_dynamic_stack: false
    .vgpr_count:     6
    .vgpr_spill_count: 0
    .wavefront_size: 32
    .workgroup_processor_mode: 1
  - .args:
      - .address_space:  global
        .offset:         0
        .size:           8
        .value_kind:     global_buffer
      - .offset:         8
        .size:           4
        .value_kind:     by_value
      - .offset:         12
        .size:           4
        .value_kind:     by_value
      - .address_space:  global
        .offset:         16
        .size:           8
        .value_kind:     global_buffer
      - .offset:         24
        .size:           4
        .value_kind:     hidden_block_count_x
      - .offset:         28
        .size:           4
        .value_kind:     hidden_block_count_y
      - .offset:         32
        .size:           4
        .value_kind:     hidden_block_count_z
      - .offset:         36
        .size:           2
        .value_kind:     hidden_group_size_x
      - .offset:         38
        .size:           2
        .value_kind:     hidden_group_size_y
      - .offset:         40
        .size:           2
        .value_kind:     hidden_group_size_z
      - .offset:         42
        .size:           2
        .value_kind:     hidden_remainder_x
      - .offset:         44
        .size:           2
        .value_kind:     hidden_remainder_y
      - .offset:         46
        .size:           2
        .value_kind:     hidden_remainder_z
      - .offset:         64
        .size:           8
        .value_kind:     hidden_global_offset_x
      - .offset:         72
        .size:           8
        .value_kind:     hidden_global_offset_y
      - .offset:         80
        .size:           8
        .value_kind:     hidden_global_offset_z
      - .offset:         88
        .size:           2
        .value_kind:     hidden_grid_dims
    .group_segment_fixed_size: 0
    .kernarg_segment_align: 8
    .kernarg_segment_size: 280
    .language:       OpenCL C
    .language_version:
      - 2
      - 0
    .max_flat_workgroup_size: 256
    .name:           _ZN7rocprim6detail31init_lookback_scan_state_kernelINS0_19lookback_scan_stateINS_5tupleIJ12hip_bfloat16bEEELb0ELb1EEEEEvT_jjPNS7_10value_typeE
    .private_segment_fixed_size: 0
    .sgpr_count:     18
    .sgpr_spill_count: 0
    .symbol:         _ZN7rocprim6detail31init_lookback_scan_state_kernelINS0_19lookback_scan_stateINS_5tupleIJ12hip_bfloat16bEEELb0ELb1EEEEEvT_jjPNS7_10value_typeE.kd
    .uniform_work_group_size: 1
    .uses_dynamic_stack: false
    .vgpr_count:     6
    .vgpr_spill_count: 0
    .wavefront_size: 32
    .workgroup_processor_mode: 1
  - .args:
      - .address_space:  global
        .offset:         0
        .size:           8
        .value_kind:     global_buffer
      - .offset:         8
        .size:           16
        .value_kind:     by_value
      - .address_space:  global
        .offset:         24
        .size:           8
        .value_kind:     global_buffer
      - .offset:         32
        .size:           2
        .value_kind:     by_value
      - .offset:         34
        .size:           1
        .value_kind:     by_value
      - .offset:         35
        .size:           1
        .value_kind:     by_value
      - .address_space:  global
        .offset:         40
        .size:           8
        .value_kind:     global_buffer
      - .offset:         48
        .size:           8
        .value_kind:     by_value
      - .offset:         56
        .size:           8
        .value_kind:     by_value
      - .offset:         64
        .size:           8
        .value_kind:     by_value
      - .address_space:  global
        .offset:         72
        .size:           8
        .value_kind:     global_buffer
    .group_segment_fixed_size: 0
    .kernarg_segment_align: 8
    .kernarg_segment_size: 80
    .language:       OpenCL C
    .language_version:
      - 2
      - 0
    .max_flat_workgroup_size: 64
    .name:           _ZN7rocprim6detail25device_scan_by_key_kernelILNS0_25lookback_scan_determinismE0ELb0ENS0_26wrapped_scan_by_key_configINS_14default_configEi12hip_bfloat16EEPiN6hipcub22TransformInputIteratorIS5_NS8_6CastOpIS5_EEPS5_lEESC_S5_NS8_8EqualityENS8_3SumENS0_19lookback_scan_stateINS_5tupleIJS5_bEEELb1ELb1EEES5_EEvT2_T3_T4_T5_T6_T7_T8_mmmPKNSH_IJT9_bEEE
    .private_segment_fixed_size: 0
    .sgpr_count:     0
    .sgpr_spill_count: 0
    .symbol:         _ZN7rocprim6detail25device_scan_by_key_kernelILNS0_25lookback_scan_determinismE0ELb0ENS0_26wrapped_scan_by_key_configINS_14default_configEi12hip_bfloat16EEPiN6hipcub22TransformInputIteratorIS5_NS8_6CastOpIS5_EEPS5_lEESC_S5_NS8_8EqualityENS8_3SumENS0_19lookback_scan_stateINS_5tupleIJS5_bEEELb1ELb1EEES5_EEvT2_T3_T4_T5_T6_T7_T8_mmmPKNSH_IJT9_bEEE.kd
    .uniform_work_group_size: 1
    .uses_dynamic_stack: false
    .vgpr_count:     0
    .vgpr_spill_count: 0
    .wavefront_size: 32
    .workgroup_processor_mode: 1
  - .args:
      - .address_space:  global
        .offset:         0
        .size:           8
        .value_kind:     global_buffer
      - .offset:         8
        .size:           16
        .value_kind:     by_value
      - .address_space:  global
        .offset:         24
        .size:           8
        .value_kind:     global_buffer
      - .offset:         32
        .size:           2
        .value_kind:     by_value
      - .offset:         34
        .size:           1
        .value_kind:     by_value
      - .offset:         35
        .size:           1
        .value_kind:     by_value
      - .address_space:  global
        .offset:         40
        .size:           8
        .value_kind:     global_buffer
      - .offset:         48
        .size:           8
        .value_kind:     by_value
      - .offset:         56
        .size:           8
        .value_kind:     by_value
      - .offset:         64
        .size:           8
        .value_kind:     by_value
      - .address_space:  global
        .offset:         72
        .size:           8
        .value_kind:     global_buffer
    .group_segment_fixed_size: 6144
    .kernarg_segment_align: 8
    .kernarg_segment_size: 80
    .language:       OpenCL C
    .language_version:
      - 2
      - 0
    .max_flat_workgroup_size: 64
    .name:           _ZN7rocprim6detail25device_scan_by_key_kernelILNS0_25lookback_scan_determinismE0ELb0ENS0_26wrapped_scan_by_key_configINS_14default_configEi12hip_bfloat16EEPiN6hipcub22TransformInputIteratorIS5_NS8_6CastOpIS5_EEPS5_lEESC_S5_NS8_8EqualityENS8_3SumENS0_19lookback_scan_stateINS_5tupleIJS5_bEEELb0ELb1EEES5_EEvT2_T3_T4_T5_T6_T7_T8_mmmPKNSH_IJT9_bEEE
    .private_segment_fixed_size: 0
    .sgpr_count:     46
    .sgpr_spill_count: 0
    .symbol:         _ZN7rocprim6detail25device_scan_by_key_kernelILNS0_25lookback_scan_determinismE0ELb0ENS0_26wrapped_scan_by_key_configINS_14default_configEi12hip_bfloat16EEPiN6hipcub22TransformInputIteratorIS5_NS8_6CastOpIS5_EEPS5_lEESC_S5_NS8_8EqualityENS8_3SumENS0_19lookback_scan_stateINS_5tupleIJS5_bEEELb0ELb1EEES5_EEvT2_T3_T4_T5_T6_T7_T8_mmmPKNSH_IJT9_bEEE.kd
    .uniform_work_group_size: 1
    .uses_dynamic_stack: false
    .vgpr_count:     62
    .vgpr_spill_count: 0
    .wavefront_size: 32
    .workgroup_processor_mode: 1
  - .args:
      - .address_space:  global
        .offset:         0
        .size:           8
        .value_kind:     global_buffer
      - .offset:         8
        .size:           16
        .value_kind:     by_value
      - .address_space:  global
        .offset:         24
        .size:           8
        .value_kind:     global_buffer
      - .offset:         32
        .size:           2
        .value_kind:     by_value
      - .offset:         34
        .size:           1
        .value_kind:     by_value
      - .offset:         35
        .size:           1
        .value_kind:     by_value
      - .address_space:  global
        .offset:         40
        .size:           8
        .value_kind:     global_buffer
      - .offset:         48
        .size:           8
        .value_kind:     by_value
      - .offset:         56
        .size:           8
        .value_kind:     by_value
      - .offset:         64
        .size:           8
        .value_kind:     by_value
      - .address_space:  global
        .offset:         72
        .size:           8
        .value_kind:     global_buffer
    .group_segment_fixed_size: 0
    .kernarg_segment_align: 8
    .kernarg_segment_size: 80
    .language:       OpenCL C
    .language_version:
      - 2
      - 0
    .max_flat_workgroup_size: 64
    .name:           _ZN7rocprim6detail25device_scan_by_key_kernelILNS0_25lookback_scan_determinismE0ELb0ENS0_26wrapped_scan_by_key_configINS_14default_configEi12hip_bfloat16EEPiN6hipcub22TransformInputIteratorIS5_NS8_6CastOpIS5_EEPS5_lEESC_S5_NS8_8EqualityENS8_3MaxENS0_19lookback_scan_stateINS_5tupleIJS5_bEEELb1ELb1EEES5_EEvT2_T3_T4_T5_T6_T7_T8_mmmPKNSH_IJT9_bEEE
    .private_segment_fixed_size: 0
    .sgpr_count:     0
    .sgpr_spill_count: 0
    .symbol:         _ZN7rocprim6detail25device_scan_by_key_kernelILNS0_25lookback_scan_determinismE0ELb0ENS0_26wrapped_scan_by_key_configINS_14default_configEi12hip_bfloat16EEPiN6hipcub22TransformInputIteratorIS5_NS8_6CastOpIS5_EEPS5_lEESC_S5_NS8_8EqualityENS8_3MaxENS0_19lookback_scan_stateINS_5tupleIJS5_bEEELb1ELb1EEES5_EEvT2_T3_T4_T5_T6_T7_T8_mmmPKNSH_IJT9_bEEE.kd
    .uniform_work_group_size: 1
    .uses_dynamic_stack: false
    .vgpr_count:     0
    .vgpr_spill_count: 0
    .wavefront_size: 32
    .workgroup_processor_mode: 1
  - .args:
      - .address_space:  global
        .offset:         0
        .size:           8
        .value_kind:     global_buffer
      - .offset:         8
        .size:           16
        .value_kind:     by_value
      - .address_space:  global
        .offset:         24
        .size:           8
        .value_kind:     global_buffer
      - .offset:         32
        .size:           2
        .value_kind:     by_value
      - .offset:         34
        .size:           1
        .value_kind:     by_value
      - .offset:         35
        .size:           1
        .value_kind:     by_value
      - .address_space:  global
        .offset:         40
        .size:           8
        .value_kind:     global_buffer
      - .offset:         48
        .size:           8
        .value_kind:     by_value
      - .offset:         56
        .size:           8
        .value_kind:     by_value
      - .offset:         64
        .size:           8
        .value_kind:     by_value
      - .address_space:  global
        .offset:         72
        .size:           8
        .value_kind:     global_buffer
    .group_segment_fixed_size: 6144
    .kernarg_segment_align: 8
    .kernarg_segment_size: 80
    .language:       OpenCL C
    .language_version:
      - 2
      - 0
    .max_flat_workgroup_size: 64
    .name:           _ZN7rocprim6detail25device_scan_by_key_kernelILNS0_25lookback_scan_determinismE0ELb0ENS0_26wrapped_scan_by_key_configINS_14default_configEi12hip_bfloat16EEPiN6hipcub22TransformInputIteratorIS5_NS8_6CastOpIS5_EEPS5_lEESC_S5_NS8_8EqualityENS8_3MaxENS0_19lookback_scan_stateINS_5tupleIJS5_bEEELb0ELb1EEES5_EEvT2_T3_T4_T5_T6_T7_T8_mmmPKNSH_IJT9_bEEE
    .private_segment_fixed_size: 0
    .sgpr_count:     46
    .sgpr_spill_count: 0
    .symbol:         _ZN7rocprim6detail25device_scan_by_key_kernelILNS0_25lookback_scan_determinismE0ELb0ENS0_26wrapped_scan_by_key_configINS_14default_configEi12hip_bfloat16EEPiN6hipcub22TransformInputIteratorIS5_NS8_6CastOpIS5_EEPS5_lEESC_S5_NS8_8EqualityENS8_3MaxENS0_19lookback_scan_stateINS_5tupleIJS5_bEEELb0ELb1EEES5_EEvT2_T3_T4_T5_T6_T7_T8_mmmPKNSH_IJT9_bEEE.kd
    .uniform_work_group_size: 1
    .uses_dynamic_stack: false
    .vgpr_count:     74
    .vgpr_spill_count: 0
    .wavefront_size: 32
    .workgroup_processor_mode: 1
  - .args:
      - .address_space:  global
        .offset:         0
        .size:           8
        .value_kind:     global_buffer
      - .offset:         8
        .size:           16
        .value_kind:     by_value
      - .address_space:  global
        .offset:         24
        .size:           8
        .value_kind:     global_buffer
      - .offset:         32
        .size:           4
        .value_kind:     by_value
      - .offset:         36
        .size:           1
        .value_kind:     by_value
      - .offset:         37
        .size:           1
        .value_kind:     by_value
      - .address_space:  global
        .offset:         40
        .size:           8
        .value_kind:     global_buffer
      - .offset:         48
        .size:           8
        .value_kind:     by_value
      - .offset:         56
        .size:           8
        .value_kind:     by_value
      - .offset:         64
        .size:           8
        .value_kind:     by_value
      - .address_space:  global
        .offset:         72
        .size:           8
        .value_kind:     global_buffer
    .group_segment_fixed_size: 0
    .kernarg_segment_align: 8
    .kernarg_segment_size: 80
    .language:       OpenCL C
    .language_version:
      - 2
      - 0
    .max_flat_workgroup_size: 256
    .name:           _ZN7rocprim6detail25device_scan_by_key_kernelILNS0_25lookback_scan_determinismE0ELb0ENS0_26wrapped_scan_by_key_configINS_14default_configEiiEEPiN6hipcub22TransformInputIteratorIiNS7_6CastOpIiEES6_lEEPdiNS7_8EqualityENS7_3SumENS0_19lookback_scan_stateINS_5tupleIJibEEELb1ELb1EEEiEEvT2_T3_T4_T5_T6_T7_T8_mmmPKNSG_IJT9_bEEE
    .private_segment_fixed_size: 0
    .sgpr_count:     0
    .sgpr_spill_count: 0
    .symbol:         _ZN7rocprim6detail25device_scan_by_key_kernelILNS0_25lookback_scan_determinismE0ELb0ENS0_26wrapped_scan_by_key_configINS_14default_configEiiEEPiN6hipcub22TransformInputIteratorIiNS7_6CastOpIiEES6_lEEPdiNS7_8EqualityENS7_3SumENS0_19lookback_scan_stateINS_5tupleIJibEEELb1ELb1EEEiEEvT2_T3_T4_T5_T6_T7_T8_mmmPKNSG_IJT9_bEEE.kd
    .uniform_work_group_size: 1
    .uses_dynamic_stack: false
    .vgpr_count:     0
    .vgpr_spill_count: 0
    .wavefront_size: 32
    .workgroup_processor_mode: 1
  - .args:
      - .address_space:  global
        .offset:         0
        .size:           8
        .value_kind:     global_buffer
      - .offset:         8
        .size:           16
        .value_kind:     by_value
      - .address_space:  global
        .offset:         24
        .size:           8
        .value_kind:     global_buffer
      - .offset:         32
        .size:           4
        .value_kind:     by_value
      - .offset:         36
        .size:           1
        .value_kind:     by_value
      - .offset:         37
        .size:           1
        .value_kind:     by_value
      - .address_space:  global
        .offset:         40
        .size:           8
        .value_kind:     global_buffer
      - .offset:         48
        .size:           8
        .value_kind:     by_value
      - .offset:         56
        .size:           8
        .value_kind:     by_value
      - .offset:         64
        .size:           8
        .value_kind:     by_value
      - .address_space:  global
        .offset:         72
        .size:           8
        .value_kind:     global_buffer
    .group_segment_fixed_size: 11264
    .kernarg_segment_align: 8
    .kernarg_segment_size: 80
    .language:       OpenCL C
    .language_version:
      - 2
      - 0
    .max_flat_workgroup_size: 256
    .name:           _ZN7rocprim6detail25device_scan_by_key_kernelILNS0_25lookback_scan_determinismE0ELb0ENS0_26wrapped_scan_by_key_configINS_14default_configEiiEEPiN6hipcub22TransformInputIteratorIiNS7_6CastOpIiEES6_lEEPdiNS7_8EqualityENS7_3SumENS0_19lookback_scan_stateINS_5tupleIJibEEELb0ELb1EEEiEEvT2_T3_T4_T5_T6_T7_T8_mmmPKNSG_IJT9_bEEE
    .private_segment_fixed_size: 0
    .sgpr_count:     42
    .sgpr_spill_count: 0
    .symbol:         _ZN7rocprim6detail25device_scan_by_key_kernelILNS0_25lookback_scan_determinismE0ELb0ENS0_26wrapped_scan_by_key_configINS_14default_configEiiEEPiN6hipcub22TransformInputIteratorIiNS7_6CastOpIiEES6_lEEPdiNS7_8EqualityENS7_3SumENS0_19lookback_scan_stateINS_5tupleIJibEEELb0ELb1EEEiEEvT2_T3_T4_T5_T6_T7_T8_mmmPKNSG_IJT9_bEEE.kd
    .uniform_work_group_size: 1
    .uses_dynamic_stack: false
    .vgpr_count:     49
    .vgpr_spill_count: 0
    .wavefront_size: 32
    .workgroup_processor_mode: 1
  - .args:
      - .address_space:  global
        .offset:         0
        .size:           8
        .value_kind:     global_buffer
      - .offset:         8
        .size:           16
        .value_kind:     by_value
      - .address_space:  global
        .offset:         24
        .size:           8
        .value_kind:     global_buffer
      - .offset:         32
        .size:           2
        .value_kind:     by_value
      - .offset:         34
        .size:           1
        .value_kind:     by_value
      - .offset:         35
        .size:           1
        .value_kind:     by_value
      - .address_space:  global
        .offset:         40
        .size:           8
        .value_kind:     global_buffer
      - .offset:         48
        .size:           8
        .value_kind:     by_value
      - .offset:         56
        .size:           8
        .value_kind:     by_value
      - .offset:         64
        .size:           8
        .value_kind:     by_value
      - .address_space:  global
        .offset:         72
        .size:           8
        .value_kind:     global_buffer
    .group_segment_fixed_size: 0
    .kernarg_segment_align: 8
    .kernarg_segment_size: 80
    .language:       OpenCL C
    .language_version:
      - 2
      - 0
    .max_flat_workgroup_size: 256
    .name:           _ZN7rocprim6detail25device_scan_by_key_kernelILNS0_25lookback_scan_determinismE0ELb0ENS0_26wrapped_scan_by_key_configINS_14default_configEiiEEPiN6hipcub22TransformInputIteratorIsNS7_6CastOpIsEEPslEEPfsNS7_8EqualityENS7_3SumENS0_19lookback_scan_stateINS_5tupleIJibEEELb1ELb1EEEiEEvT2_T3_T4_T5_T6_T7_T8_mmmPKNSH_IJT9_bEEE
    .private_segment_fixed_size: 0
    .sgpr_count:     0
    .sgpr_spill_count: 0
    .symbol:         _ZN7rocprim6detail25device_scan_by_key_kernelILNS0_25lookback_scan_determinismE0ELb0ENS0_26wrapped_scan_by_key_configINS_14default_configEiiEEPiN6hipcub22TransformInputIteratorIsNS7_6CastOpIsEEPslEEPfsNS7_8EqualityENS7_3SumENS0_19lookback_scan_stateINS_5tupleIJibEEELb1ELb1EEEiEEvT2_T3_T4_T5_T6_T7_T8_mmmPKNSH_IJT9_bEEE.kd
    .uniform_work_group_size: 1
    .uses_dynamic_stack: false
    .vgpr_count:     0
    .vgpr_spill_count: 0
    .wavefront_size: 32
    .workgroup_processor_mode: 1
  - .args:
      - .address_space:  global
        .offset:         0
        .size:           8
        .value_kind:     global_buffer
      - .offset:         8
        .size:           16
        .value_kind:     by_value
      - .address_space:  global
        .offset:         24
        .size:           8
        .value_kind:     global_buffer
      - .offset:         32
        .size:           2
        .value_kind:     by_value
      - .offset:         34
        .size:           1
        .value_kind:     by_value
      - .offset:         35
        .size:           1
        .value_kind:     by_value
      - .address_space:  global
        .offset:         40
        .size:           8
        .value_kind:     global_buffer
      - .offset:         48
        .size:           8
        .value_kind:     by_value
      - .offset:         56
        .size:           8
        .value_kind:     by_value
      - .offset:         64
        .size:           8
        .value_kind:     by_value
      - .address_space:  global
        .offset:         72
        .size:           8
        .value_kind:     global_buffer
    .group_segment_fixed_size: 11264
    .kernarg_segment_align: 8
    .kernarg_segment_size: 80
    .language:       OpenCL C
    .language_version:
      - 2
      - 0
    .max_flat_workgroup_size: 256
    .name:           _ZN7rocprim6detail25device_scan_by_key_kernelILNS0_25lookback_scan_determinismE0ELb0ENS0_26wrapped_scan_by_key_configINS_14default_configEiiEEPiN6hipcub22TransformInputIteratorIsNS7_6CastOpIsEEPslEEPfsNS7_8EqualityENS7_3SumENS0_19lookback_scan_stateINS_5tupleIJibEEELb0ELb1EEEiEEvT2_T3_T4_T5_T6_T7_T8_mmmPKNSH_IJT9_bEEE
    .private_segment_fixed_size: 0
    .sgpr_count:     42
    .sgpr_spill_count: 0
    .symbol:         _ZN7rocprim6detail25device_scan_by_key_kernelILNS0_25lookback_scan_determinismE0ELb0ENS0_26wrapped_scan_by_key_configINS_14default_configEiiEEPiN6hipcub22TransformInputIteratorIsNS7_6CastOpIsEEPslEEPfsNS7_8EqualityENS7_3SumENS0_19lookback_scan_stateINS_5tupleIJibEEELb0ELb1EEEiEEvT2_T3_T4_T5_T6_T7_T8_mmmPKNSH_IJT9_bEEE.kd
    .uniform_work_group_size: 1
    .uses_dynamic_stack: false
    .vgpr_count:     50
    .vgpr_spill_count: 0
    .wavefront_size: 32
    .workgroup_processor_mode: 1
  - .args:
      - .address_space:  global
        .offset:         0
        .size:           8
        .value_kind:     global_buffer
      - .offset:         8
        .size:           4
        .value_kind:     by_value
      - .offset:         12
        .size:           4
        .value_kind:     by_value
      - .address_space:  global
        .offset:         16
        .size:           8
        .value_kind:     global_buffer
      - .offset:         24
        .size:           4
        .value_kind:     hidden_block_count_x
      - .offset:         28
        .size:           4
        .value_kind:     hidden_block_count_y
      - .offset:         32
        .size:           4
        .value_kind:     hidden_block_count_z
      - .offset:         36
        .size:           2
        .value_kind:     hidden_group_size_x
      - .offset:         38
        .size:           2
        .value_kind:     hidden_group_size_y
      - .offset:         40
        .size:           2
        .value_kind:     hidden_group_size_z
      - .offset:         42
        .size:           2
        .value_kind:     hidden_remainder_x
      - .offset:         44
        .size:           2
        .value_kind:     hidden_remainder_y
      - .offset:         46
        .size:           2
        .value_kind:     hidden_remainder_z
      - .offset:         64
        .size:           8
        .value_kind:     hidden_global_offset_x
      - .offset:         72
        .size:           8
        .value_kind:     hidden_global_offset_y
      - .offset:         80
        .size:           8
        .value_kind:     hidden_global_offset_z
      - .offset:         88
        .size:           2
        .value_kind:     hidden_grid_dims
    .group_segment_fixed_size: 0
    .kernarg_segment_align: 8
    .kernarg_segment_size: 280
    .language:       OpenCL C
    .language_version:
      - 2
      - 0
    .max_flat_workgroup_size: 256
    .name:           _ZN7rocprim6detail31init_lookback_scan_state_kernelINS0_19lookback_scan_stateINS_5tupleIJsbEEELb1ELb1EEEEEvT_jjPNS6_10value_typeE
    .private_segment_fixed_size: 0
    .sgpr_count:     18
    .sgpr_spill_count: 0
    .symbol:         _ZN7rocprim6detail31init_lookback_scan_state_kernelINS0_19lookback_scan_stateINS_5tupleIJsbEEELb1ELb1EEEEEvT_jjPNS6_10value_typeE.kd
    .uniform_work_group_size: 1
    .uses_dynamic_stack: false
    .vgpr_count:     6
    .vgpr_spill_count: 0
    .wavefront_size: 32
    .workgroup_processor_mode: 1
  - .args:
      - .address_space:  global
        .offset:         0
        .size:           8
        .value_kind:     global_buffer
      - .offset:         8
        .size:           4
        .value_kind:     by_value
      - .offset:         12
        .size:           4
        .value_kind:     by_value
      - .address_space:  global
        .offset:         16
        .size:           8
        .value_kind:     global_buffer
      - .offset:         24
        .size:           4
        .value_kind:     hidden_block_count_x
      - .offset:         28
        .size:           4
        .value_kind:     hidden_block_count_y
      - .offset:         32
        .size:           4
        .value_kind:     hidden_block_count_z
      - .offset:         36
        .size:           2
        .value_kind:     hidden_group_size_x
      - .offset:         38
        .size:           2
        .value_kind:     hidden_group_size_y
      - .offset:         40
        .size:           2
        .value_kind:     hidden_group_size_z
      - .offset:         42
        .size:           2
        .value_kind:     hidden_remainder_x
      - .offset:         44
        .size:           2
        .value_kind:     hidden_remainder_y
      - .offset:         46
        .size:           2
        .value_kind:     hidden_remainder_z
      - .offset:         64
        .size:           8
        .value_kind:     hidden_global_offset_x
      - .offset:         72
        .size:           8
        .value_kind:     hidden_global_offset_y
      - .offset:         80
        .size:           8
        .value_kind:     hidden_global_offset_z
      - .offset:         88
        .size:           2
        .value_kind:     hidden_grid_dims
    .group_segment_fixed_size: 0
    .kernarg_segment_align: 8
    .kernarg_segment_size: 280
    .language:       OpenCL C
    .language_version:
      - 2
      - 0
    .max_flat_workgroup_size: 256
    .name:           _ZN7rocprim6detail31init_lookback_scan_state_kernelINS0_19lookback_scan_stateINS_5tupleIJsbEEELb0ELb1EEEEEvT_jjPNS6_10value_typeE
    .private_segment_fixed_size: 0
    .sgpr_count:     18
    .sgpr_spill_count: 0
    .symbol:         _ZN7rocprim6detail31init_lookback_scan_state_kernelINS0_19lookback_scan_stateINS_5tupleIJsbEEELb0ELb1EEEEEvT_jjPNS6_10value_typeE.kd
    .uniform_work_group_size: 1
    .uses_dynamic_stack: false
    .vgpr_count:     6
    .vgpr_spill_count: 0
    .wavefront_size: 32
    .workgroup_processor_mode: 1
  - .args:
      - .address_space:  global
        .offset:         0
        .size:           8
        .value_kind:     global_buffer
      - .offset:         8
        .size:           16
        .value_kind:     by_value
      - .address_space:  global
        .offset:         24
        .size:           8
        .value_kind:     global_buffer
      - .offset:         32
        .size:           2
        .value_kind:     by_value
      - .offset:         34
        .size:           1
        .value_kind:     by_value
      - .offset:         35
        .size:           1
        .value_kind:     by_value
      - .address_space:  global
        .offset:         40
        .size:           8
        .value_kind:     global_buffer
      - .offset:         48
        .size:           8
        .value_kind:     by_value
      - .offset:         56
        .size:           8
        .value_kind:     by_value
      - .offset:         64
        .size:           8
        .value_kind:     by_value
      - .address_space:  global
        .offset:         72
        .size:           8
        .value_kind:     global_buffer
    .group_segment_fixed_size: 0
    .kernarg_segment_align: 8
    .kernarg_segment_size: 80
    .language:       OpenCL C
    .language_version:
      - 2
      - 0
    .max_flat_workgroup_size: 64
    .name:           _ZN7rocprim6detail25device_scan_by_key_kernelILNS0_25lookback_scan_determinismE0ELb0ENS0_26wrapped_scan_by_key_configINS_14default_configEisEEPiN6hipcub22TransformInputIteratorIsNS7_6CastOpIsEEPslEEPfsNS7_8EqualityENS7_3MaxENS0_19lookback_scan_stateINS_5tupleIJsbEEELb1ELb1EEEsEEvT2_T3_T4_T5_T6_T7_T8_mmmPKNSH_IJT9_bEEE
    .private_segment_fixed_size: 0
    .sgpr_count:     0
    .sgpr_spill_count: 0
    .symbol:         _ZN7rocprim6detail25device_scan_by_key_kernelILNS0_25lookback_scan_determinismE0ELb0ENS0_26wrapped_scan_by_key_configINS_14default_configEisEEPiN6hipcub22TransformInputIteratorIsNS7_6CastOpIsEEPslEEPfsNS7_8EqualityENS7_3MaxENS0_19lookback_scan_stateINS_5tupleIJsbEEELb1ELb1EEEsEEvT2_T3_T4_T5_T6_T7_T8_mmmPKNSH_IJT9_bEEE.kd
    .uniform_work_group_size: 1
    .uses_dynamic_stack: false
    .vgpr_count:     0
    .vgpr_spill_count: 0
    .wavefront_size: 32
    .workgroup_processor_mode: 1
  - .args:
      - .address_space:  global
        .offset:         0
        .size:           8
        .value_kind:     global_buffer
      - .offset:         8
        .size:           16
        .value_kind:     by_value
      - .address_space:  global
        .offset:         24
        .size:           8
        .value_kind:     global_buffer
      - .offset:         32
        .size:           2
        .value_kind:     by_value
      - .offset:         34
        .size:           1
        .value_kind:     by_value
      - .offset:         35
        .size:           1
        .value_kind:     by_value
      - .address_space:  global
        .offset:         40
        .size:           8
        .value_kind:     global_buffer
      - .offset:         48
        .size:           8
        .value_kind:     by_value
      - .offset:         56
        .size:           8
        .value_kind:     by_value
      - .offset:         64
        .size:           8
        .value_kind:     by_value
      - .address_space:  global
        .offset:         72
        .size:           8
        .value_kind:     global_buffer
    .group_segment_fixed_size: 6144
    .kernarg_segment_align: 8
    .kernarg_segment_size: 80
    .language:       OpenCL C
    .language_version:
      - 2
      - 0
    .max_flat_workgroup_size: 64
    .name:           _ZN7rocprim6detail25device_scan_by_key_kernelILNS0_25lookback_scan_determinismE0ELb0ENS0_26wrapped_scan_by_key_configINS_14default_configEisEEPiN6hipcub22TransformInputIteratorIsNS7_6CastOpIsEEPslEEPfsNS7_8EqualityENS7_3MaxENS0_19lookback_scan_stateINS_5tupleIJsbEEELb0ELb1EEEsEEvT2_T3_T4_T5_T6_T7_T8_mmmPKNSH_IJT9_bEEE
    .private_segment_fixed_size: 0
    .sgpr_count:     46
    .sgpr_spill_count: 0
    .symbol:         _ZN7rocprim6detail25device_scan_by_key_kernelILNS0_25lookback_scan_determinismE0ELb0ENS0_26wrapped_scan_by_key_configINS_14default_configEisEEPiN6hipcub22TransformInputIteratorIsNS7_6CastOpIsEEPslEEPfsNS7_8EqualityENS7_3MaxENS0_19lookback_scan_stateINS_5tupleIJsbEEELb0ELb1EEEsEEvT2_T3_T4_T5_T6_T7_T8_mmmPKNSH_IJT9_bEEE.kd
    .uniform_work_group_size: 1
    .uses_dynamic_stack: false
    .vgpr_count:     59
    .vgpr_spill_count: 0
    .wavefront_size: 32
    .workgroup_processor_mode: 1
  - .args:
      - .offset:         0
        .size:           24
        .value_kind:     by_value
      - .offset:         24
        .size:           4
        .value_kind:     by_value
      - .offset:         28
        .size:           4
        .value_kind:     by_value
      - .address_space:  global
        .offset:         32
        .size:           8
        .value_kind:     global_buffer
      - .offset:         40
        .size:           4
        .value_kind:     hidden_block_count_x
      - .offset:         44
        .size:           4
        .value_kind:     hidden_block_count_y
      - .offset:         48
        .size:           4
        .value_kind:     hidden_block_count_z
      - .offset:         52
        .size:           2
        .value_kind:     hidden_group_size_x
      - .offset:         54
        .size:           2
        .value_kind:     hidden_group_size_y
      - .offset:         56
        .size:           2
        .value_kind:     hidden_group_size_z
      - .offset:         58
        .size:           2
        .value_kind:     hidden_remainder_x
      - .offset:         60
        .size:           2
        .value_kind:     hidden_remainder_y
      - .offset:         62
        .size:           2
        .value_kind:     hidden_remainder_z
      - .offset:         80
        .size:           8
        .value_kind:     hidden_global_offset_x
      - .offset:         88
        .size:           8
        .value_kind:     hidden_global_offset_y
      - .offset:         96
        .size:           8
        .value_kind:     hidden_global_offset_z
      - .offset:         104
        .size:           2
        .value_kind:     hidden_grid_dims
    .group_segment_fixed_size: 0
    .kernarg_segment_align: 8
    .kernarg_segment_size: 296
    .language:       OpenCL C
    .language_version:
      - 2
      - 0
    .max_flat_workgroup_size: 256
    .name:           _ZN7rocprim6detail31init_lookback_scan_state_kernelINS0_19lookback_scan_stateINS_5tupleIJmbEEELb1ELb0EEEEEvT_jjPNS6_10value_typeE
    .private_segment_fixed_size: 0
    .sgpr_count:     18
    .sgpr_spill_count: 0
    .symbol:         _ZN7rocprim6detail31init_lookback_scan_state_kernelINS0_19lookback_scan_stateINS_5tupleIJmbEEELb1ELb0EEEEEvT_jjPNS6_10value_typeE.kd
    .uniform_work_group_size: 1
    .uses_dynamic_stack: false
    .vgpr_count:     5
    .vgpr_spill_count: 0
    .wavefront_size: 32
    .workgroup_processor_mode: 1
  - .args:
      - .offset:         0
        .size:           24
        .value_kind:     by_value
      - .offset:         24
        .size:           4
        .value_kind:     by_value
      - .offset:         28
        .size:           4
        .value_kind:     by_value
      - .address_space:  global
        .offset:         32
        .size:           8
        .value_kind:     global_buffer
      - .offset:         40
        .size:           4
        .value_kind:     hidden_block_count_x
      - .offset:         44
        .size:           4
        .value_kind:     hidden_block_count_y
      - .offset:         48
        .size:           4
        .value_kind:     hidden_block_count_z
      - .offset:         52
        .size:           2
        .value_kind:     hidden_group_size_x
      - .offset:         54
        .size:           2
        .value_kind:     hidden_group_size_y
      - .offset:         56
        .size:           2
        .value_kind:     hidden_group_size_z
      - .offset:         58
        .size:           2
        .value_kind:     hidden_remainder_x
      - .offset:         60
        .size:           2
        .value_kind:     hidden_remainder_y
      - .offset:         62
        .size:           2
        .value_kind:     hidden_remainder_z
      - .offset:         80
        .size:           8
        .value_kind:     hidden_global_offset_x
      - .offset:         88
        .size:           8
        .value_kind:     hidden_global_offset_y
      - .offset:         96
        .size:           8
        .value_kind:     hidden_global_offset_z
      - .offset:         104
        .size:           2
        .value_kind:     hidden_grid_dims
    .group_segment_fixed_size: 0
    .kernarg_segment_align: 8
    .kernarg_segment_size: 296
    .language:       OpenCL C
    .language_version:
      - 2
      - 0
    .max_flat_workgroup_size: 256
    .name:           _ZN7rocprim6detail31init_lookback_scan_state_kernelINS0_19lookback_scan_stateINS_5tupleIJmbEEELb0ELb0EEEEEvT_jjPNS6_10value_typeE
    .private_segment_fixed_size: 0
    .sgpr_count:     18
    .sgpr_spill_count: 0
    .symbol:         _ZN7rocprim6detail31init_lookback_scan_state_kernelINS0_19lookback_scan_stateINS_5tupleIJmbEEELb0ELb0EEEEEvT_jjPNS6_10value_typeE.kd
    .uniform_work_group_size: 1
    .uses_dynamic_stack: false
    .vgpr_count:     5
    .vgpr_spill_count: 0
    .wavefront_size: 32
    .workgroup_processor_mode: 1
  - .args:
      - .address_space:  global
        .offset:         0
        .size:           8
        .value_kind:     global_buffer
      - .offset:         8
        .size:           16
        .value_kind:     by_value
      - .address_space:  global
        .offset:         24
        .size:           8
        .value_kind:     global_buffer
      - .offset:         32
        .size:           8
        .value_kind:     by_value
      - .offset:         40
        .size:           1
        .value_kind:     by_value
      - .offset:         41
        .size:           1
        .value_kind:     by_value
      - .offset:         48
        .size:           24
        .value_kind:     by_value
      - .offset:         72
        .size:           8
        .value_kind:     by_value
      - .offset:         80
        .size:           8
        .value_kind:     by_value
      - .offset:         88
        .size:           8
        .value_kind:     by_value
      - .address_space:  global
        .offset:         96
        .size:           8
        .value_kind:     global_buffer
    .group_segment_fixed_size: 0
    .kernarg_segment_align: 8
    .kernarg_segment_size: 104
    .language:       OpenCL C
    .language_version:
      - 2
      - 0
    .max_flat_workgroup_size: 256
    .name:           _ZN7rocprim6detail25device_scan_by_key_kernelILNS0_25lookback_scan_determinismE0ELb0ENS0_26wrapped_scan_by_key_configINS_14default_configEimEEPiN6hipcub22TransformInputIteratorImNS7_6CastOpImEEPmlEESB_mNS7_8EqualityENS7_3SumENS0_19lookback_scan_stateINS_5tupleIJmbEEELb1ELb0EEEmEEvT2_T3_T4_T5_T6_T7_T8_mmmPKNSG_IJT9_bEEE
    .private_segment_fixed_size: 0
    .sgpr_count:     0
    .sgpr_spill_count: 0
    .symbol:         _ZN7rocprim6detail25device_scan_by_key_kernelILNS0_25lookback_scan_determinismE0ELb0ENS0_26wrapped_scan_by_key_configINS_14default_configEimEEPiN6hipcub22TransformInputIteratorImNS7_6CastOpImEEPmlEESB_mNS7_8EqualityENS7_3SumENS0_19lookback_scan_stateINS_5tupleIJmbEEELb1ELb0EEEmEEvT2_T3_T4_T5_T6_T7_T8_mmmPKNSG_IJT9_bEEE.kd
    .uniform_work_group_size: 1
    .uses_dynamic_stack: false
    .vgpr_count:     0
    .vgpr_spill_count: 0
    .wavefront_size: 32
    .workgroup_processor_mode: 1
  - .args:
      - .address_space:  global
        .offset:         0
        .size:           8
        .value_kind:     global_buffer
      - .offset:         8
        .size:           16
        .value_kind:     by_value
      - .address_space:  global
        .offset:         24
        .size:           8
        .value_kind:     global_buffer
      - .offset:         32
        .size:           8
        .value_kind:     by_value
      - .offset:         40
        .size:           1
        .value_kind:     by_value
      - .offset:         41
        .size:           1
        .value_kind:     by_value
      - .offset:         48
        .size:           24
        .value_kind:     by_value
      - .offset:         72
        .size:           8
        .value_kind:     by_value
      - .offset:         80
        .size:           8
        .value_kind:     by_value
      - .offset:         88
        .size:           8
        .value_kind:     by_value
      - .address_space:  global
        .offset:         96
        .size:           8
        .value_kind:     global_buffer
    .group_segment_fixed_size: 16896
    .kernarg_segment_align: 8
    .kernarg_segment_size: 104
    .language:       OpenCL C
    .language_version:
      - 2
      - 0
    .max_flat_workgroup_size: 256
    .name:           _ZN7rocprim6detail25device_scan_by_key_kernelILNS0_25lookback_scan_determinismE0ELb0ENS0_26wrapped_scan_by_key_configINS_14default_configEimEEPiN6hipcub22TransformInputIteratorImNS7_6CastOpImEEPmlEESB_mNS7_8EqualityENS7_3SumENS0_19lookback_scan_stateINS_5tupleIJmbEEELb0ELb0EEEmEEvT2_T3_T4_T5_T6_T7_T8_mmmPKNSG_IJT9_bEEE
    .private_segment_fixed_size: 0
    .sgpr_count:     39
    .sgpr_spill_count: 0
    .symbol:         _ZN7rocprim6detail25device_scan_by_key_kernelILNS0_25lookback_scan_determinismE0ELb0ENS0_26wrapped_scan_by_key_configINS_14default_configEimEEPiN6hipcub22TransformInputIteratorImNS7_6CastOpImEEPmlEESB_mNS7_8EqualityENS7_3SumENS0_19lookback_scan_stateINS_5tupleIJmbEEELb0ELb0EEEmEEvT2_T3_T4_T5_T6_T7_T8_mmmPKNSG_IJT9_bEEE.kd
    .uniform_work_group_size: 1
    .uses_dynamic_stack: false
    .vgpr_count:     72
    .vgpr_spill_count: 0
    .wavefront_size: 32
    .workgroup_processor_mode: 1
  - .args:
      - .offset:         0
        .size:           24
        .value_kind:     by_value
      - .offset:         24
        .size:           4
        .value_kind:     by_value
      - .offset:         28
        .size:           4
        .value_kind:     by_value
      - .address_space:  global
        .offset:         32
        .size:           8
        .value_kind:     global_buffer
      - .offset:         40
        .size:           4
        .value_kind:     hidden_block_count_x
      - .offset:         44
        .size:           4
        .value_kind:     hidden_block_count_y
      - .offset:         48
        .size:           4
        .value_kind:     hidden_block_count_z
      - .offset:         52
        .size:           2
        .value_kind:     hidden_group_size_x
      - .offset:         54
        .size:           2
        .value_kind:     hidden_group_size_y
      - .offset:         56
        .size:           2
        .value_kind:     hidden_group_size_z
      - .offset:         58
        .size:           2
        .value_kind:     hidden_remainder_x
      - .offset:         60
        .size:           2
        .value_kind:     hidden_remainder_y
      - .offset:         62
        .size:           2
        .value_kind:     hidden_remainder_z
      - .offset:         80
        .size:           8
        .value_kind:     hidden_global_offset_x
      - .offset:         88
        .size:           8
        .value_kind:     hidden_global_offset_y
      - .offset:         96
        .size:           8
        .value_kind:     hidden_global_offset_z
      - .offset:         104
        .size:           2
        .value_kind:     hidden_grid_dims
    .group_segment_fixed_size: 0
    .kernarg_segment_align: 8
    .kernarg_segment_size: 296
    .language:       OpenCL C
    .language_version:
      - 2
      - 0
    .max_flat_workgroup_size: 256
    .name:           _ZN7rocprim6detail31init_lookback_scan_state_kernelINS0_19lookback_scan_stateINS_5tupleIJybEEELb1ELb0EEEEEvT_jjPNS6_10value_typeE
    .private_segment_fixed_size: 0
    .sgpr_count:     18
    .sgpr_spill_count: 0
    .symbol:         _ZN7rocprim6detail31init_lookback_scan_state_kernelINS0_19lookback_scan_stateINS_5tupleIJybEEELb1ELb0EEEEEvT_jjPNS6_10value_typeE.kd
    .uniform_work_group_size: 1
    .uses_dynamic_stack: false
    .vgpr_count:     5
    .vgpr_spill_count: 0
    .wavefront_size: 32
    .workgroup_processor_mode: 1
  - .args:
      - .offset:         0
        .size:           24
        .value_kind:     by_value
      - .offset:         24
        .size:           4
        .value_kind:     by_value
      - .offset:         28
        .size:           4
        .value_kind:     by_value
      - .address_space:  global
        .offset:         32
        .size:           8
        .value_kind:     global_buffer
      - .offset:         40
        .size:           4
        .value_kind:     hidden_block_count_x
      - .offset:         44
        .size:           4
        .value_kind:     hidden_block_count_y
      - .offset:         48
        .size:           4
        .value_kind:     hidden_block_count_z
      - .offset:         52
        .size:           2
        .value_kind:     hidden_group_size_x
      - .offset:         54
        .size:           2
        .value_kind:     hidden_group_size_y
      - .offset:         56
        .size:           2
        .value_kind:     hidden_group_size_z
      - .offset:         58
        .size:           2
        .value_kind:     hidden_remainder_x
      - .offset:         60
        .size:           2
        .value_kind:     hidden_remainder_y
      - .offset:         62
        .size:           2
        .value_kind:     hidden_remainder_z
      - .offset:         80
        .size:           8
        .value_kind:     hidden_global_offset_x
      - .offset:         88
        .size:           8
        .value_kind:     hidden_global_offset_y
      - .offset:         96
        .size:           8
        .value_kind:     hidden_global_offset_z
      - .offset:         104
        .size:           2
        .value_kind:     hidden_grid_dims
    .group_segment_fixed_size: 0
    .kernarg_segment_align: 8
    .kernarg_segment_size: 296
    .language:       OpenCL C
    .language_version:
      - 2
      - 0
    .max_flat_workgroup_size: 256
    .name:           _ZN7rocprim6detail31init_lookback_scan_state_kernelINS0_19lookback_scan_stateINS_5tupleIJybEEELb0ELb0EEEEEvT_jjPNS6_10value_typeE
    .private_segment_fixed_size: 0
    .sgpr_count:     18
    .sgpr_spill_count: 0
    .symbol:         _ZN7rocprim6detail31init_lookback_scan_state_kernelINS0_19lookback_scan_stateINS_5tupleIJybEEELb0ELb0EEEEEvT_jjPNS6_10value_typeE.kd
    .uniform_work_group_size: 1
    .uses_dynamic_stack: false
    .vgpr_count:     5
    .vgpr_spill_count: 0
    .wavefront_size: 32
    .workgroup_processor_mode: 1
  - .args:
      - .address_space:  global
        .offset:         0
        .size:           8
        .value_kind:     global_buffer
      - .offset:         8
        .size:           16
        .value_kind:     by_value
      - .address_space:  global
        .offset:         24
        .size:           8
        .value_kind:     global_buffer
      - .offset:         32
        .size:           8
        .value_kind:     by_value
      - .offset:         40
        .size:           1
        .value_kind:     by_value
      - .offset:         41
        .size:           1
        .value_kind:     by_value
      - .offset:         48
        .size:           24
        .value_kind:     by_value
      - .offset:         72
        .size:           8
        .value_kind:     by_value
      - .offset:         80
        .size:           8
        .value_kind:     by_value
      - .offset:         88
        .size:           8
        .value_kind:     by_value
      - .address_space:  global
        .offset:         96
        .size:           8
        .value_kind:     global_buffer
    .group_segment_fixed_size: 0
    .kernarg_segment_align: 8
    .kernarg_segment_size: 104
    .language:       OpenCL C
    .language_version:
      - 2
      - 0
    .max_flat_workgroup_size: 256
    .name:           _ZN7rocprim6detail25device_scan_by_key_kernelILNS0_25lookback_scan_determinismE0ELb0ENS0_26wrapped_scan_by_key_configINS_14default_configEiyEEPiN6hipcub22TransformInputIteratorIyNS7_6CastOpIyEEPylEESB_yNS7_8EqualityENS7_3SumENS0_19lookback_scan_stateINS_5tupleIJybEEELb1ELb0EEEyEEvT2_T3_T4_T5_T6_T7_T8_mmmPKNSG_IJT9_bEEE
    .private_segment_fixed_size: 0
    .sgpr_count:     0
    .sgpr_spill_count: 0
    .symbol:         _ZN7rocprim6detail25device_scan_by_key_kernelILNS0_25lookback_scan_determinismE0ELb0ENS0_26wrapped_scan_by_key_configINS_14default_configEiyEEPiN6hipcub22TransformInputIteratorIyNS7_6CastOpIyEEPylEESB_yNS7_8EqualityENS7_3SumENS0_19lookback_scan_stateINS_5tupleIJybEEELb1ELb0EEEyEEvT2_T3_T4_T5_T6_T7_T8_mmmPKNSG_IJT9_bEEE.kd
    .uniform_work_group_size: 1
    .uses_dynamic_stack: false
    .vgpr_count:     0
    .vgpr_spill_count: 0
    .wavefront_size: 32
    .workgroup_processor_mode: 1
  - .args:
      - .address_space:  global
        .offset:         0
        .size:           8
        .value_kind:     global_buffer
      - .offset:         8
        .size:           16
        .value_kind:     by_value
      - .address_space:  global
        .offset:         24
        .size:           8
        .value_kind:     global_buffer
      - .offset:         32
        .size:           8
        .value_kind:     by_value
      - .offset:         40
        .size:           1
        .value_kind:     by_value
      - .offset:         41
        .size:           1
        .value_kind:     by_value
      - .offset:         48
        .size:           24
        .value_kind:     by_value
      - .offset:         72
        .size:           8
        .value_kind:     by_value
      - .offset:         80
        .size:           8
        .value_kind:     by_value
      - .offset:         88
        .size:           8
        .value_kind:     by_value
      - .address_space:  global
        .offset:         96
        .size:           8
        .value_kind:     global_buffer
    .group_segment_fixed_size: 16896
    .kernarg_segment_align: 8
    .kernarg_segment_size: 104
    .language:       OpenCL C
    .language_version:
      - 2
      - 0
    .max_flat_workgroup_size: 256
    .name:           _ZN7rocprim6detail25device_scan_by_key_kernelILNS0_25lookback_scan_determinismE0ELb0ENS0_26wrapped_scan_by_key_configINS_14default_configEiyEEPiN6hipcub22TransformInputIteratorIyNS7_6CastOpIyEEPylEESB_yNS7_8EqualityENS7_3SumENS0_19lookback_scan_stateINS_5tupleIJybEEELb0ELb0EEEyEEvT2_T3_T4_T5_T6_T7_T8_mmmPKNSG_IJT9_bEEE
    .private_segment_fixed_size: 0
    .sgpr_count:     39
    .sgpr_spill_count: 0
    .symbol:         _ZN7rocprim6detail25device_scan_by_key_kernelILNS0_25lookback_scan_determinismE0ELb0ENS0_26wrapped_scan_by_key_configINS_14default_configEiyEEPiN6hipcub22TransformInputIteratorIyNS7_6CastOpIyEEPylEESB_yNS7_8EqualityENS7_3SumENS0_19lookback_scan_stateINS_5tupleIJybEEELb0ELb0EEEyEEvT2_T3_T4_T5_T6_T7_T8_mmmPKNSG_IJT9_bEEE.kd
    .uniform_work_group_size: 1
    .uses_dynamic_stack: false
    .vgpr_count:     72
    .vgpr_spill_count: 0
    .wavefront_size: 32
    .workgroup_processor_mode: 1
  - .args:
      - .address_space:  global
        .offset:         0
        .size:           8
        .value_kind:     global_buffer
      - .offset:         8
        .size:           16
        .value_kind:     by_value
      - .address_space:  global
        .offset:         24
        .size:           8
        .value_kind:     global_buffer
      - .offset:         32
        .size:           8
        .value_kind:     by_value
      - .offset:         40
        .size:           1
        .value_kind:     by_value
      - .offset:         41
        .size:           1
        .value_kind:     by_value
      - .offset:         48
        .size:           24
        .value_kind:     by_value
      - .offset:         72
        .size:           8
        .value_kind:     by_value
      - .offset:         80
        .size:           8
        .value_kind:     by_value
      - .offset:         88
        .size:           8
        .value_kind:     by_value
      - .address_space:  global
        .offset:         96
        .size:           8
        .value_kind:     global_buffer
    .group_segment_fixed_size: 0
    .kernarg_segment_align: 8
    .kernarg_segment_size: 104
    .language:       OpenCL C
    .language_version:
      - 2
      - 0
    .max_flat_workgroup_size: 256
    .name:           _ZN7rocprim6detail25device_scan_by_key_kernelILNS0_25lookback_scan_determinismE0ELb0ENS0_26wrapped_scan_by_key_configINS_14default_configEiyEEPiN6hipcub22TransformInputIteratorIyNS7_6CastOpIyEEPylEESB_yNS7_8EqualityENS7_3MinENS0_19lookback_scan_stateINS_5tupleIJybEEELb1ELb0EEEyEEvT2_T3_T4_T5_T6_T7_T8_mmmPKNSG_IJT9_bEEE
    .private_segment_fixed_size: 0
    .sgpr_count:     0
    .sgpr_spill_count: 0
    .symbol:         _ZN7rocprim6detail25device_scan_by_key_kernelILNS0_25lookback_scan_determinismE0ELb0ENS0_26wrapped_scan_by_key_configINS_14default_configEiyEEPiN6hipcub22TransformInputIteratorIyNS7_6CastOpIyEEPylEESB_yNS7_8EqualityENS7_3MinENS0_19lookback_scan_stateINS_5tupleIJybEEELb1ELb0EEEyEEvT2_T3_T4_T5_T6_T7_T8_mmmPKNSG_IJT9_bEEE.kd
    .uniform_work_group_size: 1
    .uses_dynamic_stack: false
    .vgpr_count:     0
    .vgpr_spill_count: 0
    .wavefront_size: 32
    .workgroup_processor_mode: 1
  - .args:
      - .address_space:  global
        .offset:         0
        .size:           8
        .value_kind:     global_buffer
      - .offset:         8
        .size:           16
        .value_kind:     by_value
      - .address_space:  global
        .offset:         24
        .size:           8
        .value_kind:     global_buffer
      - .offset:         32
        .size:           8
        .value_kind:     by_value
      - .offset:         40
        .size:           1
        .value_kind:     by_value
      - .offset:         41
        .size:           1
        .value_kind:     by_value
      - .offset:         48
        .size:           24
        .value_kind:     by_value
      - .offset:         72
        .size:           8
        .value_kind:     by_value
      - .offset:         80
        .size:           8
        .value_kind:     by_value
      - .offset:         88
        .size:           8
        .value_kind:     by_value
      - .address_space:  global
        .offset:         96
        .size:           8
        .value_kind:     global_buffer
    .group_segment_fixed_size: 16896
    .kernarg_segment_align: 8
    .kernarg_segment_size: 104
    .language:       OpenCL C
    .language_version:
      - 2
      - 0
    .max_flat_workgroup_size: 256
    .name:           _ZN7rocprim6detail25device_scan_by_key_kernelILNS0_25lookback_scan_determinismE0ELb0ENS0_26wrapped_scan_by_key_configINS_14default_configEiyEEPiN6hipcub22TransformInputIteratorIyNS7_6CastOpIyEEPylEESB_yNS7_8EqualityENS7_3MinENS0_19lookback_scan_stateINS_5tupleIJybEEELb0ELb0EEEyEEvT2_T3_T4_T5_T6_T7_T8_mmmPKNSG_IJT9_bEEE
    .private_segment_fixed_size: 0
    .sgpr_count:     39
    .sgpr_spill_count: 0
    .symbol:         _ZN7rocprim6detail25device_scan_by_key_kernelILNS0_25lookback_scan_determinismE0ELb0ENS0_26wrapped_scan_by_key_configINS_14default_configEiyEEPiN6hipcub22TransformInputIteratorIyNS7_6CastOpIyEEPylEESB_yNS7_8EqualityENS7_3MinENS0_19lookback_scan_stateINS_5tupleIJybEEELb0ELb0EEEyEEvT2_T3_T4_T5_T6_T7_T8_mmmPKNSG_IJT9_bEEE.kd
    .uniform_work_group_size: 1
    .uses_dynamic_stack: false
    .vgpr_count:     72
    .vgpr_spill_count: 0
    .wavefront_size: 32
    .workgroup_processor_mode: 1
  - .args:
      - .offset:         0
        .size:           16
        .value_kind:     by_value
      - .address_space:  global
        .offset:         16
        .size:           8
        .value_kind:     global_buffer
      - .offset:         24
        .size:           8
        .value_kind:     by_value
      - .offset:         32
        .size:           4
        .value_kind:     by_value
      - .offset:         36
        .size:           1
        .value_kind:     by_value
      - .address_space:  global
        .offset:         40
        .size:           8
        .value_kind:     global_buffer
      - .offset:         48
        .size:           4
        .value_kind:     by_value
      - .address_space:  global
        .offset:         56
        .size:           8
        .value_kind:     global_buffer
      - .address_space:  global
        .offset:         64
        .size:           8
        .value_kind:     global_buffer
      - .offset:         72
        .size:           1
        .value_kind:     by_value
      - .offset:         73
        .size:           1
        .value_kind:     by_value
    .group_segment_fixed_size: 0
    .kernarg_segment_align: 8
    .kernarg_segment_size: 76
    .language:       OpenCL C
    .language_version:
      - 2
      - 0
    .max_flat_workgroup_size: 64
    .name:           _ZN7rocprim6detail20lookback_scan_kernelILNS0_25lookback_scan_determinismE0ELb1ENS0_19wrapped_scan_configINS_14default_configEiEEN6hipcub22TransformInputIteratorIiNS6_6CastOpIiEEPilEEPlNS6_3SumEiiNS0_19lookback_scan_stateIiLb1ELb1EEEEEvT2_T3_mT5_T4_T7_jPT6_SM_bb
    .private_segment_fixed_size: 0
    .sgpr_count:     0
    .sgpr_spill_count: 0
    .symbol:         _ZN7rocprim6detail20lookback_scan_kernelILNS0_25lookback_scan_determinismE0ELb1ENS0_19wrapped_scan_configINS_14default_configEiEEN6hipcub22TransformInputIteratorIiNS6_6CastOpIiEEPilEEPlNS6_3SumEiiNS0_19lookback_scan_stateIiLb1ELb1EEEEEvT2_T3_mT5_T4_T7_jPT6_SM_bb.kd
    .uniform_work_group_size: 1
    .uses_dynamic_stack: false
    .vgpr_count:     0
    .vgpr_spill_count: 0
    .wavefront_size: 32
    .workgroup_processor_mode: 1
  - .args:
      - .offset:         0
        .size:           16
        .value_kind:     by_value
      - .address_space:  global
        .offset:         16
        .size:           8
        .value_kind:     global_buffer
      - .offset:         24
        .size:           8
        .value_kind:     by_value
      - .offset:         32
        .size:           4
        .value_kind:     by_value
      - .offset:         36
        .size:           1
        .value_kind:     by_value
      - .address_space:  global
        .offset:         40
        .size:           8
        .value_kind:     global_buffer
      - .offset:         48
        .size:           4
        .value_kind:     by_value
      - .address_space:  global
        .offset:         56
        .size:           8
        .value_kind:     global_buffer
      - .address_space:  global
        .offset:         64
        .size:           8
        .value_kind:     global_buffer
      - .offset:         72
        .size:           1
        .value_kind:     by_value
      - .offset:         73
        .size:           1
        .value_kind:     by_value
    .group_segment_fixed_size: 4224
    .kernarg_segment_align: 8
    .kernarg_segment_size: 76
    .language:       OpenCL C
    .language_version:
      - 2
      - 0
    .max_flat_workgroup_size: 64
    .name:           _ZN7rocprim6detail20lookback_scan_kernelILNS0_25lookback_scan_determinismE0ELb1ENS0_19wrapped_scan_configINS_14default_configEiEEN6hipcub22TransformInputIteratorIiNS6_6CastOpIiEEPilEEPlNS6_3SumEiiNS0_19lookback_scan_stateIiLb0ELb1EEEEEvT2_T3_mT5_T4_T7_jPT6_SM_bb
    .private_segment_fixed_size: 0
    .sgpr_count:     39
    .sgpr_spill_count: 0
    .symbol:         _ZN7rocprim6detail20lookback_scan_kernelILNS0_25lookback_scan_determinismE0ELb1ENS0_19wrapped_scan_configINS_14default_configEiEEN6hipcub22TransformInputIteratorIiNS6_6CastOpIiEEPilEEPlNS6_3SumEiiNS0_19lookback_scan_stateIiLb0ELb1EEEEEvT2_T3_mT5_T4_T7_jPT6_SM_bb.kd
    .uniform_work_group_size: 1
    .uses_dynamic_stack: false
    .vgpr_count:     70
    .vgpr_spill_count: 0
    .wavefront_size: 32
    .workgroup_processor_mode: 1
  - .args:
      - .offset:         0
        .size:           16
        .value_kind:     by_value
      - .offset:         16
        .size:           8
        .value_kind:     by_value
      - .offset:         24
        .size:           4
        .value_kind:     by_value
      - .address_space:  global
        .offset:         32
        .size:           8
        .value_kind:     global_buffer
      - .offset:         40
        .size:           1
        .value_kind:     by_value
    .group_segment_fixed_size: 4224
    .kernarg_segment_align: 8
    .kernarg_segment_size: 44
    .language:       OpenCL C
    .language_version:
      - 2
      - 0
    .max_flat_workgroup_size: 64
    .name:           _ZN7rocprim6detail18single_scan_kernelILb1ENS0_19wrapped_scan_configINS_14default_configEiEEN6hipcub22TransformInputIteratorIiNS5_6CastOpIiEEPilEEPlNS5_3SumEiiEEvT1_mT4_T2_T3_
    .private_segment_fixed_size: 0
    .sgpr_count:     23
    .sgpr_spill_count: 0
    .symbol:         _ZN7rocprim6detail18single_scan_kernelILb1ENS0_19wrapped_scan_configINS_14default_configEiEEN6hipcub22TransformInputIteratorIiNS5_6CastOpIiEEPilEEPlNS5_3SumEiiEEvT1_mT4_T2_T3_.kd
    .uniform_work_group_size: 1
    .uses_dynamic_stack: false
    .vgpr_count:     42
    .vgpr_spill_count: 0
    .wavefront_size: 32
    .workgroup_processor_mode: 1
  - .args:
      - .address_space:  global
        .offset:         0
        .size:           8
        .value_kind:     global_buffer
      - .address_space:  global
        .offset:         8
        .size:           8
        .value_kind:     global_buffer
      - .offset:         16
        .size:           8
        .value_kind:     by_value
      - .offset:         24
        .size:           2
        .value_kind:     by_value
      - .offset:         26
        .size:           1
        .value_kind:     by_value
      - .address_space:  global
        .offset:         32
        .size:           8
        .value_kind:     global_buffer
      - .offset:         40
        .size:           4
        .value_kind:     by_value
      - .address_space:  global
        .offset:         48
        .size:           8
        .value_kind:     global_buffer
      - .address_space:  global
        .offset:         56
        .size:           8
        .value_kind:     global_buffer
      - .offset:         64
        .size:           1
        .value_kind:     by_value
      - .offset:         65
        .size:           1
        .value_kind:     by_value
    .group_segment_fixed_size: 0
    .kernarg_segment_align: 8
    .kernarg_segment_size: 68
    .language:       OpenCL C
    .language_version:
      - 2
      - 0
    .max_flat_workgroup_size: 64
    .name:           _ZN7rocprim6detail20lookback_scan_kernelILNS0_25lookback_scan_determinismE0ELb1ENS0_19wrapped_scan_configINS_14default_configE6__halfEEPS5_S7_N6hipcub3MaxES5_S5_NS0_19lookback_scan_stateIS5_Lb1ELb1EEEEEvT2_T3_mT5_T4_T7_jPT6_SI_bb
    .private_segment_fixed_size: 0
    .sgpr_count:     0
    .sgpr_spill_count: 0
    .symbol:         _ZN7rocprim6detail20lookback_scan_kernelILNS0_25lookback_scan_determinismE0ELb1ENS0_19wrapped_scan_configINS_14default_configE6__halfEEPS5_S7_N6hipcub3MaxES5_S5_NS0_19lookback_scan_stateIS5_Lb1ELb1EEEEEvT2_T3_mT5_T4_T7_jPT6_SI_bb.kd
    .uniform_work_group_size: 1
    .uses_dynamic_stack: false
    .vgpr_count:     0
    .vgpr_spill_count: 0
    .wavefront_size: 32
    .workgroup_processor_mode: 1
  - .args:
      - .address_space:  global
        .offset:         0
        .size:           8
        .value_kind:     global_buffer
      - .address_space:  global
        .offset:         8
        .size:           8
        .value_kind:     global_buffer
      - .offset:         16
        .size:           8
        .value_kind:     by_value
      - .offset:         24
        .size:           2
        .value_kind:     by_value
      - .offset:         26
        .size:           1
        .value_kind:     by_value
      - .address_space:  global
        .offset:         32
        .size:           8
        .value_kind:     global_buffer
      - .offset:         40
        .size:           4
        .value_kind:     by_value
      - .address_space:  global
        .offset:         48
        .size:           8
        .value_kind:     global_buffer
      - .address_space:  global
        .offset:         56
        .size:           8
        .value_kind:     global_buffer
      - .offset:         64
        .size:           1
        .value_kind:     by_value
      - .offset:         65
        .size:           1
        .value_kind:     by_value
    .group_segment_fixed_size: 2816
    .kernarg_segment_align: 8
    .kernarg_segment_size: 68
    .language:       OpenCL C
    .language_version:
      - 2
      - 0
    .max_flat_workgroup_size: 64
    .name:           _ZN7rocprim6detail20lookback_scan_kernelILNS0_25lookback_scan_determinismE0ELb1ENS0_19wrapped_scan_configINS_14default_configE6__halfEEPS5_S7_N6hipcub3MaxES5_S5_NS0_19lookback_scan_stateIS5_Lb0ELb1EEEEEvT2_T3_mT5_T4_T7_jPT6_SI_bb
    .private_segment_fixed_size: 0
    .sgpr_count:     25
    .sgpr_spill_count: 0
    .symbol:         _ZN7rocprim6detail20lookback_scan_kernelILNS0_25lookback_scan_determinismE0ELb1ENS0_19wrapped_scan_configINS_14default_configE6__halfEEPS5_S7_N6hipcub3MaxES5_S5_NS0_19lookback_scan_stateIS5_Lb0ELb1EEEEEvT2_T3_mT5_T4_T7_jPT6_SI_bb.kd
    .uniform_work_group_size: 1
    .uses_dynamic_stack: false
    .vgpr_count:     50
    .vgpr_spill_count: 0
    .wavefront_size: 32
    .workgroup_processor_mode: 1
  - .args:
      - .address_space:  global
        .offset:         0
        .size:           8
        .value_kind:     global_buffer
      - .offset:         8
        .size:           8
        .value_kind:     by_value
      - .offset:         16
        .size:           2
        .value_kind:     by_value
      - .address_space:  global
        .offset:         24
        .size:           8
        .value_kind:     global_buffer
      - .offset:         32
        .size:           1
        .value_kind:     by_value
    .group_segment_fixed_size: 2816
    .kernarg_segment_align: 8
    .kernarg_segment_size: 36
    .language:       OpenCL C
    .language_version:
      - 2
      - 0
    .max_flat_workgroup_size: 64
    .name:           _ZN7rocprim6detail18single_scan_kernelILb1ENS0_19wrapped_scan_configINS_14default_configE6__halfEEPS4_S6_N6hipcub3MaxES4_S4_EEvT1_mT4_T2_T3_
    .private_segment_fixed_size: 0
    .sgpr_count:     30
    .sgpr_spill_count: 0
    .symbol:         _ZN7rocprim6detail18single_scan_kernelILb1ENS0_19wrapped_scan_configINS_14default_configE6__halfEEPS4_S6_N6hipcub3MaxES4_S4_EEvT1_mT4_T2_T3_.kd
    .uniform_work_group_size: 1
    .uses_dynamic_stack: false
    .vgpr_count:     33
    .vgpr_spill_count: 0
    .wavefront_size: 32
    .workgroup_processor_mode: 1
  - .args:
      - .address_space:  global
        .offset:         0
        .size:           8
        .value_kind:     global_buffer
      - .address_space:  global
        .offset:         8
        .size:           8
        .value_kind:     global_buffer
      - .offset:         16
        .size:           8
        .value_kind:     by_value
      - .offset:         24
        .size:           2
        .value_kind:     by_value
      - .offset:         26
        .size:           1
        .value_kind:     by_value
      - .address_space:  global
        .offset:         32
        .size:           8
        .value_kind:     global_buffer
      - .offset:         40
        .size:           4
        .value_kind:     by_value
      - .address_space:  global
        .offset:         48
        .size:           8
        .value_kind:     global_buffer
      - .address_space:  global
        .offset:         56
        .size:           8
        .value_kind:     global_buffer
      - .offset:         64
        .size:           1
        .value_kind:     by_value
      - .offset:         65
        .size:           1
        .value_kind:     by_value
    .group_segment_fixed_size: 0
    .kernarg_segment_align: 8
    .kernarg_segment_size: 68
    .language:       OpenCL C
    .language_version:
      - 2
      - 0
    .max_flat_workgroup_size: 64
    .name:           _ZN7rocprim6detail20lookback_scan_kernelILNS0_25lookback_scan_determinismE0ELb1ENS0_19wrapped_scan_configINS_14default_configE12hip_bfloat16EEPS5_S7_N6hipcub3MaxES5_S5_NS0_19lookback_scan_stateIS5_Lb1ELb1EEEEEvT2_T3_mT5_T4_T7_jPT6_SI_bb
    .private_segment_fixed_size: 0
    .sgpr_count:     0
    .sgpr_spill_count: 0
    .symbol:         _ZN7rocprim6detail20lookback_scan_kernelILNS0_25lookback_scan_determinismE0ELb1ENS0_19wrapped_scan_configINS_14default_configE12hip_bfloat16EEPS5_S7_N6hipcub3MaxES5_S5_NS0_19lookback_scan_stateIS5_Lb1ELb1EEEEEvT2_T3_mT5_T4_T7_jPT6_SI_bb.kd
    .uniform_work_group_size: 1
    .uses_dynamic_stack: false
    .vgpr_count:     0
    .vgpr_spill_count: 0
    .wavefront_size: 32
    .workgroup_processor_mode: 1
  - .args:
      - .address_space:  global
        .offset:         0
        .size:           8
        .value_kind:     global_buffer
      - .address_space:  global
        .offset:         8
        .size:           8
        .value_kind:     global_buffer
      - .offset:         16
        .size:           8
        .value_kind:     by_value
      - .offset:         24
        .size:           2
        .value_kind:     by_value
      - .offset:         26
        .size:           1
        .value_kind:     by_value
      - .address_space:  global
        .offset:         32
        .size:           8
        .value_kind:     global_buffer
      - .offset:         40
        .size:           4
        .value_kind:     by_value
      - .address_space:  global
        .offset:         48
        .size:           8
        .value_kind:     global_buffer
      - .address_space:  global
        .offset:         56
        .size:           8
        .value_kind:     global_buffer
      - .offset:         64
        .size:           1
        .value_kind:     by_value
      - .offset:         65
        .size:           1
        .value_kind:     by_value
    .group_segment_fixed_size: 2816
    .kernarg_segment_align: 8
    .kernarg_segment_size: 68
    .language:       OpenCL C
    .language_version:
      - 2
      - 0
    .max_flat_workgroup_size: 64
    .name:           _ZN7rocprim6detail20lookback_scan_kernelILNS0_25lookback_scan_determinismE0ELb1ENS0_19wrapped_scan_configINS_14default_configE12hip_bfloat16EEPS5_S7_N6hipcub3MaxES5_S5_NS0_19lookback_scan_stateIS5_Lb0ELb1EEEEEvT2_T3_mT5_T4_T7_jPT6_SI_bb
    .private_segment_fixed_size: 0
    .sgpr_count:     23
    .sgpr_spill_count: 0
    .symbol:         _ZN7rocprim6detail20lookback_scan_kernelILNS0_25lookback_scan_determinismE0ELb1ENS0_19wrapped_scan_configINS_14default_configE12hip_bfloat16EEPS5_S7_N6hipcub3MaxES5_S5_NS0_19lookback_scan_stateIS5_Lb0ELb1EEEEEvT2_T3_mT5_T4_T7_jPT6_SI_bb.kd
    .uniform_work_group_size: 1
    .uses_dynamic_stack: false
    .vgpr_count:     76
    .vgpr_spill_count: 0
    .wavefront_size: 32
    .workgroup_processor_mode: 1
  - .args:
      - .address_space:  global
        .offset:         0
        .size:           8
        .value_kind:     global_buffer
      - .offset:         8
        .size:           8
        .value_kind:     by_value
      - .offset:         16
        .size:           2
        .value_kind:     by_value
      - .address_space:  global
        .offset:         24
        .size:           8
        .value_kind:     global_buffer
      - .offset:         32
        .size:           1
        .value_kind:     by_value
    .group_segment_fixed_size: 2816
    .kernarg_segment_align: 8
    .kernarg_segment_size: 36
    .language:       OpenCL C
    .language_version:
      - 2
      - 0
    .max_flat_workgroup_size: 64
    .name:           _ZN7rocprim6detail18single_scan_kernelILb1ENS0_19wrapped_scan_configINS_14default_configE12hip_bfloat16EEPS4_S6_N6hipcub3MaxES4_S4_EEvT1_mT4_T2_T3_
    .private_segment_fixed_size: 0
    .sgpr_count:     29
    .sgpr_spill_count: 0
    .symbol:         _ZN7rocprim6detail18single_scan_kernelILb1ENS0_19wrapped_scan_configINS_14default_configE12hip_bfloat16EEPS4_S6_N6hipcub3MaxES4_S4_EEvT1_mT4_T2_T3_.kd
    .uniform_work_group_size: 1
    .uses_dynamic_stack: false
    .vgpr_count:     59
    .vgpr_spill_count: 0
    .wavefront_size: 32
    .workgroup_processor_mode: 1
  - .args:
      - .offset:         0
        .size:           16
        .value_kind:     by_value
      - .address_space:  global
        .offset:         16
        .size:           8
        .value_kind:     global_buffer
      - .offset:         24
        .size:           8
        .value_kind:     by_value
      - .offset:         32
        .size:           4
        .value_kind:     by_value
      - .offset:         36
        .size:           1
        .value_kind:     by_value
      - .address_space:  global
        .offset:         40
        .size:           8
        .value_kind:     global_buffer
      - .offset:         48
        .size:           4
        .value_kind:     by_value
      - .address_space:  global
        .offset:         56
        .size:           8
        .value_kind:     global_buffer
      - .address_space:  global
        .offset:         64
        .size:           8
        .value_kind:     global_buffer
      - .offset:         72
        .size:           1
        .value_kind:     by_value
      - .offset:         73
        .size:           1
        .value_kind:     by_value
    .group_segment_fixed_size: 0
    .kernarg_segment_align: 8
    .kernarg_segment_size: 76
    .language:       OpenCL C
    .language_version:
      - 2
      - 0
    .max_flat_workgroup_size: 64
    .name:           _ZN7rocprim6detail20lookback_scan_kernelILNS0_25lookback_scan_determinismE0ELb1ENS0_19wrapped_scan_configINS_14default_configEiEEN6hipcub22TransformInputIteratorIiNS6_6CastOpIiEEPilEEPdNS6_3SumEiiNS0_19lookback_scan_stateIiLb1ELb1EEEEEvT2_T3_mT5_T4_T7_jPT6_SM_bb
    .private_segment_fixed_size: 0
    .sgpr_count:     0
    .sgpr_spill_count: 0
    .symbol:         _ZN7rocprim6detail20lookback_scan_kernelILNS0_25lookback_scan_determinismE0ELb1ENS0_19wrapped_scan_configINS_14default_configEiEEN6hipcub22TransformInputIteratorIiNS6_6CastOpIiEEPilEEPdNS6_3SumEiiNS0_19lookback_scan_stateIiLb1ELb1EEEEEvT2_T3_mT5_T4_T7_jPT6_SM_bb.kd
    .uniform_work_group_size: 1
    .uses_dynamic_stack: false
    .vgpr_count:     0
    .vgpr_spill_count: 0
    .wavefront_size: 32
    .workgroup_processor_mode: 1
  - .args:
      - .offset:         0
        .size:           16
        .value_kind:     by_value
      - .address_space:  global
        .offset:         16
        .size:           8
        .value_kind:     global_buffer
      - .offset:         24
        .size:           8
        .value_kind:     by_value
      - .offset:         32
        .size:           4
        .value_kind:     by_value
      - .offset:         36
        .size:           1
        .value_kind:     by_value
      - .address_space:  global
        .offset:         40
        .size:           8
        .value_kind:     global_buffer
      - .offset:         48
        .size:           4
        .value_kind:     by_value
      - .address_space:  global
        .offset:         56
        .size:           8
        .value_kind:     global_buffer
      - .address_space:  global
        .offset:         64
        .size:           8
        .value_kind:     global_buffer
      - .offset:         72
        .size:           1
        .value_kind:     by_value
      - .offset:         73
        .size:           1
        .value_kind:     by_value
    .group_segment_fixed_size: 4224
    .kernarg_segment_align: 8
    .kernarg_segment_size: 76
    .language:       OpenCL C
    .language_version:
      - 2
      - 0
    .max_flat_workgroup_size: 64
    .name:           _ZN7rocprim6detail20lookback_scan_kernelILNS0_25lookback_scan_determinismE0ELb1ENS0_19wrapped_scan_configINS_14default_configEiEEN6hipcub22TransformInputIteratorIiNS6_6CastOpIiEEPilEEPdNS6_3SumEiiNS0_19lookback_scan_stateIiLb0ELb1EEEEEvT2_T3_mT5_T4_T7_jPT6_SM_bb
    .private_segment_fixed_size: 0
    .sgpr_count:     39
    .sgpr_spill_count: 0
    .symbol:         _ZN7rocprim6detail20lookback_scan_kernelILNS0_25lookback_scan_determinismE0ELb1ENS0_19wrapped_scan_configINS_14default_configEiEEN6hipcub22TransformInputIteratorIiNS6_6CastOpIiEEPilEEPdNS6_3SumEiiNS0_19lookback_scan_stateIiLb0ELb1EEEEEvT2_T3_mT5_T4_T7_jPT6_SM_bb.kd
    .uniform_work_group_size: 1
    .uses_dynamic_stack: false
    .vgpr_count:     70
    .vgpr_spill_count: 0
    .wavefront_size: 32
    .workgroup_processor_mode: 1
  - .args:
      - .offset:         0
        .size:           16
        .value_kind:     by_value
      - .offset:         16
        .size:           8
        .value_kind:     by_value
      - .offset:         24
        .size:           4
        .value_kind:     by_value
      - .address_space:  global
        .offset:         32
        .size:           8
        .value_kind:     global_buffer
      - .offset:         40
        .size:           1
        .value_kind:     by_value
    .group_segment_fixed_size: 4224
    .kernarg_segment_align: 8
    .kernarg_segment_size: 44
    .language:       OpenCL C
    .language_version:
      - 2
      - 0
    .max_flat_workgroup_size: 64
    .name:           _ZN7rocprim6detail18single_scan_kernelILb1ENS0_19wrapped_scan_configINS_14default_configEiEEN6hipcub22TransformInputIteratorIiNS5_6CastOpIiEEPilEEPdNS5_3SumEiiEEvT1_mT4_T2_T3_
    .private_segment_fixed_size: 0
    .sgpr_count:     23
    .sgpr_spill_count: 0
    .symbol:         _ZN7rocprim6detail18single_scan_kernelILb1ENS0_19wrapped_scan_configINS_14default_configEiEEN6hipcub22TransformInputIteratorIiNS5_6CastOpIiEEPilEEPdNS5_3SumEiiEEvT1_mT4_T2_T3_.kd
    .uniform_work_group_size: 1
    .uses_dynamic_stack: false
    .vgpr_count:     42
    .vgpr_spill_count: 0
    .wavefront_size: 32
    .workgroup_processor_mode: 1
  - .args:
      - .offset:         0
        .size:           16
        .value_kind:     by_value
      - .address_space:  global
        .offset:         16
        .size:           8
        .value_kind:     global_buffer
      - .offset:         24
        .size:           8
        .value_kind:     by_value
      - .offset:         32
        .size:           2
        .value_kind:     by_value
      - .offset:         34
        .size:           1
        .value_kind:     by_value
      - .address_space:  global
        .offset:         40
        .size:           8
        .value_kind:     global_buffer
      - .offset:         48
        .size:           4
        .value_kind:     by_value
      - .address_space:  global
        .offset:         56
        .size:           8
        .value_kind:     global_buffer
      - .address_space:  global
        .offset:         64
        .size:           8
        .value_kind:     global_buffer
      - .offset:         72
        .size:           1
        .value_kind:     by_value
      - .offset:         73
        .size:           1
        .value_kind:     by_value
    .group_segment_fixed_size: 0
    .kernarg_segment_align: 8
    .kernarg_segment_size: 76
    .language:       OpenCL C
    .language_version:
      - 2
      - 0
    .max_flat_workgroup_size: 64
    .name:           _ZN7rocprim6detail20lookback_scan_kernelILNS0_25lookback_scan_determinismE0ELb1ENS0_19wrapped_scan_configINS_14default_configEsEEN6hipcub22TransformInputIteratorIsNS6_6CastOpIsEEPslEEPfNS6_3MaxEssNS0_19lookback_scan_stateIsLb1ELb1EEEEEvT2_T3_mT5_T4_T7_jPT6_SM_bb
    .private_segment_fixed_size: 0
    .sgpr_count:     0
    .sgpr_spill_count: 0
    .symbol:         _ZN7rocprim6detail20lookback_scan_kernelILNS0_25lookback_scan_determinismE0ELb1ENS0_19wrapped_scan_configINS_14default_configEsEEN6hipcub22TransformInputIteratorIsNS6_6CastOpIsEEPslEEPfNS6_3MaxEssNS0_19lookback_scan_stateIsLb1ELb1EEEEEvT2_T3_mT5_T4_T7_jPT6_SM_bb.kd
    .uniform_work_group_size: 1
    .uses_dynamic_stack: false
    .vgpr_count:     0
    .vgpr_spill_count: 0
    .wavefront_size: 32
    .workgroup_processor_mode: 1
  - .args:
      - .offset:         0
        .size:           16
        .value_kind:     by_value
      - .address_space:  global
        .offset:         16
        .size:           8
        .value_kind:     global_buffer
      - .offset:         24
        .size:           8
        .value_kind:     by_value
      - .offset:         32
        .size:           2
        .value_kind:     by_value
      - .offset:         34
        .size:           1
        .value_kind:     by_value
      - .address_space:  global
        .offset:         40
        .size:           8
        .value_kind:     global_buffer
      - .offset:         48
        .size:           4
        .value_kind:     by_value
      - .address_space:  global
        .offset:         56
        .size:           8
        .value_kind:     global_buffer
      - .address_space:  global
        .offset:         64
        .size:           8
        .value_kind:     global_buffer
      - .offset:         72
        .size:           1
        .value_kind:     by_value
      - .offset:         73
        .size:           1
        .value_kind:     by_value
    .group_segment_fixed_size: 2816
    .kernarg_segment_align: 8
    .kernarg_segment_size: 76
    .language:       OpenCL C
    .language_version:
      - 2
      - 0
    .max_flat_workgroup_size: 64
    .name:           _ZN7rocprim6detail20lookback_scan_kernelILNS0_25lookback_scan_determinismE0ELb1ENS0_19wrapped_scan_configINS_14default_configEsEEN6hipcub22TransformInputIteratorIsNS6_6CastOpIsEEPslEEPfNS6_3MaxEssNS0_19lookback_scan_stateIsLb0ELb1EEEEEvT2_T3_mT5_T4_T7_jPT6_SM_bb
    .private_segment_fixed_size: 0
    .sgpr_count:     24
    .sgpr_spill_count: 0
    .symbol:         _ZN7rocprim6detail20lookback_scan_kernelILNS0_25lookback_scan_determinismE0ELb1ENS0_19wrapped_scan_configINS_14default_configEsEEN6hipcub22TransformInputIteratorIsNS6_6CastOpIsEEPslEEPfNS6_3MaxEssNS0_19lookback_scan_stateIsLb0ELb1EEEEEvT2_T3_mT5_T4_T7_jPT6_SM_bb.kd
    .uniform_work_group_size: 1
    .uses_dynamic_stack: false
    .vgpr_count:     50
    .vgpr_spill_count: 0
    .wavefront_size: 32
    .workgroup_processor_mode: 1
  - .args:
      - .offset:         0
        .size:           16
        .value_kind:     by_value
      - .offset:         16
        .size:           8
        .value_kind:     by_value
      - .offset:         24
        .size:           2
        .value_kind:     by_value
      - .address_space:  global
        .offset:         32
        .size:           8
        .value_kind:     global_buffer
      - .offset:         40
        .size:           1
        .value_kind:     by_value
    .group_segment_fixed_size: 2816
    .kernarg_segment_align: 8
    .kernarg_segment_size: 44
    .language:       OpenCL C
    .language_version:
      - 2
      - 0
    .max_flat_workgroup_size: 64
    .name:           _ZN7rocprim6detail18single_scan_kernelILb1ENS0_19wrapped_scan_configINS_14default_configEsEEN6hipcub22TransformInputIteratorIsNS5_6CastOpIsEEPslEEPfNS5_3MaxEssEEvT1_mT4_T2_T3_
    .private_segment_fixed_size: 0
    .sgpr_count:     28
    .sgpr_spill_count: 0
    .symbol:         _ZN7rocprim6detail18single_scan_kernelILb1ENS0_19wrapped_scan_configINS_14default_configEsEEN6hipcub22TransformInputIteratorIsNS5_6CastOpIsEEPslEEPfNS5_3MaxEssEEvT1_mT4_T2_T3_.kd
    .uniform_work_group_size: 1
    .uses_dynamic_stack: false
    .vgpr_count:     33
    .vgpr_spill_count: 0
    .wavefront_size: 32
    .workgroup_processor_mode: 1
  - .args:
      - .address_space:  global
        .offset:         0
        .size:           8
        .value_kind:     global_buffer
      - .address_space:  global
        .offset:         8
        .size:           8
        .value_kind:     global_buffer
      - .offset:         16
        .size:           8
        .value_kind:     by_value
      - .offset:         24
        .size:           8
        .value_kind:     by_value
      - .offset:         32
        .size:           1
        .value_kind:     by_value
      - .address_space:  global
        .offset:         40
        .size:           8
        .value_kind:     global_buffer
      - .offset:         48
        .size:           4
        .value_kind:     by_value
      - .address_space:  global
        .offset:         56
        .size:           8
        .value_kind:     global_buffer
      - .address_space:  global
        .offset:         64
        .size:           8
        .value_kind:     global_buffer
      - .offset:         72
        .size:           1
        .value_kind:     by_value
      - .offset:         73
        .size:           1
        .value_kind:     by_value
    .group_segment_fixed_size: 0
    .kernarg_segment_align: 8
    .kernarg_segment_size: 76
    .language:       OpenCL C
    .language_version:
      - 2
      - 0
    .max_flat_workgroup_size: 256
    .name:           _ZN7rocprim6detail20lookback_scan_kernelILNS0_25lookback_scan_determinismE0ELb1ENS0_19wrapped_scan_configINS_14default_configEmEEPmS6_N6hipcub3SumEmmNS0_19lookback_scan_stateImLb1ELb1EEEEEvT2_T3_mT5_T4_T7_jPT6_SH_bb
    .private_segment_fixed_size: 0
    .sgpr_count:     0
    .sgpr_spill_count: 0
    .symbol:         _ZN7rocprim6detail20lookback_scan_kernelILNS0_25lookback_scan_determinismE0ELb1ENS0_19wrapped_scan_configINS_14default_configEmEEPmS6_N6hipcub3SumEmmNS0_19lookback_scan_stateImLb1ELb1EEEEEvT2_T3_mT5_T4_T7_jPT6_SH_bb.kd
    .uniform_work_group_size: 1
    .uses_dynamic_stack: false
    .vgpr_count:     0
    .vgpr_spill_count: 0
    .wavefront_size: 32
    .workgroup_processor_mode: 1
  - .args:
      - .address_space:  global
        .offset:         0
        .size:           8
        .value_kind:     global_buffer
      - .address_space:  global
        .offset:         8
        .size:           8
        .value_kind:     global_buffer
      - .offset:         16
        .size:           8
        .value_kind:     by_value
      - .offset:         24
        .size:           8
        .value_kind:     by_value
      - .offset:         32
        .size:           1
        .value_kind:     by_value
      - .address_space:  global
        .offset:         40
        .size:           8
        .value_kind:     global_buffer
      - .offset:         48
        .size:           4
        .value_kind:     by_value
      - .address_space:  global
        .offset:         56
        .size:           8
        .value_kind:     global_buffer
      - .address_space:  global
        .offset:         64
        .size:           8
        .value_kind:     global_buffer
      - .offset:         72
        .size:           1
        .value_kind:     by_value
      - .offset:         73
        .size:           1
        .value_kind:     by_value
    .group_segment_fixed_size: 33792
    .kernarg_segment_align: 8
    .kernarg_segment_size: 76
    .language:       OpenCL C
    .language_version:
      - 2
      - 0
    .max_flat_workgroup_size: 256
    .name:           _ZN7rocprim6detail20lookback_scan_kernelILNS0_25lookback_scan_determinismE0ELb1ENS0_19wrapped_scan_configINS_14default_configEmEEPmS6_N6hipcub3SumEmmNS0_19lookback_scan_stateImLb0ELb1EEEEEvT2_T3_mT5_T4_T7_jPT6_SH_bb
    .private_segment_fixed_size: 0
    .sgpr_count:     70
    .sgpr_spill_count: 0
    .symbol:         _ZN7rocprim6detail20lookback_scan_kernelILNS0_25lookback_scan_determinismE0ELb1ENS0_19wrapped_scan_configINS_14default_configEmEEPmS6_N6hipcub3SumEmmNS0_19lookback_scan_stateImLb0ELb1EEEEEvT2_T3_mT5_T4_T7_jPT6_SH_bb.kd
    .uniform_work_group_size: 1
    .uses_dynamic_stack: false
    .vgpr_count:     96
    .vgpr_spill_count: 0
    .wavefront_size: 32
    .workgroup_processor_mode: 1
  - .args:
      - .address_space:  global
        .offset:         0
        .size:           8
        .value_kind:     global_buffer
      - .offset:         8
        .size:           8
        .value_kind:     by_value
      - .offset:         16
        .size:           8
        .value_kind:     by_value
      - .address_space:  global
        .offset:         24
        .size:           8
        .value_kind:     global_buffer
      - .offset:         32
        .size:           1
        .value_kind:     by_value
    .group_segment_fixed_size: 33792
    .kernarg_segment_align: 8
    .kernarg_segment_size: 36
    .language:       OpenCL C
    .language_version:
      - 2
      - 0
    .max_flat_workgroup_size: 256
    .name:           _ZN7rocprim6detail18single_scan_kernelILb1ENS0_19wrapped_scan_configINS_14default_configEmEEPmS5_N6hipcub3SumEmmEEvT1_mT4_T2_T3_
    .private_segment_fixed_size: 0
    .sgpr_count:     46
    .sgpr_spill_count: 0
    .symbol:         _ZN7rocprim6detail18single_scan_kernelILb1ENS0_19wrapped_scan_configINS_14default_configEmEEPmS5_N6hipcub3SumEmmEEvT1_mT4_T2_T3_.kd
    .uniform_work_group_size: 1
    .uses_dynamic_stack: false
    .vgpr_count:     77
    .vgpr_spill_count: 0
    .wavefront_size: 32
    .workgroup_processor_mode: 1
  - .args:
      - .address_space:  global
        .offset:         0
        .size:           8
        .value_kind:     global_buffer
      - .address_space:  global
        .offset:         8
        .size:           8
        .value_kind:     global_buffer
      - .offset:         16
        .size:           8
        .value_kind:     by_value
      - .offset:         24
        .size:           8
        .value_kind:     by_value
      - .offset:         32
        .size:           1
        .value_kind:     by_value
      - .address_space:  global
        .offset:         40
        .size:           8
        .value_kind:     global_buffer
      - .offset:         48
        .size:           4
        .value_kind:     by_value
      - .address_space:  global
        .offset:         56
        .size:           8
        .value_kind:     global_buffer
      - .address_space:  global
        .offset:         64
        .size:           8
        .value_kind:     global_buffer
      - .offset:         72
        .size:           1
        .value_kind:     by_value
      - .offset:         73
        .size:           1
        .value_kind:     by_value
    .group_segment_fixed_size: 0
    .kernarg_segment_align: 8
    .kernarg_segment_size: 76
    .language:       OpenCL C
    .language_version:
      - 2
      - 0
    .max_flat_workgroup_size: 256
    .name:           _ZN7rocprim6detail20lookback_scan_kernelILNS0_25lookback_scan_determinismE0ELb1ENS0_19wrapped_scan_configINS_14default_configEyEEPyS6_N6hipcub3MinEyyNS0_19lookback_scan_stateIyLb1ELb1EEEEEvT2_T3_mT5_T4_T7_jPT6_SH_bb
    .private_segment_fixed_size: 0
    .sgpr_count:     0
    .sgpr_spill_count: 0
    .symbol:         _ZN7rocprim6detail20lookback_scan_kernelILNS0_25lookback_scan_determinismE0ELb1ENS0_19wrapped_scan_configINS_14default_configEyEEPyS6_N6hipcub3MinEyyNS0_19lookback_scan_stateIyLb1ELb1EEEEEvT2_T3_mT5_T4_T7_jPT6_SH_bb.kd
    .uniform_work_group_size: 1
    .uses_dynamic_stack: false
    .vgpr_count:     0
    .vgpr_spill_count: 0
    .wavefront_size: 32
    .workgroup_processor_mode: 1
  - .args:
      - .address_space:  global
        .offset:         0
        .size:           8
        .value_kind:     global_buffer
      - .address_space:  global
        .offset:         8
        .size:           8
        .value_kind:     global_buffer
      - .offset:         16
        .size:           8
        .value_kind:     by_value
      - .offset:         24
        .size:           8
        .value_kind:     by_value
      - .offset:         32
        .size:           1
        .value_kind:     by_value
      - .address_space:  global
        .offset:         40
        .size:           8
        .value_kind:     global_buffer
      - .offset:         48
        .size:           4
        .value_kind:     by_value
      - .address_space:  global
        .offset:         56
        .size:           8
        .value_kind:     global_buffer
      - .address_space:  global
        .offset:         64
        .size:           8
        .value_kind:     global_buffer
      - .offset:         72
        .size:           1
        .value_kind:     by_value
      - .offset:         73
        .size:           1
        .value_kind:     by_value
    .group_segment_fixed_size: 33792
    .kernarg_segment_align: 8
    .kernarg_segment_size: 76
    .language:       OpenCL C
    .language_version:
      - 2
      - 0
    .max_flat_workgroup_size: 256
    .name:           _ZN7rocprim6detail20lookback_scan_kernelILNS0_25lookback_scan_determinismE0ELb1ENS0_19wrapped_scan_configINS_14default_configEyEEPyS6_N6hipcub3MinEyyNS0_19lookback_scan_stateIyLb0ELb1EEEEEvT2_T3_mT5_T4_T7_jPT6_SH_bb
    .private_segment_fixed_size: 0
    .sgpr_count:     70
    .sgpr_spill_count: 0
    .symbol:         _ZN7rocprim6detail20lookback_scan_kernelILNS0_25lookback_scan_determinismE0ELb1ENS0_19wrapped_scan_configINS_14default_configEyEEPyS6_N6hipcub3MinEyyNS0_19lookback_scan_stateIyLb0ELb1EEEEEvT2_T3_mT5_T4_T7_jPT6_SH_bb.kd
    .uniform_work_group_size: 1
    .uses_dynamic_stack: false
    .vgpr_count:     96
    .vgpr_spill_count: 0
    .wavefront_size: 32
    .workgroup_processor_mode: 1
  - .args:
      - .address_space:  global
        .offset:         0
        .size:           8
        .value_kind:     global_buffer
      - .offset:         8
        .size:           8
        .value_kind:     by_value
      - .offset:         16
        .size:           8
        .value_kind:     by_value
      - .address_space:  global
        .offset:         24
        .size:           8
        .value_kind:     global_buffer
      - .offset:         32
        .size:           1
        .value_kind:     by_value
    .group_segment_fixed_size: 33792
    .kernarg_segment_align: 8
    .kernarg_segment_size: 36
    .language:       OpenCL C
    .language_version:
      - 2
      - 0
    .max_flat_workgroup_size: 256
    .name:           _ZN7rocprim6detail18single_scan_kernelILb1ENS0_19wrapped_scan_configINS_14default_configEyEEPyS5_N6hipcub3MinEyyEEvT1_mT4_T2_T3_
    .private_segment_fixed_size: 0
    .sgpr_count:     46
    .sgpr_spill_count: 0
    .symbol:         _ZN7rocprim6detail18single_scan_kernelILb1ENS0_19wrapped_scan_configINS_14default_configEyEEPyS5_N6hipcub3MinEyyEEvT1_mT4_T2_T3_.kd
    .uniform_work_group_size: 1
    .uses_dynamic_stack: false
    .vgpr_count:     74
    .vgpr_spill_count: 0
    .wavefront_size: 32
    .workgroup_processor_mode: 1
  - .args:
      - .address_space:  global
        .offset:         0
        .size:           8
        .value_kind:     global_buffer
      - .offset:         8
        .size:           16
        .value_kind:     by_value
      - .address_space:  global
        .offset:         24
        .size:           8
        .value_kind:     global_buffer
      - .offset:         32
        .size:           4
        .value_kind:     by_value
      - .offset:         36
        .size:           1
        .value_kind:     by_value
      - .offset:         37
        .size:           1
        .value_kind:     by_value
      - .address_space:  global
        .offset:         40
        .size:           8
        .value_kind:     global_buffer
      - .offset:         48
        .size:           8
        .value_kind:     by_value
      - .offset:         56
        .size:           8
        .value_kind:     by_value
      - .offset:         64
        .size:           8
        .value_kind:     by_value
      - .address_space:  global
        .offset:         72
        .size:           8
        .value_kind:     global_buffer
    .group_segment_fixed_size: 0
    .kernarg_segment_align: 8
    .kernarg_segment_size: 80
    .language:       OpenCL C
    .language_version:
      - 2
      - 0
    .max_flat_workgroup_size: 256
    .name:           _ZN7rocprim6detail25device_scan_by_key_kernelILNS0_25lookback_scan_determinismE0ELb1ENS0_26wrapped_scan_by_key_configINS_14default_configEiiEEPiN6hipcub22TransformInputIteratorIiNS7_6CastOpIiEES6_lEEPliNS7_8EqualityENS7_3SumENS0_19lookback_scan_stateINS_5tupleIJibEEELb1ELb1EEEiEEvT2_T3_T4_T5_T6_T7_T8_mmmPKNSG_IJT9_bEEE
    .private_segment_fixed_size: 0
    .sgpr_count:     0
    .sgpr_spill_count: 0
    .symbol:         _ZN7rocprim6detail25device_scan_by_key_kernelILNS0_25lookback_scan_determinismE0ELb1ENS0_26wrapped_scan_by_key_configINS_14default_configEiiEEPiN6hipcub22TransformInputIteratorIiNS7_6CastOpIiEES6_lEEPliNS7_8EqualityENS7_3SumENS0_19lookback_scan_stateINS_5tupleIJibEEELb1ELb1EEEiEEvT2_T3_T4_T5_T6_T7_T8_mmmPKNSG_IJT9_bEEE.kd
    .uniform_work_group_size: 1
    .uses_dynamic_stack: false
    .vgpr_count:     0
    .vgpr_spill_count: 0
    .wavefront_size: 32
    .workgroup_processor_mode: 1
  - .args:
      - .address_space:  global
        .offset:         0
        .size:           8
        .value_kind:     global_buffer
      - .offset:         8
        .size:           16
        .value_kind:     by_value
      - .address_space:  global
        .offset:         24
        .size:           8
        .value_kind:     global_buffer
      - .offset:         32
        .size:           4
        .value_kind:     by_value
      - .offset:         36
        .size:           1
        .value_kind:     by_value
      - .offset:         37
        .size:           1
        .value_kind:     by_value
      - .address_space:  global
        .offset:         40
        .size:           8
        .value_kind:     global_buffer
      - .offset:         48
        .size:           8
        .value_kind:     by_value
      - .offset:         56
        .size:           8
        .value_kind:     by_value
      - .offset:         64
        .size:           8
        .value_kind:     by_value
      - .address_space:  global
        .offset:         72
        .size:           8
        .value_kind:     global_buffer
    .group_segment_fixed_size: 11264
    .kernarg_segment_align: 8
    .kernarg_segment_size: 80
    .language:       OpenCL C
    .language_version:
      - 2
      - 0
    .max_flat_workgroup_size: 256
    .name:           _ZN7rocprim6detail25device_scan_by_key_kernelILNS0_25lookback_scan_determinismE0ELb1ENS0_26wrapped_scan_by_key_configINS_14default_configEiiEEPiN6hipcub22TransformInputIteratorIiNS7_6CastOpIiEES6_lEEPliNS7_8EqualityENS7_3SumENS0_19lookback_scan_stateINS_5tupleIJibEEELb0ELb1EEEiEEvT2_T3_T4_T5_T6_T7_T8_mmmPKNSG_IJT9_bEEE
    .private_segment_fixed_size: 0
    .sgpr_count:     39
    .sgpr_spill_count: 0
    .symbol:         _ZN7rocprim6detail25device_scan_by_key_kernelILNS0_25lookback_scan_determinismE0ELb1ENS0_26wrapped_scan_by_key_configINS_14default_configEiiEEPiN6hipcub22TransformInputIteratorIiNS7_6CastOpIiEES6_lEEPliNS7_8EqualityENS7_3SumENS0_19lookback_scan_stateINS_5tupleIJibEEELb0ELb1EEEiEEvT2_T3_T4_T5_T6_T7_T8_mmmPKNSG_IJT9_bEEE.kd
    .uniform_work_group_size: 1
    .uses_dynamic_stack: false
    .vgpr_count:     48
    .vgpr_spill_count: 0
    .wavefront_size: 32
    .workgroup_processor_mode: 1
  - .args:
      - .address_space:  global
        .offset:         0
        .size:           8
        .value_kind:     global_buffer
      - .offset:         8
        .size:           16
        .value_kind:     by_value
      - .address_space:  global
        .offset:         24
        .size:           8
        .value_kind:     global_buffer
      - .offset:         32
        .size:           2
        .value_kind:     by_value
      - .offset:         34
        .size:           1
        .value_kind:     by_value
      - .offset:         35
        .size:           1
        .value_kind:     by_value
      - .address_space:  global
        .offset:         40
        .size:           8
        .value_kind:     global_buffer
      - .offset:         48
        .size:           8
        .value_kind:     by_value
      - .offset:         56
        .size:           8
        .value_kind:     by_value
      - .offset:         64
        .size:           8
        .value_kind:     by_value
      - .address_space:  global
        .offset:         72
        .size:           8
        .value_kind:     global_buffer
    .group_segment_fixed_size: 0
    .kernarg_segment_align: 8
    .kernarg_segment_size: 80
    .language:       OpenCL C
    .language_version:
      - 2
      - 0
    .max_flat_workgroup_size: 64
    .name:           _ZN7rocprim6detail25device_scan_by_key_kernelILNS0_25lookback_scan_determinismE0ELb1ENS0_26wrapped_scan_by_key_configINS_14default_configEi6__halfEEPiN6hipcub22TransformInputIteratorIS5_NS8_6CastOpIS5_EEPS5_lEESC_S5_NS8_8EqualityENS8_3SumENS0_19lookback_scan_stateINS_5tupleIJS5_bEEELb1ELb1EEES5_EEvT2_T3_T4_T5_T6_T7_T8_mmmPKNSH_IJT9_bEEE
    .private_segment_fixed_size: 0
    .sgpr_count:     0
    .sgpr_spill_count: 0
    .symbol:         _ZN7rocprim6detail25device_scan_by_key_kernelILNS0_25lookback_scan_determinismE0ELb1ENS0_26wrapped_scan_by_key_configINS_14default_configEi6__halfEEPiN6hipcub22TransformInputIteratorIS5_NS8_6CastOpIS5_EEPS5_lEESC_S5_NS8_8EqualityENS8_3SumENS0_19lookback_scan_stateINS_5tupleIJS5_bEEELb1ELb1EEES5_EEvT2_T3_T4_T5_T6_T7_T8_mmmPKNSH_IJT9_bEEE.kd
    .uniform_work_group_size: 1
    .uses_dynamic_stack: false
    .vgpr_count:     0
    .vgpr_spill_count: 0
    .wavefront_size: 32
    .workgroup_processor_mode: 1
  - .args:
      - .address_space:  global
        .offset:         0
        .size:           8
        .value_kind:     global_buffer
      - .offset:         8
        .size:           16
        .value_kind:     by_value
      - .address_space:  global
        .offset:         24
        .size:           8
        .value_kind:     global_buffer
      - .offset:         32
        .size:           2
        .value_kind:     by_value
      - .offset:         34
        .size:           1
        .value_kind:     by_value
      - .offset:         35
        .size:           1
        .value_kind:     by_value
      - .address_space:  global
        .offset:         40
        .size:           8
        .value_kind:     global_buffer
      - .offset:         48
        .size:           8
        .value_kind:     by_value
      - .offset:         56
        .size:           8
        .value_kind:     by_value
      - .offset:         64
        .size:           8
        .value_kind:     by_value
      - .address_space:  global
        .offset:         72
        .size:           8
        .value_kind:     global_buffer
    .group_segment_fixed_size: 6144
    .kernarg_segment_align: 8
    .kernarg_segment_size: 80
    .language:       OpenCL C
    .language_version:
      - 2
      - 0
    .max_flat_workgroup_size: 64
    .name:           _ZN7rocprim6detail25device_scan_by_key_kernelILNS0_25lookback_scan_determinismE0ELb1ENS0_26wrapped_scan_by_key_configINS_14default_configEi6__halfEEPiN6hipcub22TransformInputIteratorIS5_NS8_6CastOpIS5_EEPS5_lEESC_S5_NS8_8EqualityENS8_3SumENS0_19lookback_scan_stateINS_5tupleIJS5_bEEELb0ELb1EEES5_EEvT2_T3_T4_T5_T6_T7_T8_mmmPKNSH_IJT9_bEEE
    .private_segment_fixed_size: 0
    .sgpr_count:     47
    .sgpr_spill_count: 0
    .symbol:         _ZN7rocprim6detail25device_scan_by_key_kernelILNS0_25lookback_scan_determinismE0ELb1ENS0_26wrapped_scan_by_key_configINS_14default_configEi6__halfEEPiN6hipcub22TransformInputIteratorIS5_NS8_6CastOpIS5_EEPS5_lEESC_S5_NS8_8EqualityENS8_3SumENS0_19lookback_scan_stateINS_5tupleIJS5_bEEELb0ELb1EEES5_EEvT2_T3_T4_T5_T6_T7_T8_mmmPKNSH_IJT9_bEEE.kd
    .uniform_work_group_size: 1
    .uses_dynamic_stack: false
    .vgpr_count:     91
    .vgpr_spill_count: 0
    .wavefront_size: 32
    .workgroup_processor_mode: 1
  - .args:
      - .address_space:  global
        .offset:         0
        .size:           8
        .value_kind:     global_buffer
      - .offset:         8
        .size:           16
        .value_kind:     by_value
      - .address_space:  global
        .offset:         24
        .size:           8
        .value_kind:     global_buffer
      - .offset:         32
        .size:           2
        .value_kind:     by_value
      - .offset:         34
        .size:           1
        .value_kind:     by_value
      - .offset:         35
        .size:           1
        .value_kind:     by_value
      - .address_space:  global
        .offset:         40
        .size:           8
        .value_kind:     global_buffer
      - .offset:         48
        .size:           8
        .value_kind:     by_value
      - .offset:         56
        .size:           8
        .value_kind:     by_value
      - .offset:         64
        .size:           8
        .value_kind:     by_value
      - .address_space:  global
        .offset:         72
        .size:           8
        .value_kind:     global_buffer
    .group_segment_fixed_size: 0
    .kernarg_segment_align: 8
    .kernarg_segment_size: 80
    .language:       OpenCL C
    .language_version:
      - 2
      - 0
    .max_flat_workgroup_size: 64
    .name:           _ZN7rocprim6detail25device_scan_by_key_kernelILNS0_25lookback_scan_determinismE0ELb1ENS0_26wrapped_scan_by_key_configINS_14default_configEi6__halfEEPiN6hipcub22TransformInputIteratorIS5_NS8_6CastOpIS5_EEPS5_lEESC_S5_NS8_8EqualityENS8_3MaxENS0_19lookback_scan_stateINS_5tupleIJS5_bEEELb1ELb1EEES5_EEvT2_T3_T4_T5_T6_T7_T8_mmmPKNSH_IJT9_bEEE
    .private_segment_fixed_size: 0
    .sgpr_count:     0
    .sgpr_spill_count: 0
    .symbol:         _ZN7rocprim6detail25device_scan_by_key_kernelILNS0_25lookback_scan_determinismE0ELb1ENS0_26wrapped_scan_by_key_configINS_14default_configEi6__halfEEPiN6hipcub22TransformInputIteratorIS5_NS8_6CastOpIS5_EEPS5_lEESC_S5_NS8_8EqualityENS8_3MaxENS0_19lookback_scan_stateINS_5tupleIJS5_bEEELb1ELb1EEES5_EEvT2_T3_T4_T5_T6_T7_T8_mmmPKNSH_IJT9_bEEE.kd
    .uniform_work_group_size: 1
    .uses_dynamic_stack: false
    .vgpr_count:     0
    .vgpr_spill_count: 0
    .wavefront_size: 32
    .workgroup_processor_mode: 1
  - .args:
      - .address_space:  global
        .offset:         0
        .size:           8
        .value_kind:     global_buffer
      - .offset:         8
        .size:           16
        .value_kind:     by_value
      - .address_space:  global
        .offset:         24
        .size:           8
        .value_kind:     global_buffer
      - .offset:         32
        .size:           2
        .value_kind:     by_value
      - .offset:         34
        .size:           1
        .value_kind:     by_value
      - .offset:         35
        .size:           1
        .value_kind:     by_value
      - .address_space:  global
        .offset:         40
        .size:           8
        .value_kind:     global_buffer
      - .offset:         48
        .size:           8
        .value_kind:     by_value
      - .offset:         56
        .size:           8
        .value_kind:     by_value
      - .offset:         64
        .size:           8
        .value_kind:     by_value
      - .address_space:  global
        .offset:         72
        .size:           8
        .value_kind:     global_buffer
    .group_segment_fixed_size: 6144
    .kernarg_segment_align: 8
    .kernarg_segment_size: 80
    .language:       OpenCL C
    .language_version:
      - 2
      - 0
    .max_flat_workgroup_size: 64
    .name:           _ZN7rocprim6detail25device_scan_by_key_kernelILNS0_25lookback_scan_determinismE0ELb1ENS0_26wrapped_scan_by_key_configINS_14default_configEi6__halfEEPiN6hipcub22TransformInputIteratorIS5_NS8_6CastOpIS5_EEPS5_lEESC_S5_NS8_8EqualityENS8_3MaxENS0_19lookback_scan_stateINS_5tupleIJS5_bEEELb0ELb1EEES5_EEvT2_T3_T4_T5_T6_T7_T8_mmmPKNSH_IJT9_bEEE
    .private_segment_fixed_size: 0
    .sgpr_count:     47
    .sgpr_spill_count: 0
    .symbol:         _ZN7rocprim6detail25device_scan_by_key_kernelILNS0_25lookback_scan_determinismE0ELb1ENS0_26wrapped_scan_by_key_configINS_14default_configEi6__halfEEPiN6hipcub22TransformInputIteratorIS5_NS8_6CastOpIS5_EEPS5_lEESC_S5_NS8_8EqualityENS8_3MaxENS0_19lookback_scan_stateINS_5tupleIJS5_bEEELb0ELb1EEES5_EEvT2_T3_T4_T5_T6_T7_T8_mmmPKNSH_IJT9_bEEE.kd
    .uniform_work_group_size: 1
    .uses_dynamic_stack: false
    .vgpr_count:     74
    .vgpr_spill_count: 0
    .wavefront_size: 32
    .workgroup_processor_mode: 1
  - .args:
      - .address_space:  global
        .offset:         0
        .size:           8
        .value_kind:     global_buffer
      - .offset:         8
        .size:           16
        .value_kind:     by_value
      - .address_space:  global
        .offset:         24
        .size:           8
        .value_kind:     global_buffer
      - .offset:         32
        .size:           2
        .value_kind:     by_value
      - .offset:         34
        .size:           1
        .value_kind:     by_value
      - .offset:         35
        .size:           1
        .value_kind:     by_value
      - .address_space:  global
        .offset:         40
        .size:           8
        .value_kind:     global_buffer
      - .offset:         48
        .size:           8
        .value_kind:     by_value
      - .offset:         56
        .size:           8
        .value_kind:     by_value
      - .offset:         64
        .size:           8
        .value_kind:     by_value
      - .address_space:  global
        .offset:         72
        .size:           8
        .value_kind:     global_buffer
    .group_segment_fixed_size: 0
    .kernarg_segment_align: 8
    .kernarg_segment_size: 80
    .language:       OpenCL C
    .language_version:
      - 2
      - 0
    .max_flat_workgroup_size: 64
    .name:           _ZN7rocprim6detail25device_scan_by_key_kernelILNS0_25lookback_scan_determinismE0ELb1ENS0_26wrapped_scan_by_key_configINS_14default_configEi12hip_bfloat16EEPiN6hipcub22TransformInputIteratorIS5_NS8_6CastOpIS5_EEPS5_lEESC_S5_NS8_8EqualityENS8_3SumENS0_19lookback_scan_stateINS_5tupleIJS5_bEEELb1ELb1EEES5_EEvT2_T3_T4_T5_T6_T7_T8_mmmPKNSH_IJT9_bEEE
    .private_segment_fixed_size: 0
    .sgpr_count:     0
    .sgpr_spill_count: 0
    .symbol:         _ZN7rocprim6detail25device_scan_by_key_kernelILNS0_25lookback_scan_determinismE0ELb1ENS0_26wrapped_scan_by_key_configINS_14default_configEi12hip_bfloat16EEPiN6hipcub22TransformInputIteratorIS5_NS8_6CastOpIS5_EEPS5_lEESC_S5_NS8_8EqualityENS8_3SumENS0_19lookback_scan_stateINS_5tupleIJS5_bEEELb1ELb1EEES5_EEvT2_T3_T4_T5_T6_T7_T8_mmmPKNSH_IJT9_bEEE.kd
    .uniform_work_group_size: 1
    .uses_dynamic_stack: false
    .vgpr_count:     0
    .vgpr_spill_count: 0
    .wavefront_size: 32
    .workgroup_processor_mode: 1
  - .args:
      - .address_space:  global
        .offset:         0
        .size:           8
        .value_kind:     global_buffer
      - .offset:         8
        .size:           16
        .value_kind:     by_value
      - .address_space:  global
        .offset:         24
        .size:           8
        .value_kind:     global_buffer
      - .offset:         32
        .size:           2
        .value_kind:     by_value
      - .offset:         34
        .size:           1
        .value_kind:     by_value
      - .offset:         35
        .size:           1
        .value_kind:     by_value
      - .address_space:  global
        .offset:         40
        .size:           8
        .value_kind:     global_buffer
      - .offset:         48
        .size:           8
        .value_kind:     by_value
      - .offset:         56
        .size:           8
        .value_kind:     by_value
      - .offset:         64
        .size:           8
        .value_kind:     by_value
      - .address_space:  global
        .offset:         72
        .size:           8
        .value_kind:     global_buffer
    .group_segment_fixed_size: 6144
    .kernarg_segment_align: 8
    .kernarg_segment_size: 80
    .language:       OpenCL C
    .language_version:
      - 2
      - 0
    .max_flat_workgroup_size: 64
    .name:           _ZN7rocprim6detail25device_scan_by_key_kernelILNS0_25lookback_scan_determinismE0ELb1ENS0_26wrapped_scan_by_key_configINS_14default_configEi12hip_bfloat16EEPiN6hipcub22TransformInputIteratorIS5_NS8_6CastOpIS5_EEPS5_lEESC_S5_NS8_8EqualityENS8_3SumENS0_19lookback_scan_stateINS_5tupleIJS5_bEEELb0ELb1EEES5_EEvT2_T3_T4_T5_T6_T7_T8_mmmPKNSH_IJT9_bEEE
    .private_segment_fixed_size: 0
    .sgpr_count:     47
    .sgpr_spill_count: 0
    .symbol:         _ZN7rocprim6detail25device_scan_by_key_kernelILNS0_25lookback_scan_determinismE0ELb1ENS0_26wrapped_scan_by_key_configINS_14default_configEi12hip_bfloat16EEPiN6hipcub22TransformInputIteratorIS5_NS8_6CastOpIS5_EEPS5_lEESC_S5_NS8_8EqualityENS8_3SumENS0_19lookback_scan_stateINS_5tupleIJS5_bEEELb0ELb1EEES5_EEvT2_T3_T4_T5_T6_T7_T8_mmmPKNSH_IJT9_bEEE.kd
    .uniform_work_group_size: 1
    .uses_dynamic_stack: false
    .vgpr_count:     62
    .vgpr_spill_count: 0
    .wavefront_size: 32
    .workgroup_processor_mode: 1
  - .args:
      - .address_space:  global
        .offset:         0
        .size:           8
        .value_kind:     global_buffer
      - .offset:         8
        .size:           16
        .value_kind:     by_value
      - .address_space:  global
        .offset:         24
        .size:           8
        .value_kind:     global_buffer
      - .offset:         32
        .size:           2
        .value_kind:     by_value
      - .offset:         34
        .size:           1
        .value_kind:     by_value
      - .offset:         35
        .size:           1
        .value_kind:     by_value
      - .address_space:  global
        .offset:         40
        .size:           8
        .value_kind:     global_buffer
      - .offset:         48
        .size:           8
        .value_kind:     by_value
      - .offset:         56
        .size:           8
        .value_kind:     by_value
      - .offset:         64
        .size:           8
        .value_kind:     by_value
      - .address_space:  global
        .offset:         72
        .size:           8
        .value_kind:     global_buffer
    .group_segment_fixed_size: 0
    .kernarg_segment_align: 8
    .kernarg_segment_size: 80
    .language:       OpenCL C
    .language_version:
      - 2
      - 0
    .max_flat_workgroup_size: 64
    .name:           _ZN7rocprim6detail25device_scan_by_key_kernelILNS0_25lookback_scan_determinismE0ELb1ENS0_26wrapped_scan_by_key_configINS_14default_configEi12hip_bfloat16EEPiN6hipcub22TransformInputIteratorIS5_NS8_6CastOpIS5_EEPS5_lEESC_S5_NS8_8EqualityENS8_3MaxENS0_19lookback_scan_stateINS_5tupleIJS5_bEEELb1ELb1EEES5_EEvT2_T3_T4_T5_T6_T7_T8_mmmPKNSH_IJT9_bEEE
    .private_segment_fixed_size: 0
    .sgpr_count:     0
    .sgpr_spill_count: 0
    .symbol:         _ZN7rocprim6detail25device_scan_by_key_kernelILNS0_25lookback_scan_determinismE0ELb1ENS0_26wrapped_scan_by_key_configINS_14default_configEi12hip_bfloat16EEPiN6hipcub22TransformInputIteratorIS5_NS8_6CastOpIS5_EEPS5_lEESC_S5_NS8_8EqualityENS8_3MaxENS0_19lookback_scan_stateINS_5tupleIJS5_bEEELb1ELb1EEES5_EEvT2_T3_T4_T5_T6_T7_T8_mmmPKNSH_IJT9_bEEE.kd
    .uniform_work_group_size: 1
    .uses_dynamic_stack: false
    .vgpr_count:     0
    .vgpr_spill_count: 0
    .wavefront_size: 32
    .workgroup_processor_mode: 1
  - .args:
      - .address_space:  global
        .offset:         0
        .size:           8
        .value_kind:     global_buffer
      - .offset:         8
        .size:           16
        .value_kind:     by_value
      - .address_space:  global
        .offset:         24
        .size:           8
        .value_kind:     global_buffer
      - .offset:         32
        .size:           2
        .value_kind:     by_value
      - .offset:         34
        .size:           1
        .value_kind:     by_value
      - .offset:         35
        .size:           1
        .value_kind:     by_value
      - .address_space:  global
        .offset:         40
        .size:           8
        .value_kind:     global_buffer
      - .offset:         48
        .size:           8
        .value_kind:     by_value
      - .offset:         56
        .size:           8
        .value_kind:     by_value
      - .offset:         64
        .size:           8
        .value_kind:     by_value
      - .address_space:  global
        .offset:         72
        .size:           8
        .value_kind:     global_buffer
    .group_segment_fixed_size: 6144
    .kernarg_segment_align: 8
    .kernarg_segment_size: 80
    .language:       OpenCL C
    .language_version:
      - 2
      - 0
    .max_flat_workgroup_size: 64
    .name:           _ZN7rocprim6detail25device_scan_by_key_kernelILNS0_25lookback_scan_determinismE0ELb1ENS0_26wrapped_scan_by_key_configINS_14default_configEi12hip_bfloat16EEPiN6hipcub22TransformInputIteratorIS5_NS8_6CastOpIS5_EEPS5_lEESC_S5_NS8_8EqualityENS8_3MaxENS0_19lookback_scan_stateINS_5tupleIJS5_bEEELb0ELb1EEES5_EEvT2_T3_T4_T5_T6_T7_T8_mmmPKNSH_IJT9_bEEE
    .private_segment_fixed_size: 0
    .sgpr_count:     47
    .sgpr_spill_count: 0
    .symbol:         _ZN7rocprim6detail25device_scan_by_key_kernelILNS0_25lookback_scan_determinismE0ELb1ENS0_26wrapped_scan_by_key_configINS_14default_configEi12hip_bfloat16EEPiN6hipcub22TransformInputIteratorIS5_NS8_6CastOpIS5_EEPS5_lEESC_S5_NS8_8EqualityENS8_3MaxENS0_19lookback_scan_stateINS_5tupleIJS5_bEEELb0ELb1EEES5_EEvT2_T3_T4_T5_T6_T7_T8_mmmPKNSH_IJT9_bEEE.kd
    .uniform_work_group_size: 1
    .uses_dynamic_stack: false
    .vgpr_count:     74
    .vgpr_spill_count: 0
    .wavefront_size: 32
    .workgroup_processor_mode: 1
  - .args:
      - .address_space:  global
        .offset:         0
        .size:           8
        .value_kind:     global_buffer
      - .offset:         8
        .size:           16
        .value_kind:     by_value
      - .address_space:  global
        .offset:         24
        .size:           8
        .value_kind:     global_buffer
      - .offset:         32
        .size:           4
        .value_kind:     by_value
      - .offset:         36
        .size:           1
        .value_kind:     by_value
      - .offset:         37
        .size:           1
        .value_kind:     by_value
      - .address_space:  global
        .offset:         40
        .size:           8
        .value_kind:     global_buffer
      - .offset:         48
        .size:           8
        .value_kind:     by_value
      - .offset:         56
        .size:           8
        .value_kind:     by_value
      - .offset:         64
        .size:           8
        .value_kind:     by_value
      - .address_space:  global
        .offset:         72
        .size:           8
        .value_kind:     global_buffer
    .group_segment_fixed_size: 0
    .kernarg_segment_align: 8
    .kernarg_segment_size: 80
    .language:       OpenCL C
    .language_version:
      - 2
      - 0
    .max_flat_workgroup_size: 256
    .name:           _ZN7rocprim6detail25device_scan_by_key_kernelILNS0_25lookback_scan_determinismE0ELb1ENS0_26wrapped_scan_by_key_configINS_14default_configEiiEEPiN6hipcub22TransformInputIteratorIiNS7_6CastOpIiEES6_lEEPdiNS7_8EqualityENS7_3SumENS0_19lookback_scan_stateINS_5tupleIJibEEELb1ELb1EEEiEEvT2_T3_T4_T5_T6_T7_T8_mmmPKNSG_IJT9_bEEE
    .private_segment_fixed_size: 0
    .sgpr_count:     0
    .sgpr_spill_count: 0
    .symbol:         _ZN7rocprim6detail25device_scan_by_key_kernelILNS0_25lookback_scan_determinismE0ELb1ENS0_26wrapped_scan_by_key_configINS_14default_configEiiEEPiN6hipcub22TransformInputIteratorIiNS7_6CastOpIiEES6_lEEPdiNS7_8EqualityENS7_3SumENS0_19lookback_scan_stateINS_5tupleIJibEEELb1ELb1EEEiEEvT2_T3_T4_T5_T6_T7_T8_mmmPKNSG_IJT9_bEEE.kd
    .uniform_work_group_size: 1
    .uses_dynamic_stack: false
    .vgpr_count:     0
    .vgpr_spill_count: 0
    .wavefront_size: 32
    .workgroup_processor_mode: 1
  - .args:
      - .address_space:  global
        .offset:         0
        .size:           8
        .value_kind:     global_buffer
      - .offset:         8
        .size:           16
        .value_kind:     by_value
      - .address_space:  global
        .offset:         24
        .size:           8
        .value_kind:     global_buffer
      - .offset:         32
        .size:           4
        .value_kind:     by_value
      - .offset:         36
        .size:           1
        .value_kind:     by_value
      - .offset:         37
        .size:           1
        .value_kind:     by_value
      - .address_space:  global
        .offset:         40
        .size:           8
        .value_kind:     global_buffer
      - .offset:         48
        .size:           8
        .value_kind:     by_value
      - .offset:         56
        .size:           8
        .value_kind:     by_value
      - .offset:         64
        .size:           8
        .value_kind:     by_value
      - .address_space:  global
        .offset:         72
        .size:           8
        .value_kind:     global_buffer
    .group_segment_fixed_size: 11264
    .kernarg_segment_align: 8
    .kernarg_segment_size: 80
    .language:       OpenCL C
    .language_version:
      - 2
      - 0
    .max_flat_workgroup_size: 256
    .name:           _ZN7rocprim6detail25device_scan_by_key_kernelILNS0_25lookback_scan_determinismE0ELb1ENS0_26wrapped_scan_by_key_configINS_14default_configEiiEEPiN6hipcub22TransformInputIteratorIiNS7_6CastOpIiEES6_lEEPdiNS7_8EqualityENS7_3SumENS0_19lookback_scan_stateINS_5tupleIJibEEELb0ELb1EEEiEEvT2_T3_T4_T5_T6_T7_T8_mmmPKNSG_IJT9_bEEE
    .private_segment_fixed_size: 0
    .sgpr_count:     39
    .sgpr_spill_count: 0
    .symbol:         _ZN7rocprim6detail25device_scan_by_key_kernelILNS0_25lookback_scan_determinismE0ELb1ENS0_26wrapped_scan_by_key_configINS_14default_configEiiEEPiN6hipcub22TransformInputIteratorIiNS7_6CastOpIiEES6_lEEPdiNS7_8EqualityENS7_3SumENS0_19lookback_scan_stateINS_5tupleIJibEEELb0ELb1EEEiEEvT2_T3_T4_T5_T6_T7_T8_mmmPKNSG_IJT9_bEEE.kd
    .uniform_work_group_size: 1
    .uses_dynamic_stack: false
    .vgpr_count:     48
    .vgpr_spill_count: 0
    .wavefront_size: 32
    .workgroup_processor_mode: 1
  - .args:
      - .address_space:  global
        .offset:         0
        .size:           8
        .value_kind:     global_buffer
      - .offset:         8
        .size:           16
        .value_kind:     by_value
      - .address_space:  global
        .offset:         24
        .size:           8
        .value_kind:     global_buffer
      - .offset:         32
        .size:           2
        .value_kind:     by_value
      - .offset:         34
        .size:           1
        .value_kind:     by_value
      - .offset:         35
        .size:           1
        .value_kind:     by_value
      - .address_space:  global
        .offset:         40
        .size:           8
        .value_kind:     global_buffer
      - .offset:         48
        .size:           8
        .value_kind:     by_value
      - .offset:         56
        .size:           8
        .value_kind:     by_value
      - .offset:         64
        .size:           8
        .value_kind:     by_value
      - .address_space:  global
        .offset:         72
        .size:           8
        .value_kind:     global_buffer
    .group_segment_fixed_size: 0
    .kernarg_segment_align: 8
    .kernarg_segment_size: 80
    .language:       OpenCL C
    .language_version:
      - 2
      - 0
    .max_flat_workgroup_size: 256
    .name:           _ZN7rocprim6detail25device_scan_by_key_kernelILNS0_25lookback_scan_determinismE0ELb1ENS0_26wrapped_scan_by_key_configINS_14default_configEiiEEPiN6hipcub22TransformInputIteratorIsNS7_6CastOpIsEEPslEEPfsNS7_8EqualityENS7_3SumENS0_19lookback_scan_stateINS_5tupleIJibEEELb1ELb1EEEiEEvT2_T3_T4_T5_T6_T7_T8_mmmPKNSH_IJT9_bEEE
    .private_segment_fixed_size: 0
    .sgpr_count:     0
    .sgpr_spill_count: 0
    .symbol:         _ZN7rocprim6detail25device_scan_by_key_kernelILNS0_25lookback_scan_determinismE0ELb1ENS0_26wrapped_scan_by_key_configINS_14default_configEiiEEPiN6hipcub22TransformInputIteratorIsNS7_6CastOpIsEEPslEEPfsNS7_8EqualityENS7_3SumENS0_19lookback_scan_stateINS_5tupleIJibEEELb1ELb1EEEiEEvT2_T3_T4_T5_T6_T7_T8_mmmPKNSH_IJT9_bEEE.kd
    .uniform_work_group_size: 1
    .uses_dynamic_stack: false
    .vgpr_count:     0
    .vgpr_spill_count: 0
    .wavefront_size: 32
    .workgroup_processor_mode: 1
  - .args:
      - .address_space:  global
        .offset:         0
        .size:           8
        .value_kind:     global_buffer
      - .offset:         8
        .size:           16
        .value_kind:     by_value
      - .address_space:  global
        .offset:         24
        .size:           8
        .value_kind:     global_buffer
      - .offset:         32
        .size:           2
        .value_kind:     by_value
      - .offset:         34
        .size:           1
        .value_kind:     by_value
      - .offset:         35
        .size:           1
        .value_kind:     by_value
      - .address_space:  global
        .offset:         40
        .size:           8
        .value_kind:     global_buffer
      - .offset:         48
        .size:           8
        .value_kind:     by_value
      - .offset:         56
        .size:           8
        .value_kind:     by_value
      - .offset:         64
        .size:           8
        .value_kind:     by_value
      - .address_space:  global
        .offset:         72
        .size:           8
        .value_kind:     global_buffer
    .group_segment_fixed_size: 11264
    .kernarg_segment_align: 8
    .kernarg_segment_size: 80
    .language:       OpenCL C
    .language_version:
      - 2
      - 0
    .max_flat_workgroup_size: 256
    .name:           _ZN7rocprim6detail25device_scan_by_key_kernelILNS0_25lookback_scan_determinismE0ELb1ENS0_26wrapped_scan_by_key_configINS_14default_configEiiEEPiN6hipcub22TransformInputIteratorIsNS7_6CastOpIsEEPslEEPfsNS7_8EqualityENS7_3SumENS0_19lookback_scan_stateINS_5tupleIJibEEELb0ELb1EEEiEEvT2_T3_T4_T5_T6_T7_T8_mmmPKNSH_IJT9_bEEE
    .private_segment_fixed_size: 0
    .sgpr_count:     39
    .sgpr_spill_count: 0
    .symbol:         _ZN7rocprim6detail25device_scan_by_key_kernelILNS0_25lookback_scan_determinismE0ELb1ENS0_26wrapped_scan_by_key_configINS_14default_configEiiEEPiN6hipcub22TransformInputIteratorIsNS7_6CastOpIsEEPslEEPfsNS7_8EqualityENS7_3SumENS0_19lookback_scan_stateINS_5tupleIJibEEELb0ELb1EEEiEEvT2_T3_T4_T5_T6_T7_T8_mmmPKNSH_IJT9_bEEE.kd
    .uniform_work_group_size: 1
    .uses_dynamic_stack: false
    .vgpr_count:     49
    .vgpr_spill_count: 0
    .wavefront_size: 32
    .workgroup_processor_mode: 1
  - .args:
      - .address_space:  global
        .offset:         0
        .size:           8
        .value_kind:     global_buffer
      - .offset:         8
        .size:           16
        .value_kind:     by_value
      - .address_space:  global
        .offset:         24
        .size:           8
        .value_kind:     global_buffer
      - .offset:         32
        .size:           2
        .value_kind:     by_value
      - .offset:         34
        .size:           1
        .value_kind:     by_value
      - .offset:         35
        .size:           1
        .value_kind:     by_value
      - .address_space:  global
        .offset:         40
        .size:           8
        .value_kind:     global_buffer
      - .offset:         48
        .size:           8
        .value_kind:     by_value
      - .offset:         56
        .size:           8
        .value_kind:     by_value
      - .offset:         64
        .size:           8
        .value_kind:     by_value
      - .address_space:  global
        .offset:         72
        .size:           8
        .value_kind:     global_buffer
    .group_segment_fixed_size: 0
    .kernarg_segment_align: 8
    .kernarg_segment_size: 80
    .language:       OpenCL C
    .language_version:
      - 2
      - 0
    .max_flat_workgroup_size: 64
    .name:           _ZN7rocprim6detail25device_scan_by_key_kernelILNS0_25lookback_scan_determinismE0ELb1ENS0_26wrapped_scan_by_key_configINS_14default_configEisEEPiN6hipcub22TransformInputIteratorIsNS7_6CastOpIsEEPslEEPfsNS7_8EqualityENS7_3MaxENS0_19lookback_scan_stateINS_5tupleIJsbEEELb1ELb1EEEsEEvT2_T3_T4_T5_T6_T7_T8_mmmPKNSH_IJT9_bEEE
    .private_segment_fixed_size: 0
    .sgpr_count:     0
    .sgpr_spill_count: 0
    .symbol:         _ZN7rocprim6detail25device_scan_by_key_kernelILNS0_25lookback_scan_determinismE0ELb1ENS0_26wrapped_scan_by_key_configINS_14default_configEisEEPiN6hipcub22TransformInputIteratorIsNS7_6CastOpIsEEPslEEPfsNS7_8EqualityENS7_3MaxENS0_19lookback_scan_stateINS_5tupleIJsbEEELb1ELb1EEEsEEvT2_T3_T4_T5_T6_T7_T8_mmmPKNSH_IJT9_bEEE.kd
    .uniform_work_group_size: 1
    .uses_dynamic_stack: false
    .vgpr_count:     0
    .vgpr_spill_count: 0
    .wavefront_size: 32
    .workgroup_processor_mode: 1
  - .args:
      - .address_space:  global
        .offset:         0
        .size:           8
        .value_kind:     global_buffer
      - .offset:         8
        .size:           16
        .value_kind:     by_value
      - .address_space:  global
        .offset:         24
        .size:           8
        .value_kind:     global_buffer
      - .offset:         32
        .size:           2
        .value_kind:     by_value
      - .offset:         34
        .size:           1
        .value_kind:     by_value
      - .offset:         35
        .size:           1
        .value_kind:     by_value
      - .address_space:  global
        .offset:         40
        .size:           8
        .value_kind:     global_buffer
      - .offset:         48
        .size:           8
        .value_kind:     by_value
      - .offset:         56
        .size:           8
        .value_kind:     by_value
      - .offset:         64
        .size:           8
        .value_kind:     by_value
      - .address_space:  global
        .offset:         72
        .size:           8
        .value_kind:     global_buffer
    .group_segment_fixed_size: 6144
    .kernarg_segment_align: 8
    .kernarg_segment_size: 80
    .language:       OpenCL C
    .language_version:
      - 2
      - 0
    .max_flat_workgroup_size: 64
    .name:           _ZN7rocprim6detail25device_scan_by_key_kernelILNS0_25lookback_scan_determinismE0ELb1ENS0_26wrapped_scan_by_key_configINS_14default_configEisEEPiN6hipcub22TransformInputIteratorIsNS7_6CastOpIsEEPslEEPfsNS7_8EqualityENS7_3MaxENS0_19lookback_scan_stateINS_5tupleIJsbEEELb0ELb1EEEsEEvT2_T3_T4_T5_T6_T7_T8_mmmPKNSH_IJT9_bEEE
    .private_segment_fixed_size: 0
    .sgpr_count:     47
    .sgpr_spill_count: 0
    .symbol:         _ZN7rocprim6detail25device_scan_by_key_kernelILNS0_25lookback_scan_determinismE0ELb1ENS0_26wrapped_scan_by_key_configINS_14default_configEisEEPiN6hipcub22TransformInputIteratorIsNS7_6CastOpIsEEPslEEPfsNS7_8EqualityENS7_3MaxENS0_19lookback_scan_stateINS_5tupleIJsbEEELb0ELb1EEEsEEvT2_T3_T4_T5_T6_T7_T8_mmmPKNSH_IJT9_bEEE.kd
    .uniform_work_group_size: 1
    .uses_dynamic_stack: false
    .vgpr_count:     53
    .vgpr_spill_count: 0
    .wavefront_size: 32
    .workgroup_processor_mode: 1
  - .args:
      - .address_space:  global
        .offset:         0
        .size:           8
        .value_kind:     global_buffer
      - .offset:         8
        .size:           16
        .value_kind:     by_value
      - .address_space:  global
        .offset:         24
        .size:           8
        .value_kind:     global_buffer
      - .offset:         32
        .size:           8
        .value_kind:     by_value
      - .offset:         40
        .size:           1
        .value_kind:     by_value
      - .offset:         41
        .size:           1
        .value_kind:     by_value
      - .offset:         48
        .size:           24
        .value_kind:     by_value
      - .offset:         72
        .size:           8
        .value_kind:     by_value
      - .offset:         80
        .size:           8
        .value_kind:     by_value
      - .offset:         88
        .size:           8
        .value_kind:     by_value
      - .address_space:  global
        .offset:         96
        .size:           8
        .value_kind:     global_buffer
    .group_segment_fixed_size: 0
    .kernarg_segment_align: 8
    .kernarg_segment_size: 104
    .language:       OpenCL C
    .language_version:
      - 2
      - 0
    .max_flat_workgroup_size: 256
    .name:           _ZN7rocprim6detail25device_scan_by_key_kernelILNS0_25lookback_scan_determinismE0ELb1ENS0_26wrapped_scan_by_key_configINS_14default_configEimEEPiN6hipcub22TransformInputIteratorImNS7_6CastOpImEEPmlEESB_mNS7_8EqualityENS7_3SumENS0_19lookback_scan_stateINS_5tupleIJmbEEELb1ELb0EEEmEEvT2_T3_T4_T5_T6_T7_T8_mmmPKNSG_IJT9_bEEE
    .private_segment_fixed_size: 0
    .sgpr_count:     0
    .sgpr_spill_count: 0
    .symbol:         _ZN7rocprim6detail25device_scan_by_key_kernelILNS0_25lookback_scan_determinismE0ELb1ENS0_26wrapped_scan_by_key_configINS_14default_configEimEEPiN6hipcub22TransformInputIteratorImNS7_6CastOpImEEPmlEESB_mNS7_8EqualityENS7_3SumENS0_19lookback_scan_stateINS_5tupleIJmbEEELb1ELb0EEEmEEvT2_T3_T4_T5_T6_T7_T8_mmmPKNSG_IJT9_bEEE.kd
    .uniform_work_group_size: 1
    .uses_dynamic_stack: false
    .vgpr_count:     0
    .vgpr_spill_count: 0
    .wavefront_size: 32
    .workgroup_processor_mode: 1
  - .args:
      - .address_space:  global
        .offset:         0
        .size:           8
        .value_kind:     global_buffer
      - .offset:         8
        .size:           16
        .value_kind:     by_value
      - .address_space:  global
        .offset:         24
        .size:           8
        .value_kind:     global_buffer
      - .offset:         32
        .size:           8
        .value_kind:     by_value
      - .offset:         40
        .size:           1
        .value_kind:     by_value
      - .offset:         41
        .size:           1
        .value_kind:     by_value
      - .offset:         48
        .size:           24
        .value_kind:     by_value
      - .offset:         72
        .size:           8
        .value_kind:     by_value
      - .offset:         80
        .size:           8
        .value_kind:     by_value
      - .offset:         88
        .size:           8
        .value_kind:     by_value
      - .address_space:  global
        .offset:         96
        .size:           8
        .value_kind:     global_buffer
    .group_segment_fixed_size: 16896
    .kernarg_segment_align: 8
    .kernarg_segment_size: 104
    .language:       OpenCL C
    .language_version:
      - 2
      - 0
    .max_flat_workgroup_size: 256
    .name:           _ZN7rocprim6detail25device_scan_by_key_kernelILNS0_25lookback_scan_determinismE0ELb1ENS0_26wrapped_scan_by_key_configINS_14default_configEimEEPiN6hipcub22TransformInputIteratorImNS7_6CastOpImEEPmlEESB_mNS7_8EqualityENS7_3SumENS0_19lookback_scan_stateINS_5tupleIJmbEEELb0ELb0EEEmEEvT2_T3_T4_T5_T6_T7_T8_mmmPKNSG_IJT9_bEEE
    .private_segment_fixed_size: 0
    .sgpr_count:     42
    .sgpr_spill_count: 0
    .symbol:         _ZN7rocprim6detail25device_scan_by_key_kernelILNS0_25lookback_scan_determinismE0ELb1ENS0_26wrapped_scan_by_key_configINS_14default_configEimEEPiN6hipcub22TransformInputIteratorImNS7_6CastOpImEEPmlEESB_mNS7_8EqualityENS7_3SumENS0_19lookback_scan_stateINS_5tupleIJmbEEELb0ELb0EEEmEEvT2_T3_T4_T5_T6_T7_T8_mmmPKNSG_IJT9_bEEE.kd
    .uniform_work_group_size: 1
    .uses_dynamic_stack: false
    .vgpr_count:     73
    .vgpr_spill_count: 0
    .wavefront_size: 32
    .workgroup_processor_mode: 1
  - .args:
      - .address_space:  global
        .offset:         0
        .size:           8
        .value_kind:     global_buffer
      - .offset:         8
        .size:           16
        .value_kind:     by_value
      - .address_space:  global
        .offset:         24
        .size:           8
        .value_kind:     global_buffer
      - .offset:         32
        .size:           8
        .value_kind:     by_value
      - .offset:         40
        .size:           1
        .value_kind:     by_value
      - .offset:         41
        .size:           1
        .value_kind:     by_value
      - .offset:         48
        .size:           24
        .value_kind:     by_value
      - .offset:         72
        .size:           8
        .value_kind:     by_value
      - .offset:         80
        .size:           8
        .value_kind:     by_value
      - .offset:         88
        .size:           8
        .value_kind:     by_value
      - .address_space:  global
        .offset:         96
        .size:           8
        .value_kind:     global_buffer
    .group_segment_fixed_size: 0
    .kernarg_segment_align: 8
    .kernarg_segment_size: 104
    .language:       OpenCL C
    .language_version:
      - 2
      - 0
    .max_flat_workgroup_size: 256
    .name:           _ZN7rocprim6detail25device_scan_by_key_kernelILNS0_25lookback_scan_determinismE0ELb1ENS0_26wrapped_scan_by_key_configINS_14default_configEiyEEPiN6hipcub22TransformInputIteratorIyNS7_6CastOpIyEEPylEESB_yNS7_8EqualityENS7_3SumENS0_19lookback_scan_stateINS_5tupleIJybEEELb1ELb0EEEyEEvT2_T3_T4_T5_T6_T7_T8_mmmPKNSG_IJT9_bEEE
    .private_segment_fixed_size: 0
    .sgpr_count:     0
    .sgpr_spill_count: 0
    .symbol:         _ZN7rocprim6detail25device_scan_by_key_kernelILNS0_25lookback_scan_determinismE0ELb1ENS0_26wrapped_scan_by_key_configINS_14default_configEiyEEPiN6hipcub22TransformInputIteratorIyNS7_6CastOpIyEEPylEESB_yNS7_8EqualityENS7_3SumENS0_19lookback_scan_stateINS_5tupleIJybEEELb1ELb0EEEyEEvT2_T3_T4_T5_T6_T7_T8_mmmPKNSG_IJT9_bEEE.kd
    .uniform_work_group_size: 1
    .uses_dynamic_stack: false
    .vgpr_count:     0
    .vgpr_spill_count: 0
    .wavefront_size: 32
    .workgroup_processor_mode: 1
  - .args:
      - .address_space:  global
        .offset:         0
        .size:           8
        .value_kind:     global_buffer
      - .offset:         8
        .size:           16
        .value_kind:     by_value
      - .address_space:  global
        .offset:         24
        .size:           8
        .value_kind:     global_buffer
      - .offset:         32
        .size:           8
        .value_kind:     by_value
      - .offset:         40
        .size:           1
        .value_kind:     by_value
      - .offset:         41
        .size:           1
        .value_kind:     by_value
      - .offset:         48
        .size:           24
        .value_kind:     by_value
      - .offset:         72
        .size:           8
        .value_kind:     by_value
      - .offset:         80
        .size:           8
        .value_kind:     by_value
      - .offset:         88
        .size:           8
        .value_kind:     by_value
      - .address_space:  global
        .offset:         96
        .size:           8
        .value_kind:     global_buffer
    .group_segment_fixed_size: 16896
    .kernarg_segment_align: 8
    .kernarg_segment_size: 104
    .language:       OpenCL C
    .language_version:
      - 2
      - 0
    .max_flat_workgroup_size: 256
    .name:           _ZN7rocprim6detail25device_scan_by_key_kernelILNS0_25lookback_scan_determinismE0ELb1ENS0_26wrapped_scan_by_key_configINS_14default_configEiyEEPiN6hipcub22TransformInputIteratorIyNS7_6CastOpIyEEPylEESB_yNS7_8EqualityENS7_3SumENS0_19lookback_scan_stateINS_5tupleIJybEEELb0ELb0EEEyEEvT2_T3_T4_T5_T6_T7_T8_mmmPKNSG_IJT9_bEEE
    .private_segment_fixed_size: 0
    .sgpr_count:     42
    .sgpr_spill_count: 0
    .symbol:         _ZN7rocprim6detail25device_scan_by_key_kernelILNS0_25lookback_scan_determinismE0ELb1ENS0_26wrapped_scan_by_key_configINS_14default_configEiyEEPiN6hipcub22TransformInputIteratorIyNS7_6CastOpIyEEPylEESB_yNS7_8EqualityENS7_3SumENS0_19lookback_scan_stateINS_5tupleIJybEEELb0ELb0EEEyEEvT2_T3_T4_T5_T6_T7_T8_mmmPKNSG_IJT9_bEEE.kd
    .uniform_work_group_size: 1
    .uses_dynamic_stack: false
    .vgpr_count:     73
    .vgpr_spill_count: 0
    .wavefront_size: 32
    .workgroup_processor_mode: 1
  - .args:
      - .address_space:  global
        .offset:         0
        .size:           8
        .value_kind:     global_buffer
      - .offset:         8
        .size:           16
        .value_kind:     by_value
      - .address_space:  global
        .offset:         24
        .size:           8
        .value_kind:     global_buffer
      - .offset:         32
        .size:           8
        .value_kind:     by_value
      - .offset:         40
        .size:           1
        .value_kind:     by_value
      - .offset:         41
        .size:           1
        .value_kind:     by_value
      - .offset:         48
        .size:           24
        .value_kind:     by_value
      - .offset:         72
        .size:           8
        .value_kind:     by_value
      - .offset:         80
        .size:           8
        .value_kind:     by_value
      - .offset:         88
        .size:           8
        .value_kind:     by_value
      - .address_space:  global
        .offset:         96
        .size:           8
        .value_kind:     global_buffer
    .group_segment_fixed_size: 0
    .kernarg_segment_align: 8
    .kernarg_segment_size: 104
    .language:       OpenCL C
    .language_version:
      - 2
      - 0
    .max_flat_workgroup_size: 256
    .name:           _ZN7rocprim6detail25device_scan_by_key_kernelILNS0_25lookback_scan_determinismE0ELb1ENS0_26wrapped_scan_by_key_configINS_14default_configEiyEEPiN6hipcub22TransformInputIteratorIyNS7_6CastOpIyEEPylEESB_yNS7_8EqualityENS7_3MinENS0_19lookback_scan_stateINS_5tupleIJybEEELb1ELb0EEEyEEvT2_T3_T4_T5_T6_T7_T8_mmmPKNSG_IJT9_bEEE
    .private_segment_fixed_size: 0
    .sgpr_count:     0
    .sgpr_spill_count: 0
    .symbol:         _ZN7rocprim6detail25device_scan_by_key_kernelILNS0_25lookback_scan_determinismE0ELb1ENS0_26wrapped_scan_by_key_configINS_14default_configEiyEEPiN6hipcub22TransformInputIteratorIyNS7_6CastOpIyEEPylEESB_yNS7_8EqualityENS7_3MinENS0_19lookback_scan_stateINS_5tupleIJybEEELb1ELb0EEEyEEvT2_T3_T4_T5_T6_T7_T8_mmmPKNSG_IJT9_bEEE.kd
    .uniform_work_group_size: 1
    .uses_dynamic_stack: false
    .vgpr_count:     0
    .vgpr_spill_count: 0
    .wavefront_size: 32
    .workgroup_processor_mode: 1
  - .args:
      - .address_space:  global
        .offset:         0
        .size:           8
        .value_kind:     global_buffer
      - .offset:         8
        .size:           16
        .value_kind:     by_value
      - .address_space:  global
        .offset:         24
        .size:           8
        .value_kind:     global_buffer
      - .offset:         32
        .size:           8
        .value_kind:     by_value
      - .offset:         40
        .size:           1
        .value_kind:     by_value
      - .offset:         41
        .size:           1
        .value_kind:     by_value
      - .offset:         48
        .size:           24
        .value_kind:     by_value
      - .offset:         72
        .size:           8
        .value_kind:     by_value
      - .offset:         80
        .size:           8
        .value_kind:     by_value
      - .offset:         88
        .size:           8
        .value_kind:     by_value
      - .address_space:  global
        .offset:         96
        .size:           8
        .value_kind:     global_buffer
    .group_segment_fixed_size: 16896
    .kernarg_segment_align: 8
    .kernarg_segment_size: 104
    .language:       OpenCL C
    .language_version:
      - 2
      - 0
    .max_flat_workgroup_size: 256
    .name:           _ZN7rocprim6detail25device_scan_by_key_kernelILNS0_25lookback_scan_determinismE0ELb1ENS0_26wrapped_scan_by_key_configINS_14default_configEiyEEPiN6hipcub22TransformInputIteratorIyNS7_6CastOpIyEEPylEESB_yNS7_8EqualityENS7_3MinENS0_19lookback_scan_stateINS_5tupleIJybEEELb0ELb0EEEyEEvT2_T3_T4_T5_T6_T7_T8_mmmPKNSG_IJT9_bEEE
    .private_segment_fixed_size: 0
    .sgpr_count:     42
    .sgpr_spill_count: 0
    .symbol:         _ZN7rocprim6detail25device_scan_by_key_kernelILNS0_25lookback_scan_determinismE0ELb1ENS0_26wrapped_scan_by_key_configINS_14default_configEiyEEPiN6hipcub22TransformInputIteratorIyNS7_6CastOpIyEEPylEESB_yNS7_8EqualityENS7_3MinENS0_19lookback_scan_stateINS_5tupleIJybEEELb0ELb0EEEyEEvT2_T3_T4_T5_T6_T7_T8_mmmPKNSG_IJT9_bEEE.kd
    .uniform_work_group_size: 1
    .uses_dynamic_stack: false
    .vgpr_count:     73
    .vgpr_spill_count: 0
    .wavefront_size: 32
    .workgroup_processor_mode: 1
  - .args:
      - .address_space:  global
        .offset:         0
        .size:           8
        .value_kind:     global_buffer
      - .offset:         8
        .size:           4
        .value_kind:     by_value
      - .offset:         12
        .size:           4
        .value_kind:     by_value
      - .address_space:  global
        .offset:         16
        .size:           8
        .value_kind:     global_buffer
      - .offset:         24
        .size:           4
        .value_kind:     hidden_block_count_x
      - .offset:         28
        .size:           4
        .value_kind:     hidden_block_count_y
      - .offset:         32
        .size:           4
        .value_kind:     hidden_block_count_z
      - .offset:         36
        .size:           2
        .value_kind:     hidden_group_size_x
      - .offset:         38
        .size:           2
        .value_kind:     hidden_group_size_y
      - .offset:         40
        .size:           2
        .value_kind:     hidden_group_size_z
      - .offset:         42
        .size:           2
        .value_kind:     hidden_remainder_x
      - .offset:         44
        .size:           2
        .value_kind:     hidden_remainder_y
      - .offset:         46
        .size:           2
        .value_kind:     hidden_remainder_z
      - .offset:         64
        .size:           8
        .value_kind:     hidden_global_offset_x
      - .offset:         72
        .size:           8
        .value_kind:     hidden_global_offset_y
      - .offset:         80
        .size:           8
        .value_kind:     hidden_global_offset_z
      - .offset:         88
        .size:           2
        .value_kind:     hidden_grid_dims
    .group_segment_fixed_size: 0
    .kernarg_segment_align: 8
    .kernarg_segment_size: 280
    .language:       OpenCL C
    .language_version:
      - 2
      - 0
    .max_flat_workgroup_size: 256
    .name:           _ZN7rocprim6detail31init_lookback_scan_state_kernelINS0_19lookback_scan_stateIjLb1ELb1EEEEEvT_jjPNS4_10value_typeE
    .private_segment_fixed_size: 0
    .sgpr_count:     18
    .sgpr_spill_count: 0
    .symbol:         _ZN7rocprim6detail31init_lookback_scan_state_kernelINS0_19lookback_scan_stateIjLb1ELb1EEEEEvT_jjPNS4_10value_typeE.kd
    .uniform_work_group_size: 1
    .uses_dynamic_stack: false
    .vgpr_count:     6
    .vgpr_spill_count: 0
    .wavefront_size: 32
    .workgroup_processor_mode: 1
  - .args:
      - .address_space:  global
        .offset:         0
        .size:           8
        .value_kind:     global_buffer
      - .offset:         8
        .size:           4
        .value_kind:     by_value
      - .offset:         12
        .size:           4
        .value_kind:     by_value
      - .address_space:  global
        .offset:         16
        .size:           8
        .value_kind:     global_buffer
      - .offset:         24
        .size:           4
        .value_kind:     hidden_block_count_x
      - .offset:         28
        .size:           4
        .value_kind:     hidden_block_count_y
      - .offset:         32
        .size:           4
        .value_kind:     hidden_block_count_z
      - .offset:         36
        .size:           2
        .value_kind:     hidden_group_size_x
      - .offset:         38
        .size:           2
        .value_kind:     hidden_group_size_y
      - .offset:         40
        .size:           2
        .value_kind:     hidden_group_size_z
      - .offset:         42
        .size:           2
        .value_kind:     hidden_remainder_x
      - .offset:         44
        .size:           2
        .value_kind:     hidden_remainder_y
      - .offset:         46
        .size:           2
        .value_kind:     hidden_remainder_z
      - .offset:         64
        .size:           8
        .value_kind:     hidden_global_offset_x
      - .offset:         72
        .size:           8
        .value_kind:     hidden_global_offset_y
      - .offset:         80
        .size:           8
        .value_kind:     hidden_global_offset_z
      - .offset:         88
        .size:           2
        .value_kind:     hidden_grid_dims
    .group_segment_fixed_size: 0
    .kernarg_segment_align: 8
    .kernarg_segment_size: 280
    .language:       OpenCL C
    .language_version:
      - 2
      - 0
    .max_flat_workgroup_size: 256
    .name:           _ZN7rocprim6detail31init_lookback_scan_state_kernelINS0_19lookback_scan_stateIjLb0ELb1EEEEEvT_jjPNS4_10value_typeE
    .private_segment_fixed_size: 0
    .sgpr_count:     18
    .sgpr_spill_count: 0
    .symbol:         _ZN7rocprim6detail31init_lookback_scan_state_kernelINS0_19lookback_scan_stateIjLb0ELb1EEEEEvT_jjPNS4_10value_typeE.kd
    .uniform_work_group_size: 1
    .uses_dynamic_stack: false
    .vgpr_count:     6
    .vgpr_spill_count: 0
    .wavefront_size: 32
    .workgroup_processor_mode: 1
  - .args:
      - .offset:         0
        .size:           4
        .value_kind:     by_value
      - .offset:         8
        .size:           24
        .value_kind:     by_value
      - .offset:         32
        .size:           8
        .value_kind:     by_value
      - .offset:         40
        .size:           4
        .value_kind:     by_value
      - .offset:         44
        .size:           1
        .value_kind:     by_value
      - .address_space:  global
        .offset:         48
        .size:           8
        .value_kind:     global_buffer
      - .offset:         56
        .size:           4
        .value_kind:     by_value
      - .address_space:  global
        .offset:         64
        .size:           8
        .value_kind:     global_buffer
      - .address_space:  global
        .offset:         72
        .size:           8
        .value_kind:     global_buffer
      - .offset:         80
        .size:           1
        .value_kind:     by_value
      - .offset:         81
        .size:           1
        .value_kind:     by_value
    .group_segment_fixed_size: 0
    .kernarg_segment_align: 8
    .kernarg_segment_size: 84
    .language:       OpenCL C
    .language_version:
      - 2
      - 0
    .max_flat_workgroup_size: 64
    .name:           _ZN7rocprim6detail20lookback_scan_kernelILNS0_25lookback_scan_determinismE0ELb0ENS0_19wrapped_scan_configINS_14default_configEjEEN6hipcub21CountingInputIteratorIjlEEN10test_utils21single_index_iteratorIjEENS6_3SumEjjNS0_19lookback_scan_stateIjLb1ELb1EEEEEvT2_T3_mT5_T4_T7_jPT6_SL_bb
    .private_segment_fixed_size: 0
    .sgpr_count:     0
    .sgpr_spill_count: 0
    .symbol:         _ZN7rocprim6detail20lookback_scan_kernelILNS0_25lookback_scan_determinismE0ELb0ENS0_19wrapped_scan_configINS_14default_configEjEEN6hipcub21CountingInputIteratorIjlEEN10test_utils21single_index_iteratorIjEENS6_3SumEjjNS0_19lookback_scan_stateIjLb1ELb1EEEEEvT2_T3_mT5_T4_T7_jPT6_SL_bb.kd
    .uniform_work_group_size: 1
    .uses_dynamic_stack: false
    .vgpr_count:     0
    .vgpr_spill_count: 0
    .wavefront_size: 32
    .workgroup_processor_mode: 1
  - .args:
      - .offset:         0
        .size:           4
        .value_kind:     by_value
      - .offset:         8
        .size:           24
        .value_kind:     by_value
      - .offset:         32
        .size:           8
        .value_kind:     by_value
      - .offset:         40
        .size:           4
        .value_kind:     by_value
      - .offset:         44
        .size:           1
        .value_kind:     by_value
      - .address_space:  global
        .offset:         48
        .size:           8
        .value_kind:     global_buffer
      - .offset:         56
        .size:           4
        .value_kind:     by_value
      - .address_space:  global
        .offset:         64
        .size:           8
        .value_kind:     global_buffer
      - .address_space:  global
        .offset:         72
        .size:           8
        .value_kind:     global_buffer
      - .offset:         80
        .size:           1
        .value_kind:     by_value
      - .offset:         81
        .size:           1
        .value_kind:     by_value
    .group_segment_fixed_size: 4224
    .kernarg_segment_align: 8
    .kernarg_segment_size: 84
    .language:       OpenCL C
    .language_version:
      - 2
      - 0
    .max_flat_workgroup_size: 64
    .name:           _ZN7rocprim6detail20lookback_scan_kernelILNS0_25lookback_scan_determinismE0ELb0ENS0_19wrapped_scan_configINS_14default_configEjEEN6hipcub21CountingInputIteratorIjlEEN10test_utils21single_index_iteratorIjEENS6_3SumEjjNS0_19lookback_scan_stateIjLb0ELb1EEEEEvT2_T3_mT5_T4_T7_jPT6_SL_bb
    .private_segment_fixed_size: 0
    .sgpr_count:     34
    .sgpr_spill_count: 0
    .symbol:         _ZN7rocprim6detail20lookback_scan_kernelILNS0_25lookback_scan_determinismE0ELb0ENS0_19wrapped_scan_configINS_14default_configEjEEN6hipcub21CountingInputIteratorIjlEEN10test_utils21single_index_iteratorIjEENS6_3SumEjjNS0_19lookback_scan_stateIjLb0ELb1EEEEEvT2_T3_mT5_T4_T7_jPT6_SL_bb.kd
    .uniform_work_group_size: 1
    .uses_dynamic_stack: false
    .vgpr_count:     40
    .vgpr_spill_count: 0
    .wavefront_size: 32
    .workgroup_processor_mode: 1
  - .args:
      - .address_space:  global
        .offset:         0
        .size:           8
        .value_kind:     global_buffer
      - .offset:         8
        .size:           8
        .value_kind:     by_value
      - .address_space:  global
        .offset:         16
        .size:           8
        .value_kind:     global_buffer
      - .offset:         24
        .size:           1
        .value_kind:     by_value
      - .offset:         32
        .size:           4
        .value_kind:     hidden_block_count_x
      - .offset:         36
        .size:           4
        .value_kind:     hidden_block_count_y
      - .offset:         40
        .size:           4
        .value_kind:     hidden_block_count_z
      - .offset:         44
        .size:           2
        .value_kind:     hidden_group_size_x
      - .offset:         46
        .size:           2
        .value_kind:     hidden_group_size_y
      - .offset:         48
        .size:           2
        .value_kind:     hidden_group_size_z
      - .offset:         50
        .size:           2
        .value_kind:     hidden_remainder_x
      - .offset:         52
        .size:           2
        .value_kind:     hidden_remainder_y
      - .offset:         54
        .size:           2
        .value_kind:     hidden_remainder_z
      - .offset:         72
        .size:           8
        .value_kind:     hidden_global_offset_x
      - .offset:         80
        .size:           8
        .value_kind:     hidden_global_offset_y
      - .offset:         88
        .size:           8
        .value_kind:     hidden_global_offset_z
      - .offset:         96
        .size:           2
        .value_kind:     hidden_grid_dims
    .group_segment_fixed_size: 0
    .kernarg_segment_align: 8
    .kernarg_segment_size: 288
    .language:       OpenCL C
    .language_version:
      - 2
      - 0
    .max_flat_workgroup_size: 256
    .name:           _ZN7rocprim6detail16transform_kernelINS0_24wrapped_transform_configINS_14default_configEjEEjPjS5_NS_8identityIjEEEEvT1_mT2_T3_
    .private_segment_fixed_size: 0
    .sgpr_count:     24
    .sgpr_spill_count: 0
    .symbol:         _ZN7rocprim6detail16transform_kernelINS0_24wrapped_transform_configINS_14default_configEjEEjPjS5_NS_8identityIjEEEEvT1_mT2_T3_.kd
    .uniform_work_group_size: 1
    .uses_dynamic_stack: false
    .vgpr_count:     28
    .vgpr_spill_count: 0
    .wavefront_size: 32
    .workgroup_processor_mode: 1
  - .args:
      - .offset:         0
        .size:           4
        .value_kind:     by_value
      - .offset:         8
        .size:           8
        .value_kind:     by_value
      - .offset:         16
        .size:           4
        .value_kind:     by_value
      - .offset:         24
        .size:           24
        .value_kind:     by_value
      - .offset:         48
        .size:           1
        .value_kind:     by_value
    .group_segment_fixed_size: 4224
    .kernarg_segment_align: 8
    .kernarg_segment_size: 52
    .language:       OpenCL C
    .language_version:
      - 2
      - 0
    .max_flat_workgroup_size: 64
    .name:           _ZN7rocprim6detail18single_scan_kernelILb0ENS0_19wrapped_scan_configINS_14default_configEjEEN6hipcub21CountingInputIteratorIjlEEN10test_utils21single_index_iteratorIjEENS5_3SumEjjEEvT1_mT4_T2_T3_
    .private_segment_fixed_size: 0
    .sgpr_count:     30
    .sgpr_spill_count: 0
    .symbol:         _ZN7rocprim6detail18single_scan_kernelILb0ENS0_19wrapped_scan_configINS_14default_configEjEEN6hipcub21CountingInputIteratorIjlEEN10test_utils21single_index_iteratorIjEENS5_3SumEjjEEvT1_mT4_T2_T3_.kd
    .uniform_work_group_size: 1
    .uses_dynamic_stack: false
    .vgpr_count:     51
    .vgpr_spill_count: 0
    .wavefront_size: 32
    .workgroup_processor_mode: 1
  - .args:
      - .offset:         0
        .size:           4
        .value_kind:     by_value
      - .offset:         8
        .size:           24
        .value_kind:     by_value
      - .offset:         32
        .size:           8
        .value_kind:     by_value
      - .offset:         40
        .size:           4
        .value_kind:     by_value
      - .offset:         44
        .size:           1
        .value_kind:     by_value
      - .address_space:  global
        .offset:         48
        .size:           8
        .value_kind:     global_buffer
      - .offset:         56
        .size:           4
        .value_kind:     by_value
      - .address_space:  global
        .offset:         64
        .size:           8
        .value_kind:     global_buffer
      - .address_space:  global
        .offset:         72
        .size:           8
        .value_kind:     global_buffer
      - .offset:         80
        .size:           1
        .value_kind:     by_value
      - .offset:         81
        .size:           1
        .value_kind:     by_value
    .group_segment_fixed_size: 0
    .kernarg_segment_align: 8
    .kernarg_segment_size: 84
    .language:       OpenCL C
    .language_version:
      - 2
      - 0
    .max_flat_workgroup_size: 64
    .name:           _ZN7rocprim6detail20lookback_scan_kernelILNS0_25lookback_scan_determinismE0ELb1ENS0_19wrapped_scan_configINS_14default_configEjEEN6hipcub21CountingInputIteratorIjlEEN10test_utils21single_index_iteratorIjEENS6_3SumEjjNS0_19lookback_scan_stateIjLb1ELb1EEEEEvT2_T3_mT5_T4_T7_jPT6_SL_bb
    .private_segment_fixed_size: 0
    .sgpr_count:     0
    .sgpr_spill_count: 0
    .symbol:         _ZN7rocprim6detail20lookback_scan_kernelILNS0_25lookback_scan_determinismE0ELb1ENS0_19wrapped_scan_configINS_14default_configEjEEN6hipcub21CountingInputIteratorIjlEEN10test_utils21single_index_iteratorIjEENS6_3SumEjjNS0_19lookback_scan_stateIjLb1ELb1EEEEEvT2_T3_mT5_T4_T7_jPT6_SL_bb.kd
    .uniform_work_group_size: 1
    .uses_dynamic_stack: false
    .vgpr_count:     0
    .vgpr_spill_count: 0
    .wavefront_size: 32
    .workgroup_processor_mode: 1
  - .args:
      - .offset:         0
        .size:           4
        .value_kind:     by_value
      - .offset:         8
        .size:           24
        .value_kind:     by_value
      - .offset:         32
        .size:           8
        .value_kind:     by_value
      - .offset:         40
        .size:           4
        .value_kind:     by_value
      - .offset:         44
        .size:           1
        .value_kind:     by_value
      - .address_space:  global
        .offset:         48
        .size:           8
        .value_kind:     global_buffer
      - .offset:         56
        .size:           4
        .value_kind:     by_value
      - .address_space:  global
        .offset:         64
        .size:           8
        .value_kind:     global_buffer
      - .address_space:  global
        .offset:         72
        .size:           8
        .value_kind:     global_buffer
      - .offset:         80
        .size:           1
        .value_kind:     by_value
      - .offset:         81
        .size:           1
        .value_kind:     by_value
    .group_segment_fixed_size: 4224
    .kernarg_segment_align: 8
    .kernarg_segment_size: 84
    .language:       OpenCL C
    .language_version:
      - 2
      - 0
    .max_flat_workgroup_size: 64
    .name:           _ZN7rocprim6detail20lookback_scan_kernelILNS0_25lookback_scan_determinismE0ELb1ENS0_19wrapped_scan_configINS_14default_configEjEEN6hipcub21CountingInputIteratorIjlEEN10test_utils21single_index_iteratorIjEENS6_3SumEjjNS0_19lookback_scan_stateIjLb0ELb1EEEEEvT2_T3_mT5_T4_T7_jPT6_SL_bb
    .private_segment_fixed_size: 0
    .sgpr_count:     34
    .sgpr_spill_count: 0
    .symbol:         _ZN7rocprim6detail20lookback_scan_kernelILNS0_25lookback_scan_determinismE0ELb1ENS0_19wrapped_scan_configINS_14default_configEjEEN6hipcub21CountingInputIteratorIjlEEN10test_utils21single_index_iteratorIjEENS6_3SumEjjNS0_19lookback_scan_stateIjLb0ELb1EEEEEvT2_T3_mT5_T4_T7_jPT6_SL_bb.kd
    .uniform_work_group_size: 1
    .uses_dynamic_stack: false
    .vgpr_count:     41
    .vgpr_spill_count: 0
    .wavefront_size: 32
    .workgroup_processor_mode: 1
  - .args:
      - .offset:         0
        .size:           4
        .value_kind:     by_value
      - .offset:         8
        .size:           8
        .value_kind:     by_value
      - .offset:         16
        .size:           4
        .value_kind:     by_value
      - .offset:         24
        .size:           24
        .value_kind:     by_value
      - .offset:         48
        .size:           1
        .value_kind:     by_value
    .group_segment_fixed_size: 4224
    .kernarg_segment_align: 8
    .kernarg_segment_size: 52
    .language:       OpenCL C
    .language_version:
      - 2
      - 0
    .max_flat_workgroup_size: 64
    .name:           _ZN7rocprim6detail18single_scan_kernelILb1ENS0_19wrapped_scan_configINS_14default_configEjEEN6hipcub21CountingInputIteratorIjlEEN10test_utils21single_index_iteratorIjEENS5_3SumEjjEEvT1_mT4_T2_T3_
    .private_segment_fixed_size: 0
    .sgpr_count:     30
    .sgpr_spill_count: 0
    .symbol:         _ZN7rocprim6detail18single_scan_kernelILb1ENS0_19wrapped_scan_configINS_14default_configEjEEN6hipcub21CountingInputIteratorIjlEEN10test_utils21single_index_iteratorIjEENS5_3SumEjjEEvT1_mT4_T2_T3_.kd
    .uniform_work_group_size: 1
    .uses_dynamic_stack: false
    .vgpr_count:     52
    .vgpr_spill_count: 0
    .wavefront_size: 32
    .workgroup_processor_mode: 1
  - .args:
      - .address_space:  global
        .offset:         0
        .size:           8
        .value_kind:     global_buffer
      - .offset:         8
        .size:           4
        .value_kind:     by_value
      - .offset:         12
        .size:           4
        .value_kind:     by_value
      - .address_space:  global
        .offset:         16
        .size:           8
        .value_kind:     global_buffer
      - .offset:         24
        .size:           4
        .value_kind:     hidden_block_count_x
      - .offset:         28
        .size:           4
        .value_kind:     hidden_block_count_y
      - .offset:         32
        .size:           4
        .value_kind:     hidden_block_count_z
      - .offset:         36
        .size:           2
        .value_kind:     hidden_group_size_x
      - .offset:         38
        .size:           2
        .value_kind:     hidden_group_size_y
      - .offset:         40
        .size:           2
        .value_kind:     hidden_group_size_z
      - .offset:         42
        .size:           2
        .value_kind:     hidden_remainder_x
      - .offset:         44
        .size:           2
        .value_kind:     hidden_remainder_y
      - .offset:         46
        .size:           2
        .value_kind:     hidden_remainder_z
      - .offset:         64
        .size:           8
        .value_kind:     hidden_global_offset_x
      - .offset:         72
        .size:           8
        .value_kind:     hidden_global_offset_y
      - .offset:         80
        .size:           8
        .value_kind:     hidden_global_offset_z
      - .offset:         88
        .size:           2
        .value_kind:     hidden_grid_dims
    .group_segment_fixed_size: 0
    .kernarg_segment_align: 8
    .kernarg_segment_size: 280
    .language:       OpenCL C
    .language_version:
      - 2
      - 0
    .max_flat_workgroup_size: 256
    .name:           _ZN7rocprim6detail31init_lookback_scan_state_kernelINS0_19lookback_scan_stateIlLb1ELb1EEEEEvT_jjPNS4_10value_typeE
    .private_segment_fixed_size: 0
    .sgpr_count:     18
    .sgpr_spill_count: 0
    .symbol:         _ZN7rocprim6detail31init_lookback_scan_state_kernelINS0_19lookback_scan_stateIlLb1ELb1EEEEEvT_jjPNS4_10value_typeE.kd
    .uniform_work_group_size: 1
    .uses_dynamic_stack: false
    .vgpr_count:     9
    .vgpr_spill_count: 0
    .wavefront_size: 32
    .workgroup_processor_mode: 1
  - .args:
      - .address_space:  global
        .offset:         0
        .size:           8
        .value_kind:     global_buffer
      - .offset:         8
        .size:           4
        .value_kind:     by_value
      - .offset:         12
        .size:           4
        .value_kind:     by_value
      - .address_space:  global
        .offset:         16
        .size:           8
        .value_kind:     global_buffer
      - .offset:         24
        .size:           4
        .value_kind:     hidden_block_count_x
      - .offset:         28
        .size:           4
        .value_kind:     hidden_block_count_y
      - .offset:         32
        .size:           4
        .value_kind:     hidden_block_count_z
      - .offset:         36
        .size:           2
        .value_kind:     hidden_group_size_x
      - .offset:         38
        .size:           2
        .value_kind:     hidden_group_size_y
      - .offset:         40
        .size:           2
        .value_kind:     hidden_group_size_z
      - .offset:         42
        .size:           2
        .value_kind:     hidden_remainder_x
      - .offset:         44
        .size:           2
        .value_kind:     hidden_remainder_y
      - .offset:         46
        .size:           2
        .value_kind:     hidden_remainder_z
      - .offset:         64
        .size:           8
        .value_kind:     hidden_global_offset_x
      - .offset:         72
        .size:           8
        .value_kind:     hidden_global_offset_y
      - .offset:         80
        .size:           8
        .value_kind:     hidden_global_offset_z
      - .offset:         88
        .size:           2
        .value_kind:     hidden_grid_dims
    .group_segment_fixed_size: 0
    .kernarg_segment_align: 8
    .kernarg_segment_size: 280
    .language:       OpenCL C
    .language_version:
      - 2
      - 0
    .max_flat_workgroup_size: 256
    .name:           _ZN7rocprim6detail31init_lookback_scan_state_kernelINS0_19lookback_scan_stateIlLb0ELb1EEEEEvT_jjPNS4_10value_typeE
    .private_segment_fixed_size: 0
    .sgpr_count:     18
    .sgpr_spill_count: 0
    .symbol:         _ZN7rocprim6detail31init_lookback_scan_state_kernelINS0_19lookback_scan_stateIlLb0ELb1EEEEEvT_jjPNS4_10value_typeE.kd
    .uniform_work_group_size: 1
    .uses_dynamic_stack: false
    .vgpr_count:     9
    .vgpr_spill_count: 0
    .wavefront_size: 32
    .workgroup_processor_mode: 1
  - .args:
      - .offset:         0
        .size:           16
        .value_kind:     by_value
      - .address_space:  global
        .offset:         16
        .size:           8
        .value_kind:     global_buffer
      - .offset:         24
        .size:           8
        .value_kind:     by_value
      - .address_space:  global
        .offset:         32
        .size:           8
        .value_kind:     global_buffer
      - .offset:         40
        .size:           1
        .value_kind:     by_value
      - .address_space:  global
        .offset:         48
        .size:           8
        .value_kind:     global_buffer
      - .offset:         56
        .size:           4
        .value_kind:     by_value
      - .address_space:  global
        .offset:         64
        .size:           8
        .value_kind:     global_buffer
      - .address_space:  global
        .offset:         72
        .size:           8
        .value_kind:     global_buffer
      - .offset:         80
        .size:           1
        .value_kind:     by_value
      - .offset:         81
        .size:           1
        .value_kind:     by_value
    .group_segment_fixed_size: 0
    .kernarg_segment_align: 8
    .kernarg_segment_size: 84
    .language:       OpenCL C
    .language_version:
      - 2
      - 0
    .max_flat_workgroup_size: 256
    .name:           _ZN7rocprim6detail20lookback_scan_kernelILNS0_25lookback_scan_determinismE0ELb1ENS0_19wrapped_scan_configINS_14default_configElEEN6hipcub22TransformInputIteratorIiNS6_6CastOpIiEEPilEEPlNS6_3SumENS_12future_valueIlSC_EElNS0_19lookback_scan_stateIlLb1ELb1EEEEEvT2_T3_mT5_T4_T7_jPT6_SO_bb
    .private_segment_fixed_size: 0
    .sgpr_count:     0
    .sgpr_spill_count: 0
    .symbol:         _ZN7rocprim6detail20lookback_scan_kernelILNS0_25lookback_scan_determinismE0ELb1ENS0_19wrapped_scan_configINS_14default_configElEEN6hipcub22TransformInputIteratorIiNS6_6CastOpIiEEPilEEPlNS6_3SumENS_12future_valueIlSC_EElNS0_19lookback_scan_stateIlLb1ELb1EEEEEvT2_T3_mT5_T4_T7_jPT6_SO_bb.kd
    .uniform_work_group_size: 1
    .uses_dynamic_stack: false
    .vgpr_count:     0
    .vgpr_spill_count: 0
    .wavefront_size: 32
    .workgroup_processor_mode: 1
  - .args:
      - .offset:         0
        .size:           16
        .value_kind:     by_value
      - .address_space:  global
        .offset:         16
        .size:           8
        .value_kind:     global_buffer
      - .offset:         24
        .size:           8
        .value_kind:     by_value
      - .address_space:  global
        .offset:         32
        .size:           8
        .value_kind:     global_buffer
      - .offset:         40
        .size:           1
        .value_kind:     by_value
      - .address_space:  global
        .offset:         48
        .size:           8
        .value_kind:     global_buffer
      - .offset:         56
        .size:           4
        .value_kind:     by_value
      - .address_space:  global
        .offset:         64
        .size:           8
        .value_kind:     global_buffer
      - .address_space:  global
        .offset:         72
        .size:           8
        .value_kind:     global_buffer
      - .offset:         80
        .size:           1
        .value_kind:     by_value
      - .offset:         81
        .size:           1
        .value_kind:     by_value
    .group_segment_fixed_size: 33792
    .kernarg_segment_align: 8
    .kernarg_segment_size: 84
    .language:       OpenCL C
    .language_version:
      - 2
      - 0
    .max_flat_workgroup_size: 256
    .name:           _ZN7rocprim6detail20lookback_scan_kernelILNS0_25lookback_scan_determinismE0ELb1ENS0_19wrapped_scan_configINS_14default_configElEEN6hipcub22TransformInputIteratorIiNS6_6CastOpIiEEPilEEPlNS6_3SumENS_12future_valueIlSC_EElNS0_19lookback_scan_stateIlLb0ELb1EEEEEvT2_T3_mT5_T4_T7_jPT6_SO_bb
    .private_segment_fixed_size: 0
    .sgpr_count:     70
    .sgpr_spill_count: 0
    .symbol:         _ZN7rocprim6detail20lookback_scan_kernelILNS0_25lookback_scan_determinismE0ELb1ENS0_19wrapped_scan_configINS_14default_configElEEN6hipcub22TransformInputIteratorIiNS6_6CastOpIiEEPilEEPlNS6_3SumENS_12future_valueIlSC_EElNS0_19lookback_scan_stateIlLb0ELb1EEEEEvT2_T3_mT5_T4_T7_jPT6_SO_bb.kd
    .uniform_work_group_size: 1
    .uses_dynamic_stack: false
    .vgpr_count:     96
    .vgpr_spill_count: 0
    .wavefront_size: 32
    .workgroup_processor_mode: 1
  - .args:
      - .address_space:  global
        .offset:         0
        .size:           8
        .value_kind:     global_buffer
      - .offset:         8
        .size:           8
        .value_kind:     by_value
      - .address_space:  global
        .offset:         16
        .size:           8
        .value_kind:     global_buffer
      - .offset:         24
        .size:           1
        .value_kind:     by_value
      - .offset:         32
        .size:           4
        .value_kind:     hidden_block_count_x
      - .offset:         36
        .size:           4
        .value_kind:     hidden_block_count_y
      - .offset:         40
        .size:           4
        .value_kind:     hidden_block_count_z
      - .offset:         44
        .size:           2
        .value_kind:     hidden_group_size_x
      - .offset:         46
        .size:           2
        .value_kind:     hidden_group_size_y
      - .offset:         48
        .size:           2
        .value_kind:     hidden_group_size_z
      - .offset:         50
        .size:           2
        .value_kind:     hidden_remainder_x
      - .offset:         52
        .size:           2
        .value_kind:     hidden_remainder_y
      - .offset:         54
        .size:           2
        .value_kind:     hidden_remainder_z
      - .offset:         72
        .size:           8
        .value_kind:     hidden_global_offset_x
      - .offset:         80
        .size:           8
        .value_kind:     hidden_global_offset_y
      - .offset:         88
        .size:           8
        .value_kind:     hidden_global_offset_z
      - .offset:         96
        .size:           2
        .value_kind:     hidden_grid_dims
    .group_segment_fixed_size: 0
    .kernarg_segment_align: 8
    .kernarg_segment_size: 288
    .language:       OpenCL C
    .language_version:
      - 2
      - 0
    .max_flat_workgroup_size: 512
    .name:           _ZN7rocprim6detail16transform_kernelINS0_24wrapped_transform_configINS_14default_configElEElPlS5_NS_8identityIlEEEEvT1_mT2_T3_
    .private_segment_fixed_size: 0
    .sgpr_count:     18
    .sgpr_spill_count: 0
    .symbol:         _ZN7rocprim6detail16transform_kernelINS0_24wrapped_transform_configINS_14default_configElEElPlS5_NS_8identityIlEEEEvT1_mT2_T3_.kd
    .uniform_work_group_size: 1
    .uses_dynamic_stack: false
    .vgpr_count:     5
    .vgpr_spill_count: 0
    .wavefront_size: 32
    .workgroup_processor_mode: 1
  - .args:
      - .offset:         0
        .size:           16
        .value_kind:     by_value
      - .offset:         16
        .size:           8
        .value_kind:     by_value
      - .address_space:  global
        .offset:         24
        .size:           8
        .value_kind:     global_buffer
      - .address_space:  global
        .offset:         32
        .size:           8
        .value_kind:     global_buffer
      - .offset:         40
        .size:           1
        .value_kind:     by_value
    .group_segment_fixed_size: 33792
    .kernarg_segment_align: 8
    .kernarg_segment_size: 44
    .language:       OpenCL C
    .language_version:
      - 2
      - 0
    .max_flat_workgroup_size: 256
    .name:           _ZN7rocprim6detail18single_scan_kernelILb1ENS0_19wrapped_scan_configINS_14default_configElEEN6hipcub22TransformInputIteratorIiNS5_6CastOpIiEEPilEEPlNS5_3SumENS_12future_valueIlSB_EElEEvT1_mT4_T2_T3_
    .private_segment_fixed_size: 0
    .sgpr_count:     70
    .sgpr_spill_count: 0
    .symbol:         _ZN7rocprim6detail18single_scan_kernelILb1ENS0_19wrapped_scan_configINS_14default_configElEEN6hipcub22TransformInputIteratorIiNS5_6CastOpIiEEPilEEPlNS5_3SumENS_12future_valueIlSB_EElEEvT1_mT4_T2_T3_.kd
    .uniform_work_group_size: 1
    .uses_dynamic_stack: false
    .vgpr_count:     77
    .vgpr_spill_count: 0
    .wavefront_size: 32
    .workgroup_processor_mode: 1
  - .args:
      - .address_space:  global
        .offset:         0
        .size:           8
        .value_kind:     global_buffer
      - .offset:         8
        .size:           8
        .value_kind:     by_value
    .group_segment_fixed_size: 0
    .kernarg_segment_align: 8
    .kernarg_segment_size: 16
    .language:       OpenCL C
    .language_version:
      - 2
      - 0
    .max_flat_workgroup_size: 1024
    .name:           _ZL18fill_initial_valueIlEvPT_S0_
    .private_segment_fixed_size: 0
    .sgpr_count:     4
    .sgpr_spill_count: 0
    .symbol:         _ZL18fill_initial_valueIlEvPT_S0_.kd
    .uniform_work_group_size: 1
    .uses_dynamic_stack: false
    .vgpr_count:     3
    .vgpr_spill_count: 0
    .wavefront_size: 32
    .workgroup_processor_mode: 1
  - .args:
      - .offset:         0
        .size:           16
        .value_kind:     by_value
      - .address_space:  global
        .offset:         16
        .size:           8
        .value_kind:     global_buffer
      - .offset:         24
        .size:           8
        .value_kind:     by_value
      - .address_space:  global
        .offset:         32
        .size:           8
        .value_kind:     global_buffer
      - .offset:         40
        .size:           1
        .value_kind:     by_value
      - .address_space:  global
        .offset:         48
        .size:           8
        .value_kind:     global_buffer
      - .offset:         56
        .size:           4
        .value_kind:     by_value
      - .address_space:  global
        .offset:         64
        .size:           8
        .value_kind:     global_buffer
      - .address_space:  global
        .offset:         72
        .size:           8
        .value_kind:     global_buffer
      - .offset:         80
        .size:           1
        .value_kind:     by_value
      - .offset:         81
        .size:           1
        .value_kind:     by_value
    .group_segment_fixed_size: 0
    .kernarg_segment_align: 8
    .kernarg_segment_size: 84
    .language:       OpenCL C
    .language_version:
      - 2
      - 0
    .max_flat_workgroup_size: 64
    .name:           _ZN7rocprim6detail20lookback_scan_kernelILNS0_25lookback_scan_determinismE0ELb1ENS0_19wrapped_scan_configINS_14default_configE6__halfEEN6hipcub22TransformInputIteratorIS5_NS7_6CastOpIS5_EEPS5_lEESB_NS7_3MaxENS_12future_valueIS5_SB_EES5_NS0_19lookback_scan_stateIS5_Lb1ELb1EEEEEvT2_T3_mT5_T4_T7_jPT6_SO_bb
    .private_segment_fixed_size: 0
    .sgpr_count:     0
    .sgpr_spill_count: 0
    .symbol:         _ZN7rocprim6detail20lookback_scan_kernelILNS0_25lookback_scan_determinismE0ELb1ENS0_19wrapped_scan_configINS_14default_configE6__halfEEN6hipcub22TransformInputIteratorIS5_NS7_6CastOpIS5_EEPS5_lEESB_NS7_3MaxENS_12future_valueIS5_SB_EES5_NS0_19lookback_scan_stateIS5_Lb1ELb1EEEEEvT2_T3_mT5_T4_T7_jPT6_SO_bb.kd
    .uniform_work_group_size: 1
    .uses_dynamic_stack: false
    .vgpr_count:     0
    .vgpr_spill_count: 0
    .wavefront_size: 32
    .workgroup_processor_mode: 1
  - .args:
      - .offset:         0
        .size:           16
        .value_kind:     by_value
      - .address_space:  global
        .offset:         16
        .size:           8
        .value_kind:     global_buffer
      - .offset:         24
        .size:           8
        .value_kind:     by_value
      - .address_space:  global
        .offset:         32
        .size:           8
        .value_kind:     global_buffer
      - .offset:         40
        .size:           1
        .value_kind:     by_value
      - .address_space:  global
        .offset:         48
        .size:           8
        .value_kind:     global_buffer
      - .offset:         56
        .size:           4
        .value_kind:     by_value
      - .address_space:  global
        .offset:         64
        .size:           8
        .value_kind:     global_buffer
      - .address_space:  global
        .offset:         72
        .size:           8
        .value_kind:     global_buffer
      - .offset:         80
        .size:           1
        .value_kind:     by_value
      - .offset:         81
        .size:           1
        .value_kind:     by_value
    .group_segment_fixed_size: 2816
    .kernarg_segment_align: 8
    .kernarg_segment_size: 84
    .language:       OpenCL C
    .language_version:
      - 2
      - 0
    .max_flat_workgroup_size: 64
    .name:           _ZN7rocprim6detail20lookback_scan_kernelILNS0_25lookback_scan_determinismE0ELb1ENS0_19wrapped_scan_configINS_14default_configE6__halfEEN6hipcub22TransformInputIteratorIS5_NS7_6CastOpIS5_EEPS5_lEESB_NS7_3MaxENS_12future_valueIS5_SB_EES5_NS0_19lookback_scan_stateIS5_Lb0ELb1EEEEEvT2_T3_mT5_T4_T7_jPT6_SO_bb
    .private_segment_fixed_size: 0
    .sgpr_count:     25
    .sgpr_spill_count: 0
    .symbol:         _ZN7rocprim6detail20lookback_scan_kernelILNS0_25lookback_scan_determinismE0ELb1ENS0_19wrapped_scan_configINS_14default_configE6__halfEEN6hipcub22TransformInputIteratorIS5_NS7_6CastOpIS5_EEPS5_lEESB_NS7_3MaxENS_12future_valueIS5_SB_EES5_NS0_19lookback_scan_stateIS5_Lb0ELb1EEEEEvT2_T3_mT5_T4_T7_jPT6_SO_bb.kd
    .uniform_work_group_size: 1
    .uses_dynamic_stack: false
    .vgpr_count:     51
    .vgpr_spill_count: 0
    .wavefront_size: 32
    .workgroup_processor_mode: 1
  - .args:
      - .offset:         0
        .size:           16
        .value_kind:     by_value
      - .offset:         16
        .size:           8
        .value_kind:     by_value
      - .address_space:  global
        .offset:         24
        .size:           8
        .value_kind:     global_buffer
      - .address_space:  global
        .offset:         32
        .size:           8
        .value_kind:     global_buffer
      - .offset:         40
        .size:           1
        .value_kind:     by_value
    .group_segment_fixed_size: 2816
    .kernarg_segment_align: 8
    .kernarg_segment_size: 44
    .language:       OpenCL C
    .language_version:
      - 2
      - 0
    .max_flat_workgroup_size: 64
    .name:           _ZN7rocprim6detail18single_scan_kernelILb1ENS0_19wrapped_scan_configINS_14default_configE6__halfEEN6hipcub22TransformInputIteratorIS4_NS6_6CastOpIS4_EEPS4_lEESA_NS6_3MaxENS_12future_valueIS4_SA_EES4_EEvT1_mT4_T2_T3_
    .private_segment_fixed_size: 0
    .sgpr_count:     30
    .sgpr_spill_count: 0
    .symbol:         _ZN7rocprim6detail18single_scan_kernelILb1ENS0_19wrapped_scan_configINS_14default_configE6__halfEEN6hipcub22TransformInputIteratorIS4_NS6_6CastOpIS4_EEPS4_lEESA_NS6_3MaxENS_12future_valueIS4_SA_EES4_EEvT1_mT4_T2_T3_.kd
    .uniform_work_group_size: 1
    .uses_dynamic_stack: false
    .vgpr_count:     34
    .vgpr_spill_count: 0
    .wavefront_size: 32
    .workgroup_processor_mode: 1
  - .args:
      - .address_space:  global
        .offset:         0
        .size:           8
        .value_kind:     global_buffer
      - .offset:         8
        .size:           2
        .value_kind:     by_value
    .group_segment_fixed_size: 0
    .kernarg_segment_align: 8
    .kernarg_segment_size: 12
    .language:       OpenCL C
    .language_version:
      - 2
      - 0
    .max_flat_workgroup_size: 1024
    .name:           _ZL18fill_initial_valueI6__halfEvPT_S1_
    .private_segment_fixed_size: 0
    .sgpr_count:     3
    .sgpr_spill_count: 0
    .symbol:         _ZL18fill_initial_valueI6__halfEvPT_S1_.kd
    .uniform_work_group_size: 1
    .uses_dynamic_stack: false
    .vgpr_count:     2
    .vgpr_spill_count: 0
    .wavefront_size: 32
    .workgroup_processor_mode: 1
  - .args:
      - .offset:         0
        .size:           16
        .value_kind:     by_value
      - .address_space:  global
        .offset:         16
        .size:           8
        .value_kind:     global_buffer
      - .offset:         24
        .size:           8
        .value_kind:     by_value
      - .address_space:  global
        .offset:         32
        .size:           8
        .value_kind:     global_buffer
      - .offset:         40
        .size:           1
        .value_kind:     by_value
      - .address_space:  global
        .offset:         48
        .size:           8
        .value_kind:     global_buffer
      - .offset:         56
        .size:           4
        .value_kind:     by_value
      - .address_space:  global
        .offset:         64
        .size:           8
        .value_kind:     global_buffer
      - .address_space:  global
        .offset:         72
        .size:           8
        .value_kind:     global_buffer
      - .offset:         80
        .size:           1
        .value_kind:     by_value
      - .offset:         81
        .size:           1
        .value_kind:     by_value
    .group_segment_fixed_size: 0
    .kernarg_segment_align: 8
    .kernarg_segment_size: 84
    .language:       OpenCL C
    .language_version:
      - 2
      - 0
    .max_flat_workgroup_size: 64
    .name:           _ZN7rocprim6detail20lookback_scan_kernelILNS0_25lookback_scan_determinismE0ELb1ENS0_19wrapped_scan_configINS_14default_configE12hip_bfloat16EEN6hipcub22TransformInputIteratorIS5_NS7_6CastOpIS5_EEPS5_lEESB_NS7_3MaxENS_12future_valueIS5_SB_EES5_NS0_19lookback_scan_stateIS5_Lb1ELb1EEEEEvT2_T3_mT5_T4_T7_jPT6_SO_bb
    .private_segment_fixed_size: 0
    .sgpr_count:     0
    .sgpr_spill_count: 0
    .symbol:         _ZN7rocprim6detail20lookback_scan_kernelILNS0_25lookback_scan_determinismE0ELb1ENS0_19wrapped_scan_configINS_14default_configE12hip_bfloat16EEN6hipcub22TransformInputIteratorIS5_NS7_6CastOpIS5_EEPS5_lEESB_NS7_3MaxENS_12future_valueIS5_SB_EES5_NS0_19lookback_scan_stateIS5_Lb1ELb1EEEEEvT2_T3_mT5_T4_T7_jPT6_SO_bb.kd
    .uniform_work_group_size: 1
    .uses_dynamic_stack: false
    .vgpr_count:     0
    .vgpr_spill_count: 0
    .wavefront_size: 32
    .workgroup_processor_mode: 1
  - .args:
      - .offset:         0
        .size:           16
        .value_kind:     by_value
      - .address_space:  global
        .offset:         16
        .size:           8
        .value_kind:     global_buffer
      - .offset:         24
        .size:           8
        .value_kind:     by_value
      - .address_space:  global
        .offset:         32
        .size:           8
        .value_kind:     global_buffer
      - .offset:         40
        .size:           1
        .value_kind:     by_value
      - .address_space:  global
        .offset:         48
        .size:           8
        .value_kind:     global_buffer
      - .offset:         56
        .size:           4
        .value_kind:     by_value
      - .address_space:  global
        .offset:         64
        .size:           8
        .value_kind:     global_buffer
      - .address_space:  global
        .offset:         72
        .size:           8
        .value_kind:     global_buffer
      - .offset:         80
        .size:           1
        .value_kind:     by_value
      - .offset:         81
        .size:           1
        .value_kind:     by_value
    .group_segment_fixed_size: 2816
    .kernarg_segment_align: 8
    .kernarg_segment_size: 84
    .language:       OpenCL C
    .language_version:
      - 2
      - 0
    .max_flat_workgroup_size: 64
    .name:           _ZN7rocprim6detail20lookback_scan_kernelILNS0_25lookback_scan_determinismE0ELb1ENS0_19wrapped_scan_configINS_14default_configE12hip_bfloat16EEN6hipcub22TransformInputIteratorIS5_NS7_6CastOpIS5_EEPS5_lEESB_NS7_3MaxENS_12future_valueIS5_SB_EES5_NS0_19lookback_scan_stateIS5_Lb0ELb1EEEEEvT2_T3_mT5_T4_T7_jPT6_SO_bb
    .private_segment_fixed_size: 0
    .sgpr_count:     23
    .sgpr_spill_count: 0
    .symbol:         _ZN7rocprim6detail20lookback_scan_kernelILNS0_25lookback_scan_determinismE0ELb1ENS0_19wrapped_scan_configINS_14default_configE12hip_bfloat16EEN6hipcub22TransformInputIteratorIS5_NS7_6CastOpIS5_EEPS5_lEESB_NS7_3MaxENS_12future_valueIS5_SB_EES5_NS0_19lookback_scan_stateIS5_Lb0ELb1EEEEEvT2_T3_mT5_T4_T7_jPT6_SO_bb.kd
    .uniform_work_group_size: 1
    .uses_dynamic_stack: false
    .vgpr_count:     77
    .vgpr_spill_count: 0
    .wavefront_size: 32
    .workgroup_processor_mode: 1
  - .args:
      - .offset:         0
        .size:           16
        .value_kind:     by_value
      - .offset:         16
        .size:           8
        .value_kind:     by_value
      - .address_space:  global
        .offset:         24
        .size:           8
        .value_kind:     global_buffer
      - .address_space:  global
        .offset:         32
        .size:           8
        .value_kind:     global_buffer
      - .offset:         40
        .size:           1
        .value_kind:     by_value
    .group_segment_fixed_size: 2816
    .kernarg_segment_align: 8
    .kernarg_segment_size: 44
    .language:       OpenCL C
    .language_version:
      - 2
      - 0
    .max_flat_workgroup_size: 64
    .name:           _ZN7rocprim6detail18single_scan_kernelILb1ENS0_19wrapped_scan_configINS_14default_configE12hip_bfloat16EEN6hipcub22TransformInputIteratorIS4_NS6_6CastOpIS4_EEPS4_lEESA_NS6_3MaxENS_12future_valueIS4_SA_EES4_EEvT1_mT4_T2_T3_
    .private_segment_fixed_size: 0
    .sgpr_count:     30
    .sgpr_spill_count: 0
    .symbol:         _ZN7rocprim6detail18single_scan_kernelILb1ENS0_19wrapped_scan_configINS_14default_configE12hip_bfloat16EEN6hipcub22TransformInputIteratorIS4_NS6_6CastOpIS4_EEPS4_lEESA_NS6_3MaxENS_12future_valueIS4_SA_EES4_EEvT1_mT4_T2_T3_.kd
    .uniform_work_group_size: 1
    .uses_dynamic_stack: false
    .vgpr_count:     60
    .vgpr_spill_count: 0
    .wavefront_size: 32
    .workgroup_processor_mode: 1
  - .args:
      - .address_space:  global
        .offset:         0
        .size:           8
        .value_kind:     global_buffer
      - .offset:         8
        .size:           2
        .value_kind:     by_value
    .group_segment_fixed_size: 0
    .kernarg_segment_align: 8
    .kernarg_segment_size: 12
    .language:       OpenCL C
    .language_version:
      - 2
      - 0
    .max_flat_workgroup_size: 1024
    .name:           _ZL18fill_initial_valueI12hip_bfloat16EvPT_S1_
    .private_segment_fixed_size: 0
    .sgpr_count:     3
    .sgpr_spill_count: 0
    .symbol:         _ZL18fill_initial_valueI12hip_bfloat16EvPT_S1_.kd
    .uniform_work_group_size: 1
    .uses_dynamic_stack: false
    .vgpr_count:     2
    .vgpr_spill_count: 0
    .wavefront_size: 32
    .workgroup_processor_mode: 1
  - .args:
      - .address_space:  global
        .offset:         0
        .size:           8
        .value_kind:     global_buffer
      - .offset:         8
        .size:           4
        .value_kind:     by_value
      - .offset:         12
        .size:           4
        .value_kind:     by_value
      - .address_space:  global
        .offset:         16
        .size:           8
        .value_kind:     global_buffer
      - .offset:         24
        .size:           4
        .value_kind:     hidden_block_count_x
      - .offset:         28
        .size:           4
        .value_kind:     hidden_block_count_y
      - .offset:         32
        .size:           4
        .value_kind:     hidden_block_count_z
      - .offset:         36
        .size:           2
        .value_kind:     hidden_group_size_x
      - .offset:         38
        .size:           2
        .value_kind:     hidden_group_size_y
      - .offset:         40
        .size:           2
        .value_kind:     hidden_group_size_z
      - .offset:         42
        .size:           2
        .value_kind:     hidden_remainder_x
      - .offset:         44
        .size:           2
        .value_kind:     hidden_remainder_y
      - .offset:         46
        .size:           2
        .value_kind:     hidden_remainder_z
      - .offset:         64
        .size:           8
        .value_kind:     hidden_global_offset_x
      - .offset:         72
        .size:           8
        .value_kind:     hidden_global_offset_y
      - .offset:         80
        .size:           8
        .value_kind:     hidden_global_offset_z
      - .offset:         88
        .size:           2
        .value_kind:     hidden_grid_dims
    .group_segment_fixed_size: 0
    .kernarg_segment_align: 8
    .kernarg_segment_size: 280
    .language:       OpenCL C
    .language_version:
      - 2
      - 0
    .max_flat_workgroup_size: 256
    .name:           _ZN7rocprim6detail31init_lookback_scan_state_kernelINS0_19lookback_scan_stateIdLb1ELb1EEEEEvT_jjPNS4_10value_typeE
    .private_segment_fixed_size: 0
    .sgpr_count:     18
    .sgpr_spill_count: 0
    .symbol:         _ZN7rocprim6detail31init_lookback_scan_state_kernelINS0_19lookback_scan_stateIdLb1ELb1EEEEEvT_jjPNS4_10value_typeE.kd
    .uniform_work_group_size: 1
    .uses_dynamic_stack: false
    .vgpr_count:     9
    .vgpr_spill_count: 0
    .wavefront_size: 32
    .workgroup_processor_mode: 1
  - .args:
      - .address_space:  global
        .offset:         0
        .size:           8
        .value_kind:     global_buffer
      - .offset:         8
        .size:           4
        .value_kind:     by_value
      - .offset:         12
        .size:           4
        .value_kind:     by_value
      - .address_space:  global
        .offset:         16
        .size:           8
        .value_kind:     global_buffer
      - .offset:         24
        .size:           4
        .value_kind:     hidden_block_count_x
      - .offset:         28
        .size:           4
        .value_kind:     hidden_block_count_y
      - .offset:         32
        .size:           4
        .value_kind:     hidden_block_count_z
      - .offset:         36
        .size:           2
        .value_kind:     hidden_group_size_x
      - .offset:         38
        .size:           2
        .value_kind:     hidden_group_size_y
      - .offset:         40
        .size:           2
        .value_kind:     hidden_group_size_z
      - .offset:         42
        .size:           2
        .value_kind:     hidden_remainder_x
      - .offset:         44
        .size:           2
        .value_kind:     hidden_remainder_y
      - .offset:         46
        .size:           2
        .value_kind:     hidden_remainder_z
      - .offset:         64
        .size:           8
        .value_kind:     hidden_global_offset_x
      - .offset:         72
        .size:           8
        .value_kind:     hidden_global_offset_y
      - .offset:         80
        .size:           8
        .value_kind:     hidden_global_offset_z
      - .offset:         88
        .size:           2
        .value_kind:     hidden_grid_dims
    .group_segment_fixed_size: 0
    .kernarg_segment_align: 8
    .kernarg_segment_size: 280
    .language:       OpenCL C
    .language_version:
      - 2
      - 0
    .max_flat_workgroup_size: 256
    .name:           _ZN7rocprim6detail31init_lookback_scan_state_kernelINS0_19lookback_scan_stateIdLb0ELb1EEEEEvT_jjPNS4_10value_typeE
    .private_segment_fixed_size: 0
    .sgpr_count:     18
    .sgpr_spill_count: 0
    .symbol:         _ZN7rocprim6detail31init_lookback_scan_state_kernelINS0_19lookback_scan_stateIdLb0ELb1EEEEEvT_jjPNS4_10value_typeE.kd
    .uniform_work_group_size: 1
    .uses_dynamic_stack: false
    .vgpr_count:     9
    .vgpr_spill_count: 0
    .wavefront_size: 32
    .workgroup_processor_mode: 1
  - .args:
      - .offset:         0
        .size:           16
        .value_kind:     by_value
      - .address_space:  global
        .offset:         16
        .size:           8
        .value_kind:     global_buffer
      - .offset:         24
        .size:           8
        .value_kind:     by_value
      - .address_space:  global
        .offset:         32
        .size:           8
        .value_kind:     global_buffer
      - .offset:         40
        .size:           1
        .value_kind:     by_value
      - .address_space:  global
        .offset:         48
        .size:           8
        .value_kind:     global_buffer
      - .offset:         56
        .size:           4
        .value_kind:     by_value
      - .address_space:  global
        .offset:         64
        .size:           8
        .value_kind:     global_buffer
      - .address_space:  global
        .offset:         72
        .size:           8
        .value_kind:     global_buffer
      - .offset:         80
        .size:           1
        .value_kind:     by_value
      - .offset:         81
        .size:           1
        .value_kind:     by_value
    .group_segment_fixed_size: 0
    .kernarg_segment_align: 8
    .kernarg_segment_size: 84
    .language:       OpenCL C
    .language_version:
      - 2
      - 0
    .max_flat_workgroup_size: 256
    .name:           _ZN7rocprim6detail20lookback_scan_kernelILNS0_25lookback_scan_determinismE0ELb1ENS0_19wrapped_scan_configINS_14default_configEdEEN6hipcub22TransformInputIteratorIiNS6_6CastOpIiEEPilEEPdNS6_3SumENS_12future_valueIdSC_EEdNS0_19lookback_scan_stateIdLb1ELb1EEEEEvT2_T3_mT5_T4_T7_jPT6_SO_bb
    .private_segment_fixed_size: 0
    .sgpr_count:     0
    .sgpr_spill_count: 0
    .symbol:         _ZN7rocprim6detail20lookback_scan_kernelILNS0_25lookback_scan_determinismE0ELb1ENS0_19wrapped_scan_configINS_14default_configEdEEN6hipcub22TransformInputIteratorIiNS6_6CastOpIiEEPilEEPdNS6_3SumENS_12future_valueIdSC_EEdNS0_19lookback_scan_stateIdLb1ELb1EEEEEvT2_T3_mT5_T4_T7_jPT6_SO_bb.kd
    .uniform_work_group_size: 1
    .uses_dynamic_stack: false
    .vgpr_count:     0
    .vgpr_spill_count: 0
    .wavefront_size: 32
    .workgroup_processor_mode: 1
  - .args:
      - .offset:         0
        .size:           16
        .value_kind:     by_value
      - .address_space:  global
        .offset:         16
        .size:           8
        .value_kind:     global_buffer
      - .offset:         24
        .size:           8
        .value_kind:     by_value
      - .address_space:  global
        .offset:         32
        .size:           8
        .value_kind:     global_buffer
      - .offset:         40
        .size:           1
        .value_kind:     by_value
      - .address_space:  global
        .offset:         48
        .size:           8
        .value_kind:     global_buffer
      - .offset:         56
        .size:           4
        .value_kind:     by_value
      - .address_space:  global
        .offset:         64
        .size:           8
        .value_kind:     global_buffer
      - .address_space:  global
        .offset:         72
        .size:           8
        .value_kind:     global_buffer
      - .offset:         80
        .size:           1
        .value_kind:     by_value
      - .offset:         81
        .size:           1
        .value_kind:     by_value
    .group_segment_fixed_size: 33792
    .kernarg_segment_align: 8
    .kernarg_segment_size: 84
    .language:       OpenCL C
    .language_version:
      - 2
      - 0
    .max_flat_workgroup_size: 256
    .name:           _ZN7rocprim6detail20lookback_scan_kernelILNS0_25lookback_scan_determinismE0ELb1ENS0_19wrapped_scan_configINS_14default_configEdEEN6hipcub22TransformInputIteratorIiNS6_6CastOpIiEEPilEEPdNS6_3SumENS_12future_valueIdSC_EEdNS0_19lookback_scan_stateIdLb0ELb1EEEEEvT2_T3_mT5_T4_T7_jPT6_SO_bb
    .private_segment_fixed_size: 0
    .sgpr_count:     24
    .sgpr_spill_count: 0
    .symbol:         _ZN7rocprim6detail20lookback_scan_kernelILNS0_25lookback_scan_determinismE0ELb1ENS0_19wrapped_scan_configINS_14default_configEdEEN6hipcub22TransformInputIteratorIiNS6_6CastOpIiEEPilEEPdNS6_3SumENS_12future_valueIdSC_EEdNS0_19lookback_scan_stateIdLb0ELb1EEEEEvT2_T3_mT5_T4_T7_jPT6_SO_bb.kd
    .uniform_work_group_size: 1
    .uses_dynamic_stack: false
    .vgpr_count:     96
    .vgpr_spill_count: 0
    .wavefront_size: 32
    .workgroup_processor_mode: 1
  - .args:
      - .address_space:  global
        .offset:         0
        .size:           8
        .value_kind:     global_buffer
      - .offset:         8
        .size:           8
        .value_kind:     by_value
      - .address_space:  global
        .offset:         16
        .size:           8
        .value_kind:     global_buffer
      - .offset:         24
        .size:           1
        .value_kind:     by_value
      - .offset:         32
        .size:           4
        .value_kind:     hidden_block_count_x
      - .offset:         36
        .size:           4
        .value_kind:     hidden_block_count_y
      - .offset:         40
        .size:           4
        .value_kind:     hidden_block_count_z
      - .offset:         44
        .size:           2
        .value_kind:     hidden_group_size_x
      - .offset:         46
        .size:           2
        .value_kind:     hidden_group_size_y
      - .offset:         48
        .size:           2
        .value_kind:     hidden_group_size_z
      - .offset:         50
        .size:           2
        .value_kind:     hidden_remainder_x
      - .offset:         52
        .size:           2
        .value_kind:     hidden_remainder_y
      - .offset:         54
        .size:           2
        .value_kind:     hidden_remainder_z
      - .offset:         72
        .size:           8
        .value_kind:     hidden_global_offset_x
      - .offset:         80
        .size:           8
        .value_kind:     hidden_global_offset_y
      - .offset:         88
        .size:           8
        .value_kind:     hidden_global_offset_z
      - .offset:         96
        .size:           2
        .value_kind:     hidden_grid_dims
    .group_segment_fixed_size: 0
    .kernarg_segment_align: 8
    .kernarg_segment_size: 288
    .language:       OpenCL C
    .language_version:
      - 2
      - 0
    .max_flat_workgroup_size: 512
    .name:           _ZN7rocprim6detail16transform_kernelINS0_24wrapped_transform_configINS_14default_configEdEEdPdS5_NS_8identityIdEEEEvT1_mT2_T3_
    .private_segment_fixed_size: 0
    .sgpr_count:     18
    .sgpr_spill_count: 0
    .symbol:         _ZN7rocprim6detail16transform_kernelINS0_24wrapped_transform_configINS_14default_configEdEEdPdS5_NS_8identityIdEEEEvT1_mT2_T3_.kd
    .uniform_work_group_size: 1
    .uses_dynamic_stack: false
    .vgpr_count:     5
    .vgpr_spill_count: 0
    .wavefront_size: 32
    .workgroup_processor_mode: 1
  - .args:
      - .offset:         0
        .size:           16
        .value_kind:     by_value
      - .offset:         16
        .size:           8
        .value_kind:     by_value
      - .address_space:  global
        .offset:         24
        .size:           8
        .value_kind:     global_buffer
      - .address_space:  global
        .offset:         32
        .size:           8
        .value_kind:     global_buffer
      - .offset:         40
        .size:           1
        .value_kind:     by_value
    .group_segment_fixed_size: 33792
    .kernarg_segment_align: 8
    .kernarg_segment_size: 44
    .language:       OpenCL C
    .language_version:
      - 2
      - 0
    .max_flat_workgroup_size: 256
    .name:           _ZN7rocprim6detail18single_scan_kernelILb1ENS0_19wrapped_scan_configINS_14default_configEdEEN6hipcub22TransformInputIteratorIiNS5_6CastOpIiEEPilEEPdNS5_3SumENS_12future_valueIdSB_EEdEEvT1_mT4_T2_T3_
    .private_segment_fixed_size: 0
    .sgpr_count:     26
    .sgpr_spill_count: 0
    .symbol:         _ZN7rocprim6detail18single_scan_kernelILb1ENS0_19wrapped_scan_configINS_14default_configEdEEN6hipcub22TransformInputIteratorIiNS5_6CastOpIiEEPilEEPdNS5_3SumENS_12future_valueIdSB_EEdEEvT1_mT4_T2_T3_.kd
    .uniform_work_group_size: 1
    .uses_dynamic_stack: false
    .vgpr_count:     58
    .vgpr_spill_count: 0
    .wavefront_size: 32
    .workgroup_processor_mode: 1
  - .args:
      - .address_space:  global
        .offset:         0
        .size:           8
        .value_kind:     global_buffer
      - .offset:         8
        .size:           8
        .value_kind:     by_value
    .group_segment_fixed_size: 0
    .kernarg_segment_align: 8
    .kernarg_segment_size: 16
    .language:       OpenCL C
    .language_version:
      - 2
      - 0
    .max_flat_workgroup_size: 1024
    .name:           _ZL18fill_initial_valueIdEvPT_S0_
    .private_segment_fixed_size: 0
    .sgpr_count:     4
    .sgpr_spill_count: 0
    .symbol:         _ZL18fill_initial_valueIdEvPT_S0_.kd
    .uniform_work_group_size: 1
    .uses_dynamic_stack: false
    .vgpr_count:     3
    .vgpr_spill_count: 0
    .wavefront_size: 32
    .workgroup_processor_mode: 1
  - .args:
      - .address_space:  global
        .offset:         0
        .size:           8
        .value_kind:     global_buffer
      - .offset:         8
        .size:           4
        .value_kind:     by_value
      - .offset:         12
        .size:           4
        .value_kind:     by_value
      - .address_space:  global
        .offset:         16
        .size:           8
        .value_kind:     global_buffer
      - .offset:         24
        .size:           4
        .value_kind:     hidden_block_count_x
      - .offset:         28
        .size:           4
        .value_kind:     hidden_block_count_y
      - .offset:         32
        .size:           4
        .value_kind:     hidden_block_count_z
      - .offset:         36
        .size:           2
        .value_kind:     hidden_group_size_x
      - .offset:         38
        .size:           2
        .value_kind:     hidden_group_size_y
      - .offset:         40
        .size:           2
        .value_kind:     hidden_group_size_z
      - .offset:         42
        .size:           2
        .value_kind:     hidden_remainder_x
      - .offset:         44
        .size:           2
        .value_kind:     hidden_remainder_y
      - .offset:         46
        .size:           2
        .value_kind:     hidden_remainder_z
      - .offset:         64
        .size:           8
        .value_kind:     hidden_global_offset_x
      - .offset:         72
        .size:           8
        .value_kind:     hidden_global_offset_y
      - .offset:         80
        .size:           8
        .value_kind:     hidden_global_offset_z
      - .offset:         88
        .size:           2
        .value_kind:     hidden_grid_dims
    .group_segment_fixed_size: 0
    .kernarg_segment_align: 8
    .kernarg_segment_size: 280
    .language:       OpenCL C
    .language_version:
      - 2
      - 0
    .max_flat_workgroup_size: 256
    .name:           _ZN7rocprim6detail31init_lookback_scan_state_kernelINS0_19lookback_scan_stateIfLb1ELb1EEEEEvT_jjPNS4_10value_typeE
    .private_segment_fixed_size: 0
    .sgpr_count:     18
    .sgpr_spill_count: 0
    .symbol:         _ZN7rocprim6detail31init_lookback_scan_state_kernelINS0_19lookback_scan_stateIfLb1ELb1EEEEEvT_jjPNS4_10value_typeE.kd
    .uniform_work_group_size: 1
    .uses_dynamic_stack: false
    .vgpr_count:     6
    .vgpr_spill_count: 0
    .wavefront_size: 32
    .workgroup_processor_mode: 1
  - .args:
      - .address_space:  global
        .offset:         0
        .size:           8
        .value_kind:     global_buffer
      - .offset:         8
        .size:           4
        .value_kind:     by_value
      - .offset:         12
        .size:           4
        .value_kind:     by_value
      - .address_space:  global
        .offset:         16
        .size:           8
        .value_kind:     global_buffer
      - .offset:         24
        .size:           4
        .value_kind:     hidden_block_count_x
      - .offset:         28
        .size:           4
        .value_kind:     hidden_block_count_y
      - .offset:         32
        .size:           4
        .value_kind:     hidden_block_count_z
      - .offset:         36
        .size:           2
        .value_kind:     hidden_group_size_x
      - .offset:         38
        .size:           2
        .value_kind:     hidden_group_size_y
      - .offset:         40
        .size:           2
        .value_kind:     hidden_group_size_z
      - .offset:         42
        .size:           2
        .value_kind:     hidden_remainder_x
      - .offset:         44
        .size:           2
        .value_kind:     hidden_remainder_y
      - .offset:         46
        .size:           2
        .value_kind:     hidden_remainder_z
      - .offset:         64
        .size:           8
        .value_kind:     hidden_global_offset_x
      - .offset:         72
        .size:           8
        .value_kind:     hidden_global_offset_y
      - .offset:         80
        .size:           8
        .value_kind:     hidden_global_offset_z
      - .offset:         88
        .size:           2
        .value_kind:     hidden_grid_dims
    .group_segment_fixed_size: 0
    .kernarg_segment_align: 8
    .kernarg_segment_size: 280
    .language:       OpenCL C
    .language_version:
      - 2
      - 0
    .max_flat_workgroup_size: 256
    .name:           _ZN7rocprim6detail31init_lookback_scan_state_kernelINS0_19lookback_scan_stateIfLb0ELb1EEEEEvT_jjPNS4_10value_typeE
    .private_segment_fixed_size: 0
    .sgpr_count:     18
    .sgpr_spill_count: 0
    .symbol:         _ZN7rocprim6detail31init_lookback_scan_state_kernelINS0_19lookback_scan_stateIfLb0ELb1EEEEEvT_jjPNS4_10value_typeE.kd
    .uniform_work_group_size: 1
    .uses_dynamic_stack: false
    .vgpr_count:     6
    .vgpr_spill_count: 0
    .wavefront_size: 32
    .workgroup_processor_mode: 1
  - .args:
      - .offset:         0
        .size:           16
        .value_kind:     by_value
      - .address_space:  global
        .offset:         16
        .size:           8
        .value_kind:     global_buffer
      - .offset:         24
        .size:           8
        .value_kind:     by_value
      - .address_space:  global
        .offset:         32
        .size:           8
        .value_kind:     global_buffer
      - .offset:         40
        .size:           1
        .value_kind:     by_value
      - .address_space:  global
        .offset:         48
        .size:           8
        .value_kind:     global_buffer
      - .offset:         56
        .size:           4
        .value_kind:     by_value
      - .address_space:  global
        .offset:         64
        .size:           8
        .value_kind:     global_buffer
      - .address_space:  global
        .offset:         72
        .size:           8
        .value_kind:     global_buffer
      - .offset:         80
        .size:           1
        .value_kind:     by_value
      - .offset:         81
        .size:           1
        .value_kind:     by_value
    .group_segment_fixed_size: 0
    .kernarg_segment_align: 8
    .kernarg_segment_size: 84
    .language:       OpenCL C
    .language_version:
      - 2
      - 0
    .max_flat_workgroup_size: 64
    .name:           _ZN7rocprim6detail20lookback_scan_kernelILNS0_25lookback_scan_determinismE0ELb1ENS0_19wrapped_scan_configINS_14default_configEfEEN6hipcub22TransformInputIteratorIsNS6_6CastOpIsEEPslEEPfNS6_3MaxENS_12future_valueIfSC_EEfNS0_19lookback_scan_stateIfLb1ELb1EEEEEvT2_T3_mT5_T4_T7_jPT6_SO_bb
    .private_segment_fixed_size: 0
    .sgpr_count:     0
    .sgpr_spill_count: 0
    .symbol:         _ZN7rocprim6detail20lookback_scan_kernelILNS0_25lookback_scan_determinismE0ELb1ENS0_19wrapped_scan_configINS_14default_configEfEEN6hipcub22TransformInputIteratorIsNS6_6CastOpIsEEPslEEPfNS6_3MaxENS_12future_valueIfSC_EEfNS0_19lookback_scan_stateIfLb1ELb1EEEEEvT2_T3_mT5_T4_T7_jPT6_SO_bb.kd
    .uniform_work_group_size: 1
    .uses_dynamic_stack: false
    .vgpr_count:     0
    .vgpr_spill_count: 0
    .wavefront_size: 32
    .workgroup_processor_mode: 1
  - .args:
      - .offset:         0
        .size:           16
        .value_kind:     by_value
      - .address_space:  global
        .offset:         16
        .size:           8
        .value_kind:     global_buffer
      - .offset:         24
        .size:           8
        .value_kind:     by_value
      - .address_space:  global
        .offset:         32
        .size:           8
        .value_kind:     global_buffer
      - .offset:         40
        .size:           1
        .value_kind:     by_value
      - .address_space:  global
        .offset:         48
        .size:           8
        .value_kind:     global_buffer
      - .offset:         56
        .size:           4
        .value_kind:     by_value
      - .address_space:  global
        .offset:         64
        .size:           8
        .value_kind:     global_buffer
      - .address_space:  global
        .offset:         72
        .size:           8
        .value_kind:     global_buffer
      - .offset:         80
        .size:           1
        .value_kind:     by_value
      - .offset:         81
        .size:           1
        .value_kind:     by_value
    .group_segment_fixed_size: 4224
    .kernarg_segment_align: 8
    .kernarg_segment_size: 84
    .language:       OpenCL C
    .language_version:
      - 2
      - 0
    .max_flat_workgroup_size: 64
    .name:           _ZN7rocprim6detail20lookback_scan_kernelILNS0_25lookback_scan_determinismE0ELb1ENS0_19wrapped_scan_configINS_14default_configEfEEN6hipcub22TransformInputIteratorIsNS6_6CastOpIsEEPslEEPfNS6_3MaxENS_12future_valueIfSC_EEfNS0_19lookback_scan_stateIfLb0ELb1EEEEEvT2_T3_mT5_T4_T7_jPT6_SO_bb
    .private_segment_fixed_size: 0
    .sgpr_count:     25
    .sgpr_spill_count: 0
    .symbol:         _ZN7rocprim6detail20lookback_scan_kernelILNS0_25lookback_scan_determinismE0ELb1ENS0_19wrapped_scan_configINS_14default_configEfEEN6hipcub22TransformInputIteratorIsNS6_6CastOpIsEEPslEEPfNS6_3MaxENS_12future_valueIfSC_EEfNS0_19lookback_scan_stateIfLb0ELb1EEEEEvT2_T3_mT5_T4_T7_jPT6_SO_bb.kd
    .uniform_work_group_size: 1
    .uses_dynamic_stack: false
    .vgpr_count:     59
    .vgpr_spill_count: 0
    .wavefront_size: 32
    .workgroup_processor_mode: 1
  - .args:
      - .address_space:  global
        .offset:         0
        .size:           8
        .value_kind:     global_buffer
      - .offset:         8
        .size:           8
        .value_kind:     by_value
      - .address_space:  global
        .offset:         16
        .size:           8
        .value_kind:     global_buffer
      - .offset:         24
        .size:           1
        .value_kind:     by_value
      - .offset:         32
        .size:           4
        .value_kind:     hidden_block_count_x
      - .offset:         36
        .size:           4
        .value_kind:     hidden_block_count_y
      - .offset:         40
        .size:           4
        .value_kind:     hidden_block_count_z
      - .offset:         44
        .size:           2
        .value_kind:     hidden_group_size_x
      - .offset:         46
        .size:           2
        .value_kind:     hidden_group_size_y
      - .offset:         48
        .size:           2
        .value_kind:     hidden_group_size_z
      - .offset:         50
        .size:           2
        .value_kind:     hidden_remainder_x
      - .offset:         52
        .size:           2
        .value_kind:     hidden_remainder_y
      - .offset:         54
        .size:           2
        .value_kind:     hidden_remainder_z
      - .offset:         72
        .size:           8
        .value_kind:     hidden_global_offset_x
      - .offset:         80
        .size:           8
        .value_kind:     hidden_global_offset_y
      - .offset:         88
        .size:           8
        .value_kind:     hidden_global_offset_z
      - .offset:         96
        .size:           2
        .value_kind:     hidden_grid_dims
    .group_segment_fixed_size: 0
    .kernarg_segment_align: 8
    .kernarg_segment_size: 288
    .language:       OpenCL C
    .language_version:
      - 2
      - 0
    .max_flat_workgroup_size: 1024
    .name:           _ZN7rocprim6detail16transform_kernelINS0_24wrapped_transform_configINS_14default_configEfEEfPfS5_NS_8identityIfEEEEvT1_mT2_T3_
    .private_segment_fixed_size: 0
    .sgpr_count:     18
    .sgpr_spill_count: 0
    .symbol:         _ZN7rocprim6detail16transform_kernelINS0_24wrapped_transform_configINS_14default_configEfEEfPfS5_NS_8identityIfEEEEvT1_mT2_T3_.kd
    .uniform_work_group_size: 1
    .uses_dynamic_stack: false
    .vgpr_count:     3
    .vgpr_spill_count: 0
    .wavefront_size: 32
    .workgroup_processor_mode: 1
  - .args:
      - .offset:         0
        .size:           16
        .value_kind:     by_value
      - .offset:         16
        .size:           8
        .value_kind:     by_value
      - .address_space:  global
        .offset:         24
        .size:           8
        .value_kind:     global_buffer
      - .address_space:  global
        .offset:         32
        .size:           8
        .value_kind:     global_buffer
      - .offset:         40
        .size:           1
        .value_kind:     by_value
    .group_segment_fixed_size: 4224
    .kernarg_segment_align: 8
    .kernarg_segment_size: 44
    .language:       OpenCL C
    .language_version:
      - 2
      - 0
    .max_flat_workgroup_size: 64
    .name:           _ZN7rocprim6detail18single_scan_kernelILb1ENS0_19wrapped_scan_configINS_14default_configEfEEN6hipcub22TransformInputIteratorIsNS5_6CastOpIsEEPslEEPfNS5_3MaxENS_12future_valueIfSB_EEfEEvT1_mT4_T2_T3_
    .private_segment_fixed_size: 0
    .sgpr_count:     23
    .sgpr_spill_count: 0
    .symbol:         _ZN7rocprim6detail18single_scan_kernelILb1ENS0_19wrapped_scan_configINS_14default_configEfEEN6hipcub22TransformInputIteratorIsNS5_6CastOpIsEEPslEEPfNS5_3MaxENS_12future_valueIfSB_EEfEEvT1_mT4_T2_T3_.kd
    .uniform_work_group_size: 1
    .uses_dynamic_stack: false
    .vgpr_count:     40
    .vgpr_spill_count: 0
    .wavefront_size: 32
    .workgroup_processor_mode: 1
  - .args:
      - .address_space:  global
        .offset:         0
        .size:           8
        .value_kind:     global_buffer
      - .offset:         8
        .size:           4
        .value_kind:     by_value
    .group_segment_fixed_size: 0
    .kernarg_segment_align: 8
    .kernarg_segment_size: 12
    .language:       OpenCL C
    .language_version:
      - 2
      - 0
    .max_flat_workgroup_size: 1024
    .name:           _ZL18fill_initial_valueIfEvPT_S0_
    .private_segment_fixed_size: 0
    .sgpr_count:     3
    .sgpr_spill_count: 0
    .symbol:         _ZL18fill_initial_valueIfEvPT_S0_.kd
    .uniform_work_group_size: 1
    .uses_dynamic_stack: false
    .vgpr_count:     2
    .vgpr_spill_count: 0
    .wavefront_size: 32
    .workgroup_processor_mode: 1
  - .args:
      - .offset:         0
        .size:           16
        .value_kind:     by_value
      - .address_space:  global
        .offset:         16
        .size:           8
        .value_kind:     global_buffer
      - .offset:         24
        .size:           8
        .value_kind:     by_value
      - .address_space:  global
        .offset:         32
        .size:           8
        .value_kind:     global_buffer
      - .offset:         40
        .size:           1
        .value_kind:     by_value
      - .address_space:  global
        .offset:         48
        .size:           8
        .value_kind:     global_buffer
      - .offset:         56
        .size:           4
        .value_kind:     by_value
      - .address_space:  global
        .offset:         64
        .size:           8
        .value_kind:     global_buffer
      - .address_space:  global
        .offset:         72
        .size:           8
        .value_kind:     global_buffer
      - .offset:         80
        .size:           1
        .value_kind:     by_value
      - .offset:         81
        .size:           1
        .value_kind:     by_value
    .group_segment_fixed_size: 0
    .kernarg_segment_align: 8
    .kernarg_segment_size: 84
    .language:       OpenCL C
    .language_version:
      - 2
      - 0
    .max_flat_workgroup_size: 256
    .name:           _ZN7rocprim6detail20lookback_scan_kernelILNS0_25lookback_scan_determinismE0ELb1ENS0_19wrapped_scan_configINS_14default_configEmEEN6hipcub22TransformInputIteratorImNS6_6CastOpImEEPmlEESA_NS6_3SumENS_12future_valueImSA_EEmNS0_19lookback_scan_stateImLb1ELb1EEEEEvT2_T3_mT5_T4_T7_jPT6_SN_bb
    .private_segment_fixed_size: 0
    .sgpr_count:     0
    .sgpr_spill_count: 0
    .symbol:         _ZN7rocprim6detail20lookback_scan_kernelILNS0_25lookback_scan_determinismE0ELb1ENS0_19wrapped_scan_configINS_14default_configEmEEN6hipcub22TransformInputIteratorImNS6_6CastOpImEEPmlEESA_NS6_3SumENS_12future_valueImSA_EEmNS0_19lookback_scan_stateImLb1ELb1EEEEEvT2_T3_mT5_T4_T7_jPT6_SN_bb.kd
    .uniform_work_group_size: 1
    .uses_dynamic_stack: false
    .vgpr_count:     0
    .vgpr_spill_count: 0
    .wavefront_size: 32
    .workgroup_processor_mode: 1
  - .args:
      - .offset:         0
        .size:           16
        .value_kind:     by_value
      - .address_space:  global
        .offset:         16
        .size:           8
        .value_kind:     global_buffer
      - .offset:         24
        .size:           8
        .value_kind:     by_value
      - .address_space:  global
        .offset:         32
        .size:           8
        .value_kind:     global_buffer
      - .offset:         40
        .size:           1
        .value_kind:     by_value
      - .address_space:  global
        .offset:         48
        .size:           8
        .value_kind:     global_buffer
      - .offset:         56
        .size:           4
        .value_kind:     by_value
      - .address_space:  global
        .offset:         64
        .size:           8
        .value_kind:     global_buffer
      - .address_space:  global
        .offset:         72
        .size:           8
        .value_kind:     global_buffer
      - .offset:         80
        .size:           1
        .value_kind:     by_value
      - .offset:         81
        .size:           1
        .value_kind:     by_value
    .group_segment_fixed_size: 33792
    .kernarg_segment_align: 8
    .kernarg_segment_size: 84
    .language:       OpenCL C
    .language_version:
      - 2
      - 0
    .max_flat_workgroup_size: 256
    .name:           _ZN7rocprim6detail20lookback_scan_kernelILNS0_25lookback_scan_determinismE0ELb1ENS0_19wrapped_scan_configINS_14default_configEmEEN6hipcub22TransformInputIteratorImNS6_6CastOpImEEPmlEESA_NS6_3SumENS_12future_valueImSA_EEmNS0_19lookback_scan_stateImLb0ELb1EEEEEvT2_T3_mT5_T4_T7_jPT6_SN_bb
    .private_segment_fixed_size: 0
    .sgpr_count:     70
    .sgpr_spill_count: 0
    .symbol:         _ZN7rocprim6detail20lookback_scan_kernelILNS0_25lookback_scan_determinismE0ELb1ENS0_19wrapped_scan_configINS_14default_configEmEEN6hipcub22TransformInputIteratorImNS6_6CastOpImEEPmlEESA_NS6_3SumENS_12future_valueImSA_EEmNS0_19lookback_scan_stateImLb0ELb1EEEEEvT2_T3_mT5_T4_T7_jPT6_SN_bb.kd
    .uniform_work_group_size: 1
    .uses_dynamic_stack: false
    .vgpr_count:     96
    .vgpr_spill_count: 0
    .wavefront_size: 32
    .workgroup_processor_mode: 1
  - .args:
      - .offset:         0
        .size:           16
        .value_kind:     by_value
      - .offset:         16
        .size:           8
        .value_kind:     by_value
      - .address_space:  global
        .offset:         24
        .size:           8
        .value_kind:     global_buffer
      - .address_space:  global
        .offset:         32
        .size:           8
        .value_kind:     global_buffer
      - .offset:         40
        .size:           1
        .value_kind:     by_value
    .group_segment_fixed_size: 33792
    .kernarg_segment_align: 8
    .kernarg_segment_size: 44
    .language:       OpenCL C
    .language_version:
      - 2
      - 0
    .max_flat_workgroup_size: 256
    .name:           _ZN7rocprim6detail18single_scan_kernelILb1ENS0_19wrapped_scan_configINS_14default_configEmEEN6hipcub22TransformInputIteratorImNS5_6CastOpImEEPmlEES9_NS5_3SumENS_12future_valueImS9_EEmEEvT1_mT4_T2_T3_
    .private_segment_fixed_size: 0
    .sgpr_count:     70
    .sgpr_spill_count: 0
    .symbol:         _ZN7rocprim6detail18single_scan_kernelILb1ENS0_19wrapped_scan_configINS_14default_configEmEEN6hipcub22TransformInputIteratorImNS5_6CastOpImEEPmlEES9_NS5_3SumENS_12future_valueImS9_EEmEEvT1_mT4_T2_T3_.kd
    .uniform_work_group_size: 1
    .uses_dynamic_stack: false
    .vgpr_count:     77
    .vgpr_spill_count: 0
    .wavefront_size: 32
    .workgroup_processor_mode: 1
  - .args:
      - .address_space:  global
        .offset:         0
        .size:           8
        .value_kind:     global_buffer
      - .offset:         8
        .size:           8
        .value_kind:     by_value
    .group_segment_fixed_size: 0
    .kernarg_segment_align: 8
    .kernarg_segment_size: 16
    .language:       OpenCL C
    .language_version:
      - 2
      - 0
    .max_flat_workgroup_size: 1024
    .name:           _ZL18fill_initial_valueImEvPT_S0_
    .private_segment_fixed_size: 0
    .sgpr_count:     4
    .sgpr_spill_count: 0
    .symbol:         _ZL18fill_initial_valueImEvPT_S0_.kd
    .uniform_work_group_size: 1
    .uses_dynamic_stack: false
    .vgpr_count:     3
    .vgpr_spill_count: 0
    .wavefront_size: 32
    .workgroup_processor_mode: 1
  - .args:
      - .offset:         0
        .size:           16
        .value_kind:     by_value
      - .address_space:  global
        .offset:         16
        .size:           8
        .value_kind:     global_buffer
      - .offset:         24
        .size:           8
        .value_kind:     by_value
      - .address_space:  global
        .offset:         32
        .size:           8
        .value_kind:     global_buffer
      - .offset:         40
        .size:           1
        .value_kind:     by_value
      - .address_space:  global
        .offset:         48
        .size:           8
        .value_kind:     global_buffer
      - .offset:         56
        .size:           4
        .value_kind:     by_value
      - .address_space:  global
        .offset:         64
        .size:           8
        .value_kind:     global_buffer
      - .address_space:  global
        .offset:         72
        .size:           8
        .value_kind:     global_buffer
      - .offset:         80
        .size:           1
        .value_kind:     by_value
      - .offset:         81
        .size:           1
        .value_kind:     by_value
    .group_segment_fixed_size: 0
    .kernarg_segment_align: 8
    .kernarg_segment_size: 84
    .language:       OpenCL C
    .language_version:
      - 2
      - 0
    .max_flat_workgroup_size: 256
    .name:           _ZN7rocprim6detail20lookback_scan_kernelILNS0_25lookback_scan_determinismE0ELb1ENS0_19wrapped_scan_configINS_14default_configEyEEN6hipcub22TransformInputIteratorIyNS6_6CastOpIyEEPylEESA_NS6_3MinENS_12future_valueIySA_EEyNS0_19lookback_scan_stateIyLb1ELb1EEEEEvT2_T3_mT5_T4_T7_jPT6_SN_bb
    .private_segment_fixed_size: 0
    .sgpr_count:     0
    .sgpr_spill_count: 0
    .symbol:         _ZN7rocprim6detail20lookback_scan_kernelILNS0_25lookback_scan_determinismE0ELb1ENS0_19wrapped_scan_configINS_14default_configEyEEN6hipcub22TransformInputIteratorIyNS6_6CastOpIyEEPylEESA_NS6_3MinENS_12future_valueIySA_EEyNS0_19lookback_scan_stateIyLb1ELb1EEEEEvT2_T3_mT5_T4_T7_jPT6_SN_bb.kd
    .uniform_work_group_size: 1
    .uses_dynamic_stack: false
    .vgpr_count:     0
    .vgpr_spill_count: 0
    .wavefront_size: 32
    .workgroup_processor_mode: 1
  - .args:
      - .offset:         0
        .size:           16
        .value_kind:     by_value
      - .address_space:  global
        .offset:         16
        .size:           8
        .value_kind:     global_buffer
      - .offset:         24
        .size:           8
        .value_kind:     by_value
      - .address_space:  global
        .offset:         32
        .size:           8
        .value_kind:     global_buffer
      - .offset:         40
        .size:           1
        .value_kind:     by_value
      - .address_space:  global
        .offset:         48
        .size:           8
        .value_kind:     global_buffer
      - .offset:         56
        .size:           4
        .value_kind:     by_value
      - .address_space:  global
        .offset:         64
        .size:           8
        .value_kind:     global_buffer
      - .address_space:  global
        .offset:         72
        .size:           8
        .value_kind:     global_buffer
      - .offset:         80
        .size:           1
        .value_kind:     by_value
      - .offset:         81
        .size:           1
        .value_kind:     by_value
    .group_segment_fixed_size: 33792
    .kernarg_segment_align: 8
    .kernarg_segment_size: 84
    .language:       OpenCL C
    .language_version:
      - 2
      - 0
    .max_flat_workgroup_size: 256
    .name:           _ZN7rocprim6detail20lookback_scan_kernelILNS0_25lookback_scan_determinismE0ELb1ENS0_19wrapped_scan_configINS_14default_configEyEEN6hipcub22TransformInputIteratorIyNS6_6CastOpIyEEPylEESA_NS6_3MinENS_12future_valueIySA_EEyNS0_19lookback_scan_stateIyLb0ELb1EEEEEvT2_T3_mT5_T4_T7_jPT6_SN_bb
    .private_segment_fixed_size: 0
    .sgpr_count:     70
    .sgpr_spill_count: 0
    .symbol:         _ZN7rocprim6detail20lookback_scan_kernelILNS0_25lookback_scan_determinismE0ELb1ENS0_19wrapped_scan_configINS_14default_configEyEEN6hipcub22TransformInputIteratorIyNS6_6CastOpIyEEPylEESA_NS6_3MinENS_12future_valueIySA_EEyNS0_19lookback_scan_stateIyLb0ELb1EEEEEvT2_T3_mT5_T4_T7_jPT6_SN_bb.kd
    .uniform_work_group_size: 1
    .uses_dynamic_stack: false
    .vgpr_count:     96
    .vgpr_spill_count: 0
    .wavefront_size: 32
    .workgroup_processor_mode: 1
  - .args:
      - .offset:         0
        .size:           16
        .value_kind:     by_value
      - .offset:         16
        .size:           8
        .value_kind:     by_value
      - .address_space:  global
        .offset:         24
        .size:           8
        .value_kind:     global_buffer
      - .address_space:  global
        .offset:         32
        .size:           8
        .value_kind:     global_buffer
      - .offset:         40
        .size:           1
        .value_kind:     by_value
    .group_segment_fixed_size: 33792
    .kernarg_segment_align: 8
    .kernarg_segment_size: 44
    .language:       OpenCL C
    .language_version:
      - 2
      - 0
    .max_flat_workgroup_size: 256
    .name:           _ZN7rocprim6detail18single_scan_kernelILb1ENS0_19wrapped_scan_configINS_14default_configEyEEN6hipcub22TransformInputIteratorIyNS5_6CastOpIyEEPylEES9_NS5_3MinENS_12future_valueIyS9_EEyEEvT1_mT4_T2_T3_
    .private_segment_fixed_size: 0
    .sgpr_count:     70
    .sgpr_spill_count: 0
    .symbol:         _ZN7rocprim6detail18single_scan_kernelILb1ENS0_19wrapped_scan_configINS_14default_configEyEEN6hipcub22TransformInputIteratorIyNS5_6CastOpIyEEPylEES9_NS5_3MinENS_12future_valueIyS9_EEyEEvT1_mT4_T2_T3_.kd
    .uniform_work_group_size: 1
    .uses_dynamic_stack: false
    .vgpr_count:     74
    .vgpr_spill_count: 0
    .wavefront_size: 32
    .workgroup_processor_mode: 1
  - .args:
      - .address_space:  global
        .offset:         0
        .size:           8
        .value_kind:     global_buffer
      - .offset:         8
        .size:           8
        .value_kind:     by_value
    .group_segment_fixed_size: 0
    .kernarg_segment_align: 8
    .kernarg_segment_size: 16
    .language:       OpenCL C
    .language_version:
      - 2
      - 0
    .max_flat_workgroup_size: 1024
    .name:           _ZL18fill_initial_valueIyEvPT_S0_
    .private_segment_fixed_size: 0
    .sgpr_count:     4
    .sgpr_spill_count: 0
    .symbol:         _ZL18fill_initial_valueIyEvPT_S0_.kd
    .uniform_work_group_size: 1
    .uses_dynamic_stack: false
    .vgpr_count:     3
    .vgpr_spill_count: 0
    .wavefront_size: 32
    .workgroup_processor_mode: 1
amdhsa.target:   amdgcn-amd-amdhsa--gfx1100
amdhsa.version:
  - 1
  - 2
...

	.end_amdgpu_metadata
